;; amdgpu-corpus repo=pytorch/pytorch kind=compiled arch=gfx90a opt=O3
	.text
	.amdgcn_target "amdgcn-amd-amdhsa--gfx90a"
	.amdhsa_code_object_version 6
	.section	.text._ZN2at6native12_GLOBAL__N_16kernel17lstm_cell_forwardIddiLi1EEEvNS_4cuda6detail10TensorInfoIT_T1_EES9_S9_S9_S9_S9_S9_S9_S8_S8_,"axG",@progbits,_ZN2at6native12_GLOBAL__N_16kernel17lstm_cell_forwardIddiLi1EEEvNS_4cuda6detail10TensorInfoIT_T1_EES9_S9_S9_S9_S9_S9_S9_S8_S8_,comdat
	.globl	_ZN2at6native12_GLOBAL__N_16kernel17lstm_cell_forwardIddiLi1EEEvNS_4cuda6detail10TensorInfoIT_T1_EES9_S9_S9_S9_S9_S9_S9_S8_S8_ ; -- Begin function _ZN2at6native12_GLOBAL__N_16kernel17lstm_cell_forwardIddiLi1EEEvNS_4cuda6detail10TensorInfoIT_T1_EES9_S9_S9_S9_S9_S9_S9_S8_S8_
	.p2align	8
	.type	_ZN2at6native12_GLOBAL__N_16kernel17lstm_cell_forwardIddiLi1EEEvNS_4cuda6detail10TensorInfoIT_T1_EES9_S9_S9_S9_S9_S9_S9_S8_S8_,@function
_ZN2at6native12_GLOBAL__N_16kernel17lstm_cell_forwardIddiLi1EEEvNS_4cuda6detail10TensorInfoIT_T1_EES9_S9_S9_S9_S9_S9_S9_S8_S8_: ; @_ZN2at6native12_GLOBAL__N_16kernel17lstm_cell_forwardIddiLi1EEEvNS_4cuda6detail10TensorInfoIT_T1_EES9_S9_S9_S9_S9_S9_S9_S8_S8_
; %bb.0:
	s_load_dword s2, s[4:5], 0x6d4
	s_load_dwordx2 s[8:9], s[4:5], 0x6c0
	s_add_u32 s0, s4, 0x6c8
	s_addc_u32 s1, s5, 0
	s_waitcnt lgkmcnt(0)
	s_and_b32 s2, s2, 0xffff
	s_mul_i32 s6, s6, s2
	v_add_u32_e32 v0, s6, v0
	v_cmp_gt_i32_e32 vcc, s9, v0
	s_and_saveexec_b64 s[6:7], vcc
	s_cbranch_execz .LBB0_5
; %bb.1:
	s_load_dwordx2 s[6:7], s[4:5], 0x1b0
	s_load_dwordx2 s[10:11], s[4:5], 0x0
	s_load_dword s33, s[4:5], 0x6c
	s_load_dwordx2 s[12:13], s[4:5], 0xd8
	s_load_dword s68, s[4:5], 0x144
	s_load_dword s69, s[4:5], 0x21c
	s_load_dwordx2 s[14:15], s[4:5], 0x288
	s_load_dword s70, s[4:5], 0x2f4
	s_waitcnt lgkmcnt(0)
	s_cmp_lg_u64 s[6:7], 0
	s_cselect_b64 s[24:25], -1, 0
	s_abs_i32 s71, s8
	v_cvt_f32_u32_e32 v1, s71
	s_load_dwordx2 s[16:17], s[4:5], 0x360
	s_load_dword s3, s[4:5], 0x3cc
	s_load_dwordx2 s[18:19], s[4:5], 0x438
	s_load_dword s26, s[4:5], 0x4a4
	s_load_dword s73, s[0:1], 0x0
	s_load_dwordx2 s[20:21], s[4:5], 0x510
	s_nop 0
	s_load_dword s0, s[4:5], 0x57c
	s_load_dwordx2 s[22:23], s[4:5], 0x5e8
	s_load_dword s72, s[4:5], 0x654
	s_sub_i32 s1, 0, s71
	v_rcp_iflag_f32_e32 v1, v1
	s_waitcnt lgkmcnt(0)
	v_mul_lo_u32 v4, v0, s26
	s_mul_i32 s73, s73, s2
	s_mul_i32 s78, s73, s26
	v_mul_f32_e32 v1, 0x4f7ffffe, v1
	v_cvt_u32_f32_e32 v1, v1
	v_cndmask_b32_e64 v3, 0, 1, s[24:25]
	s_mov_b32 s24, 0x652b82fe
	s_mov_b32 s26, 0xfefa39ef
	v_mul_lo_u32 v2, s1, v1
	v_mul_hi_u32 v2, v1, v2
	s_mov_b32 s28, 0x3b39803f
	s_mov_b32 s30, 0xfca7ab0c
	;; [unrolled: 1-line block ×17, first 2 shown]
	s_mov_b64 s[4:5], 0
	s_ashr_i32 s74, s8, 31
	v_add_u32_e32 v1, v1, v2
	s_mul_i32 s75, s8, 3
	s_sub_i32 s76, 0, s8
	v_mul_lo_u32 v2, v0, s3
	s_mul_i32 s77, s73, s3
	v_mul_lo_u32 v6, v0, s0
	s_mul_i32 s79, s73, s0
	v_mov_b32_e32 v52, s11
	v_mov_b32_e32 v53, s13
	;; [unrolled: 1-line block ×3, first 2 shown]
	v_cmp_ne_u32_e64 s[0:1], 1, v3
	s_mov_b32 s25, 0xbff71547
	s_mov_b32 s27, 0xbfe62e42
	;; [unrolled: 1-line block ×15, first 2 shown]
	s_brev_b32 s11, -2
	s_mov_b32 s57, 0x3ff71547
	s_mov_b32 s58, 0xfefa3000
	;; [unrolled: 1-line block ×5, first 2 shown]
	v_mov_b32_e32 v55, 0x3ff00000
	s_mov_b32 s67, 0x3e400000
	s_branch .LBB0_3
.LBB0_2:                                ;   in Loop: Header=BB0_3 Depth=1
	s_waitcnt vmcnt(4)
	v_add_f64 v[24:25], v[24:25], v[36:37]
	v_add_f64 v[24:25], v[24:25], v[48:49]
	s_waitcnt vmcnt(3)
	v_add_f64 v[48:49], v[50:51], v[24:25]
	v_mul_f64 v[24:25], v[48:49], s[24:25]
	v_rndne_f64_e32 v[24:25], v[24:25]
	v_fma_f64 v[50:51], v[24:25], s[26:27], -v[48:49]
	v_fmac_f64_e32 v[50:51], s[28:29], v[24:25]
	v_pk_mov_b32 v[36:37], s[30:31], s[30:31] op_sel:[0,1]
	v_fma_f64 v[58:59], s[34:35], v[50:51], v[36:37]
	v_fma_f64 v[58:59], v[50:51], v[58:59], s[36:37]
	;; [unrolled: 1-line block ×4, first 2 shown]
	v_mul_lo_u32 v8, v8, s72
	v_fma_f64 v[58:59], v[50:51], v[58:59], s[42:43]
	v_add_f64 v[26:27], v[26:27], v[30:31]
	v_ashrrev_i32_e32 v9, 31, v8
	v_fma_f64 v[58:59], v[50:51], v[58:59], s[44:45]
	v_add_f64 v[26:27], v[26:27], v[44:45]
	v_lshlrev_b64 v[8:9], 3, v[8:9]
	v_mul_lo_u32 v10, v5, s72
	v_fma_f64 v[58:59], v[50:51], v[58:59], s[46:47]
	s_waitcnt vmcnt(2)
	v_add_f64 v[30:31], v[46:47], v[26:27]
	v_mov_b32_e32 v3, s23
	v_add_co_u32_e32 v8, vcc, s22, v8
	v_ashrrev_i32_e32 v11, 31, v10
	v_fma_f64 v[58:59], v[50:51], v[58:59], s[48:49]
	v_mul_f64 v[26:27], v[30:31], s[24:25]
	v_addc_co_u32_e32 v9, vcc, v3, v9, vcc
	v_lshlrev_b64 v[10:11], 3, v[10:11]
	v_mul_lo_u32 v12, v12, s72
	v_fma_f64 v[58:59], v[50:51], v[58:59], s[50:51]
	v_rndne_f64_e32 v[26:27], v[26:27]
	v_add_co_u32_e32 v10, vcc, s22, v10
	v_ashrrev_i32_e32 v13, 31, v12
	v_ashrrev_i32_e32 v5, 31, v4
	v_fma_f64 v[58:59], v[50:51], v[58:59], 1.0
	v_fma_f64 v[44:45], v[26:27], s[26:27], -v[30:31]
	v_addc_co_u32_e32 v11, vcc, v3, v11, vcc
	v_lshlrev_b64 v[12:13], 3, v[12:13]
	v_mul_lo_u32 v14, v14, s72
	v_lshlrev_b64 v[20:21], 3, v[4:5]
	v_fma_f64 v[50:51], v[50:51], v[58:59], 1.0
	v_cvt_i32_f64_e32 v5, v[24:25]
	v_fmac_f64_e32 v[44:45], s[28:29], v[26:27]
	v_add_co_u32_e32 v12, vcc, s22, v12
	v_ashrrev_i32_e32 v15, 31, v14
	v_ldexp_f64 v[24:25], v[50:51], v5
	v_fma_f64 v[46:47], s[34:35], v[44:45], v[36:37]
	v_addc_co_u32_e32 v13, vcc, v3, v13, vcc
	v_lshlrev_b64 v[14:15], 3, v[14:15]
	v_add_f64 v[50:51], v[24:25], 1.0
	v_fma_f64 v[46:47], v[44:45], v[46:47], s[36:37]
	v_add_co_u32_e32 v14, vcc, s22, v14
	v_div_scale_f64 v[58:59], s[2:3], v[50:51], v[50:51], 1.0
	v_fma_f64 v[46:47], v[44:45], v[46:47], s[38:39]
	v_addc_co_u32_e32 v15, vcc, v3, v15, vcc
	v_rcp_f64_e32 v[60:61], v[58:59]
	v_fma_f64 v[46:47], v[44:45], v[46:47], s[40:41]
	v_mov_b32_e32 v3, s19
	v_add_co_u32_e32 v20, vcc, s18, v20
	v_ashrrev_i32_e32 v7, 31, v6
	v_fma_f64 v[46:47], v[44:45], v[46:47], s[42:43]
	v_addc_co_u32_e32 v21, vcc, v3, v21, vcc
	v_lshlrev_b64 v[56:57], 3, v[6:7]
	v_fma_f64 v[46:47], v[44:45], v[46:47], s[44:45]
	v_mov_b32_e32 v3, s21
	v_add_co_u32_e32 v24, vcc, s20, v56
	v_fma_f64 v[46:47], v[44:45], v[46:47], s[46:47]
	v_addc_co_u32_e32 v25, vcc, v3, v57, vcc
	v_fma_f64 v[56:57], -v[58:59], v[60:61], 1.0
	v_fma_f64 v[46:47], v[44:45], v[46:47], s[48:49]
	v_fmac_f64_e32 v[60:61], v[60:61], v[56:57]
	v_fma_f64 v[46:47], v[44:45], v[46:47], s[50:51]
	v_fma_f64 v[56:57], -v[58:59], v[60:61], 1.0
	v_fma_f64 v[46:47], v[44:45], v[46:47], 1.0
	v_fmac_f64_e32 v[60:61], v[60:61], v[56:57]
	v_div_scale_f64 v[56:57], vcc, 1.0, v[50:51], 1.0
	v_fma_f64 v[44:45], v[44:45], v[46:47], 1.0
	v_cvt_i32_f64_e32 v5, v[26:27]
	v_mul_f64 v[62:63], v[56:57], v[60:61]
	v_ldexp_f64 v[26:27], v[44:45], v5
	v_fma_f64 v[56:57], -v[58:59], v[62:63], v[56:57]
	v_add_f64 v[44:45], v[26:27], 1.0
	v_div_fmas_f64 v[56:57], v[56:57], v[60:61], v[62:63]
	v_div_scale_f64 v[46:47], s[2:3], v[44:45], v[44:45], 1.0
	v_div_fixup_f64 v[50:51], v[56:57], v[50:51], 1.0
	v_rcp_f64_e32 v[56:57], v[46:47]
	v_cmp_ngt_f64_e32 vcc, s[52:53], v[48:49]
	v_cmp_nlt_f64_e64 s[2:3], s[54:55], v[48:49]
	v_cndmask_b32_e32 v3, 0, v51, vcc
	v_fma_f64 v[48:49], -v[46:47], v[56:57], 1.0
	v_fmac_f64_e32 v[56:57], v[56:57], v[48:49]
	s_and_b64 vcc, s[2:3], vcc
	v_fma_f64 v[48:49], -v[46:47], v[56:57], 1.0
	v_cndmask_b32_e32 v26, 0, v50, vcc
	v_fmac_f64_e32 v[56:57], v[56:57], v[48:49]
	v_div_scale_f64 v[48:49], vcc, 1.0, v[44:45], 1.0
	v_add_f64 v[34:35], v[34:35], v[38:39]
	v_mul_f64 v[50:51], v[48:49], v[56:57]
	v_add_f64 v[34:35], v[34:35], v[40:41]
	v_fma_f64 v[46:47], -v[46:47], v[50:51], v[48:49]
	s_waitcnt vmcnt(1)
	v_add_f64 v[34:35], v[42:43], v[34:35]
	s_mov_b32 s56, s24
	v_div_fmas_f64 v[46:47], v[46:47], v[56:57], v[50:51]
	v_mul_f64 v[38:39], |v[34:35]|, s[56:57]
	v_cndmask_b32_e64 v27, v55, v3, s[2:3]
	v_div_fixup_f64 v[44:45], v[46:47], v[44:45], 1.0
	v_cmp_ngt_f64_e32 vcc, s[52:53], v[30:31]
	v_cmp_nlt_f64_e64 s[2:3], s[54:55], v[30:31]
	v_rndne_f64_e32 v[38:39], v[38:39]
	s_mov_b32 s59, s27
	v_cndmask_b32_e32 v3, 0, v45, vcc
	s_and_b64 vcc, s[2:3], vcc
	v_fma_f64 v[40:41], v[38:39], s[58:59], |v[34:35]|
	v_cndmask_b32_e32 v30, 0, v44, vcc
	v_add_f64 v[42:43], v[40:41], 0
	v_mul_f64 v[44:45], v[38:39], s[60:61]
	v_add_f64 v[46:47], v[42:43], -v[44:45]
	v_add_f64 v[40:41], v[40:41], -v[42:43]
	;; [unrolled: 1-line block ×3, first 2 shown]
	v_add_f64 v[40:41], v[40:41], 0
	v_add_f64 v[42:43], v[42:43], -v[44:45]
	v_add_f64 v[40:41], v[40:41], v[42:43]
	v_add_f64 v[42:43], v[46:47], v[40:41]
	v_add_f64 v[44:45], v[46:47], -v[42:43]
	v_add_f64 v[40:41], v[40:41], v[44:45]
	v_mul_f64 v[44:45], v[38:39], s[62:63]
	v_add_f64 v[46:47], v[42:43], -v[44:45]
	v_add_f64 v[42:43], v[42:43], -v[46:47]
	;; [unrolled: 1-line block ×3, first 2 shown]
	v_add_f64 v[40:41], v[40:41], v[42:43]
	v_add_f64 v[42:43], v[46:47], v[40:41]
	v_add_f64 v[44:45], v[46:47], -v[42:43]
	v_add_f64 v[40:41], v[40:41], v[44:45]
	v_fma_f64 v[44:45], s[34:35], v[42:43], v[36:37]
	v_fma_f64 v[44:45], v[42:43], v[44:45], s[36:37]
	;; [unrolled: 1-line block ×5, first 2 shown]
	v_mul_f64 v[46:47], v[42:43], v[42:43]
	v_fma_f64 v[44:45], v[42:43], v[44:45], s[44:45]
	v_fma_f64 v[48:49], v[42:43], v[42:43], -v[46:47]
	v_add_f64 v[50:51], v[40:41], v[40:41]
	v_fma_f64 v[44:45], v[42:43], v[44:45], s[46:47]
	v_fmac_f64_e32 v[48:49], v[42:43], v[50:51]
	v_fma_f64 v[44:45], v[42:43], v[44:45], s[48:49]
	v_add_f64 v[50:51], v[46:47], v[48:49]
	v_fma_f64 v[44:45], v[42:43], v[44:45], s[50:51]
	v_add_f64 v[46:47], v[50:51], -v[46:47]
	v_add_f64 v[46:47], v[48:49], -v[46:47]
	v_mul_f64 v[48:49], v[50:51], v[44:45]
	v_fma_f64 v[50:51], v[50:51], v[44:45], -v[48:49]
	v_fmac_f64_e32 v[50:51], v[46:47], v[44:45]
	v_add_f64 v[44:45], v[48:49], v[50:51]
	v_add_f64 v[46:47], v[44:45], -v[48:49]
	v_add_f64 v[48:49], v[42:43], v[44:45]
	v_add_f64 v[46:47], v[50:51], -v[46:47]
	v_add_f64 v[42:43], v[48:49], -v[42:43]
	;; [unrolled: 1-line block ×3, first 2 shown]
	v_add_f64 v[40:41], v[40:41], v[46:47]
	v_add_f64 v[40:41], v[40:41], v[42:43]
	;; [unrolled: 1-line block ×3, first 2 shown]
	v_add_f64 v[44:45], v[42:43], -v[48:49]
	v_add_f64 v[40:41], v[40:41], -v[44:45]
	v_add_f64 v[44:45], v[42:43], 1.0
	v_add_f64 v[46:47], v[44:45], -1.0
	v_add_f64 v[42:43], v[42:43], -v[46:47]
	v_add_f64 v[40:41], v[40:41], v[42:43]
	v_add_f64 v[42:43], v[44:45], v[40:41]
	v_cvt_i32_f64_e32 v5, v[38:39]
	v_ldexp_f64 v[38:39], v[42:43], v5
	v_rcp_f64_e32 v[46:47], v[38:39]
	v_add_f64 v[42:43], v[42:43], -v[44:45]
	v_add_f64 v[40:41], v[40:41], -v[42:43]
	v_ldexp_f64 v[40:41], v[40:41], v5
	v_fma_f64 v[42:43], -v[38:39], v[46:47], 1.0
	v_fmac_f64_e32 v[46:47], v[42:43], v[46:47]
	v_fma_f64 v[42:43], -v[38:39], v[46:47], 1.0
	v_fmac_f64_e32 v[46:47], v[42:43], v[46:47]
	v_mul_f64 v[42:43], v[38:39], v[46:47]
	v_fma_f64 v[44:45], v[46:47], v[38:39], -v[42:43]
	v_fmac_f64_e32 v[44:45], v[46:47], v[40:41]
	v_add_f64 v[48:49], v[42:43], v[44:45]
	v_add_f64 v[50:51], -v[48:49], 1.0
	v_add_f64 v[42:43], v[48:49], -v[42:43]
	v_add_f64 v[56:57], -v[50:51], 1.0
	v_add_f64 v[48:49], v[56:57], -v[48:49]
	v_add_f64 v[42:43], v[42:43], -v[44:45]
	v_add_f64 v[42:43], v[42:43], v[48:49]
	v_add_f64 v[44:45], v[50:51], v[42:43]
	v_add_f64 v[48:49], v[50:51], -v[44:45]
	v_add_f64 v[42:43], v[42:43], v[48:49]
	v_mul_f64 v[48:49], v[46:47], v[44:45]
	v_mul_f64 v[50:51], v[38:39], v[48:49]
	v_fma_f64 v[56:57], v[48:49], v[38:39], -v[50:51]
	v_fmac_f64_e32 v[56:57], v[48:49], v[40:41]
	v_add_f64 v[58:59], v[50:51], v[56:57]
	v_add_f64 v[60:61], v[44:45], -v[58:59]
	v_add_f64 v[44:45], v[44:45], -v[60:61]
	;; [unrolled: 1-line block ×4, first 2 shown]
	v_add_f64 v[42:43], v[42:43], v[44:45]
	v_add_f64 v[44:45], v[50:51], -v[56:57]
	v_add_f64 v[42:43], v[44:45], v[42:43]
	v_add_f64 v[42:43], v[60:61], v[42:43]
	;; [unrolled: 1-line block ×3, first 2 shown]
	v_mul_f64 v[42:43], v[46:47], v[42:43]
	v_add_f64 v[46:47], v[44:45], -v[46:47]
	v_add_f64 v[46:47], v[48:49], -v[46:47]
	v_add_f64 v[42:43], v[46:47], v[42:43]
	v_add_f64 v[46:47], v[44:45], v[42:43]
	v_add_f64 v[44:45], v[46:47], -v[44:45]
	v_add_f64 v[42:43], v[42:43], -v[44:45]
	;; [unrolled: 1-line block ×4, first 2 shown]
	v_add_f64 v[56:57], v[38:39], v[46:47]
	v_add_f64 v[48:49], v[48:49], -v[46:47]
	v_add_f64 v[38:39], v[56:57], -v[38:39]
	v_add_f64 v[48:49], v[40:41], v[48:49]
	v_add_f64 v[38:39], v[46:47], -v[38:39]
	v_add_f64 v[40:41], v[40:41], v[42:43]
	v_add_f64 v[38:39], v[40:41], v[38:39]
	;; [unrolled: 1-line block ×3, first 2 shown]
	v_add_f64 v[48:49], v[48:49], -v[42:43]
	v_rcp_f64_e32 v[42:43], v[40:41]
	v_add_f64 v[16:17], v[16:17], v[22:23]
	v_add_f64 v[16:17], v[16:17], v[28:29]
	v_add_f64 v[46:47], v[40:41], -v[56:57]
	s_waitcnt vmcnt(0)
	v_add_f64 v[22:23], v[32:33], v[16:17]
	v_add_f64 v[38:39], v[38:39], -v[46:47]
	v_fma_f64 v[46:47], -v[40:41], v[42:43], 1.0
	v_mul_f64 v[16:17], v[22:23], s[24:25]
	v_fmac_f64_e32 v[42:43], v[46:47], v[42:43]
	v_rndne_f64_e32 v[16:17], v[16:17]
	v_fma_f64 v[46:47], -v[40:41], v[42:43], 1.0
	v_fma_f64 v[28:29], v[16:17], s[26:27], -v[22:23]
	v_add_f64 v[50:51], v[44:45], v[48:49]
	v_fmac_f64_e32 v[42:43], v[46:47], v[42:43]
	v_fmac_f64_e32 v[28:29], s[28:29], v[16:17]
	v_add_f64 v[44:45], v[50:51], -v[44:45]
	v_mul_f64 v[46:47], v[50:51], v[42:43]
	v_fma_f64 v[32:33], s[34:35], v[28:29], v[36:37]
	v_add_f64 v[44:45], v[48:49], -v[44:45]
	v_mul_f64 v[48:49], v[40:41], v[46:47]
	v_fma_f64 v[32:33], v[28:29], v[32:33], s[36:37]
	v_fma_f64 v[40:41], v[46:47], v[40:41], -v[48:49]
	v_fma_f64 v[32:33], v[28:29], v[32:33], s[38:39]
	v_fmac_f64_e32 v[40:41], v[46:47], v[38:39]
	v_fma_f64 v[32:33], v[28:29], v[32:33], s[40:41]
	v_add_f64 v[38:39], v[48:49], v[40:41]
	v_fma_f64 v[32:33], v[28:29], v[32:33], s[42:43]
	v_add_f64 v[48:49], v[38:39], -v[48:49]
	v_fma_f64 v[32:33], v[28:29], v[32:33], s[44:45]
	v_add_f64 v[40:41], v[40:41], -v[48:49]
	v_add_f64 v[48:49], v[50:51], -v[38:39]
	v_fma_f64 v[32:33], v[28:29], v[32:33], s[46:47]
	v_add_f64 v[50:51], v[50:51], -v[48:49]
	v_fma_f64 v[32:33], v[28:29], v[32:33], s[48:49]
	;; [unrolled: 2-line block ×3, first 2 shown]
	v_add_f64 v[38:39], v[38:39], -v[40:41]
	v_fma_f64 v[32:33], v[28:29], v[32:33], 1.0
	v_add_f64 v[38:39], v[44:45], v[38:39]
	v_fma_f64 v[28:29], v[28:29], v[32:33], 1.0
	v_cvt_i32_f64_e32 v16, v[16:17]
	v_add_f64 v[38:39], v[48:49], v[38:39]
	v_ldexp_f64 v[16:17], v[28:29], v16
	v_mul_f64 v[38:39], v[42:43], v[38:39]
	v_add_f64 v[28:29], v[16:17], 1.0
	v_cndmask_b32_e64 v31, v55, v3, s[2:3]
	v_add_f64 v[38:39], v[46:47], v[38:39]
	v_cmp_ngt_f64_e64 vcc, |v[34:35]|, s[64:65]
	v_div_scale_f64 v[32:33], s[2:3], v[28:29], v[28:29], 1.0
	v_cndmask_b32_e32 v5, v55, v39, vcc
	v_cndmask_b32_e32 v7, 0, v38, vcc
	v_rcp_f64_e32 v[38:39], v[32:33]
	v_and_b32_e32 v3, 0x7fffffff, v35
	v_cmp_lt_f64_e64 vcc, |v[34:35]|, s[66:67]
	v_cndmask_b32_e32 v3, v5, v3, vcc
	v_cndmask_b32_e32 v16, v7, v34, vcc
	v_bfi_b32 v17, s11, v3, v35
	v_fma_f64 v[34:35], -v[32:33], v[38:39], 1.0
	v_fmac_f64_e32 v[38:39], v[38:39], v[34:35]
	v_fma_f64 v[34:35], -v[32:33], v[38:39], 1.0
	v_fmac_f64_e32 v[38:39], v[38:39], v[34:35]
	v_div_scale_f64 v[34:35], vcc, 1.0, v[28:29], 1.0
	v_mul_f64 v[40:41], v[34:35], v[38:39]
	v_fma_f64 v[32:33], -v[32:33], v[40:41], v[34:35]
	v_cmp_nlt_f64_e64 s[2:3], s[54:55], v[22:23]
	s_nop 0
	v_div_fmas_f64 v[32:33], v[32:33], v[38:39], v[40:41]
	v_div_fixup_f64 v[28:29], v[32:33], v[28:29], 1.0
	v_cmp_ngt_f64_e32 vcc, s[52:53], v[22:23]
	v_cndmask_b32_e32 v3, 0, v29, vcc
	s_and_b64 vcc, s[2:3], vcc
	v_cndmask_b32_e32 v22, 0, v28, vcc
	v_mul_f64 v[28:29], v[26:27], v[16:17]
	v_fmac_f64_e32 v[28:29], v[18:19], v[30:31]
	v_mul_f64 v[18:19], |v[28:29]|, s[56:57]
	v_rndne_f64_e32 v[18:19], v[18:19]
	v_fma_f64 v[32:33], v[18:19], s[58:59], |v[28:29]|
	v_add_f64 v[34:35], v[32:33], 0
	v_mul_f64 v[38:39], v[18:19], s[60:61]
	v_add_f64 v[40:41], v[34:35], -v[38:39]
	v_add_f64 v[32:33], v[32:33], -v[34:35]
	;; [unrolled: 1-line block ×3, first 2 shown]
	v_add_f64 v[32:33], v[32:33], 0
	v_add_f64 v[34:35], v[34:35], -v[38:39]
	v_add_f64 v[32:33], v[32:33], v[34:35]
	v_add_f64 v[34:35], v[40:41], v[32:33]
	v_add_f64 v[38:39], v[40:41], -v[34:35]
	v_add_f64 v[32:33], v[32:33], v[38:39]
	v_mul_f64 v[38:39], v[18:19], s[62:63]
	v_add_f64 v[40:41], v[34:35], -v[38:39]
	v_add_f64 v[34:35], v[34:35], -v[40:41]
	;; [unrolled: 1-line block ×3, first 2 shown]
	v_add_f64 v[32:33], v[32:33], v[34:35]
	v_add_f64 v[34:35], v[40:41], v[32:33]
	v_fma_f64 v[36:37], s[34:35], v[34:35], v[36:37]
	v_fma_f64 v[36:37], v[34:35], v[36:37], s[36:37]
	;; [unrolled: 1-line block ×3, first 2 shown]
	v_add_f64 v[38:39], v[40:41], -v[34:35]
	v_fma_f64 v[36:37], v[34:35], v[36:37], s[40:41]
	v_add_f64 v[32:33], v[32:33], v[38:39]
	v_fma_f64 v[36:37], v[34:35], v[36:37], s[42:43]
	v_mul_f64 v[38:39], v[34:35], v[34:35]
	v_fma_f64 v[36:37], v[34:35], v[36:37], s[44:45]
	v_fma_f64 v[40:41], v[34:35], v[34:35], -v[38:39]
	v_add_f64 v[42:43], v[32:33], v[32:33]
	v_fma_f64 v[36:37], v[34:35], v[36:37], s[46:47]
	v_fmac_f64_e32 v[40:41], v[34:35], v[42:43]
	v_fma_f64 v[36:37], v[34:35], v[36:37], s[48:49]
	v_add_f64 v[42:43], v[38:39], v[40:41]
	v_fma_f64 v[36:37], v[34:35], v[36:37], s[50:51]
	v_add_f64 v[38:39], v[42:43], -v[38:39]
	v_add_f64 v[38:39], v[40:41], -v[38:39]
	v_mul_f64 v[40:41], v[42:43], v[36:37]
	v_fma_f64 v[42:43], v[42:43], v[36:37], -v[40:41]
	v_fmac_f64_e32 v[42:43], v[38:39], v[36:37]
	v_add_f64 v[36:37], v[40:41], v[42:43]
	v_add_f64 v[38:39], v[36:37], -v[40:41]
	v_add_f64 v[40:41], v[34:35], v[36:37]
	v_add_f64 v[38:39], v[42:43], -v[38:39]
	v_add_f64 v[34:35], v[40:41], -v[34:35]
	;; [unrolled: 1-line block ×3, first 2 shown]
	v_add_f64 v[32:33], v[32:33], v[38:39]
	v_add_f64 v[32:33], v[32:33], v[34:35]
	;; [unrolled: 1-line block ×3, first 2 shown]
	v_add_f64 v[36:37], v[34:35], -v[40:41]
	v_add_f64 v[32:33], v[32:33], -v[36:37]
	v_add_f64 v[36:37], v[34:35], 1.0
	v_add_f64 v[38:39], v[36:37], -1.0
	v_add_f64 v[34:35], v[34:35], -v[38:39]
	v_add_f64 v[32:33], v[32:33], v[34:35]
	v_add_f64 v[34:35], v[36:37], v[32:33]
	v_cvt_i32_f64_e32 v5, v[18:19]
	v_ldexp_f64 v[18:19], v[34:35], v5
	v_rcp_f64_e32 v[38:39], v[18:19]
	v_add_f64 v[34:35], v[34:35], -v[36:37]
	v_add_f64 v[32:33], v[32:33], -v[34:35]
	v_ldexp_f64 v[32:33], v[32:33], v5
	v_fma_f64 v[34:35], -v[18:19], v[38:39], 1.0
	v_fmac_f64_e32 v[38:39], v[34:35], v[38:39]
	v_fma_f64 v[34:35], -v[18:19], v[38:39], 1.0
	v_fmac_f64_e32 v[38:39], v[34:35], v[38:39]
	v_mul_f64 v[34:35], v[18:19], v[38:39]
	v_fma_f64 v[36:37], v[38:39], v[18:19], -v[34:35]
	v_fmac_f64_e32 v[36:37], v[38:39], v[32:33]
	v_add_f64 v[40:41], v[34:35], v[36:37]
	v_add_f64 v[42:43], -v[40:41], 1.0
	v_add_f64 v[34:35], v[40:41], -v[34:35]
	v_add_f64 v[44:45], -v[42:43], 1.0
	v_add_f64 v[40:41], v[44:45], -v[40:41]
	v_add_f64 v[34:35], v[34:35], -v[36:37]
	v_add_f64 v[34:35], v[34:35], v[40:41]
	v_add_f64 v[36:37], v[42:43], v[34:35]
	v_add_f64 v[40:41], v[42:43], -v[36:37]
	v_add_f64 v[34:35], v[34:35], v[40:41]
	v_mul_f64 v[40:41], v[38:39], v[36:37]
	v_mul_f64 v[42:43], v[18:19], v[40:41]
	v_fma_f64 v[44:45], v[40:41], v[18:19], -v[42:43]
	v_fmac_f64_e32 v[44:45], v[40:41], v[32:33]
	v_add_f64 v[46:47], v[42:43], v[44:45]
	v_add_f64 v[48:49], v[36:37], -v[46:47]
	v_add_f64 v[36:37], v[36:37], -v[48:49]
	;; [unrolled: 1-line block ×4, first 2 shown]
	v_add_f64 v[34:35], v[34:35], v[36:37]
	v_add_f64 v[36:37], v[42:43], -v[44:45]
	v_add_f64 v[34:35], v[36:37], v[34:35]
	v_add_f64 v[34:35], v[48:49], v[34:35]
	;; [unrolled: 1-line block ×3, first 2 shown]
	v_mul_f64 v[34:35], v[38:39], v[34:35]
	v_add_f64 v[38:39], v[36:37], -v[38:39]
	v_add_f64 v[38:39], v[40:41], -v[38:39]
	v_add_f64 v[34:35], v[38:39], v[34:35]
	v_add_f64 v[38:39], v[36:37], v[34:35]
	v_add_f64 v[36:37], v[38:39], -v[36:37]
	v_add_f64 v[34:35], v[34:35], -v[36:37]
	;; [unrolled: 1-line block ×4, first 2 shown]
	v_add_f64 v[44:45], v[18:19], v[38:39]
	v_add_f64 v[40:41], v[40:41], -v[38:39]
	v_add_f64 v[18:19], v[44:45], -v[18:19]
	v_add_f64 v[40:41], v[32:33], v[40:41]
	v_add_f64 v[18:19], v[38:39], -v[18:19]
	v_add_f64 v[32:33], v[32:33], v[34:35]
	v_add_f64 v[18:19], v[32:33], v[18:19]
	;; [unrolled: 1-line block ×3, first 2 shown]
	v_add_f64 v[40:41], v[40:41], -v[34:35]
	v_rcp_f64_e32 v[34:35], v[32:33]
	v_add_f64 v[38:39], v[32:33], -v[44:45]
	v_add_f64 v[18:19], v[18:19], -v[38:39]
	v_add_f64 v[42:43], v[36:37], v[40:41]
	v_fma_f64 v[38:39], -v[32:33], v[34:35], 1.0
	v_fmac_f64_e32 v[34:35], v[38:39], v[34:35]
	v_fma_f64 v[38:39], -v[32:33], v[34:35], 1.0
	v_fmac_f64_e32 v[34:35], v[38:39], v[34:35]
	v_add_f64 v[36:37], v[42:43], -v[36:37]
	v_mul_f64 v[38:39], v[42:43], v[34:35]
	v_add_f64 v[36:37], v[40:41], -v[36:37]
	v_mul_f64 v[40:41], v[32:33], v[38:39]
	v_fma_f64 v[32:33], v[38:39], v[32:33], -v[40:41]
	v_fmac_f64_e32 v[32:33], v[38:39], v[18:19]
	v_add_f64 v[18:19], v[40:41], v[32:33]
	v_add_f64 v[40:41], v[18:19], -v[40:41]
	v_add_f64 v[32:33], v[32:33], -v[40:41]
	;; [unrolled: 1-line block ×6, first 2 shown]
	v_add_f64 v[18:19], v[36:37], v[18:19]
	v_add_f64 v[18:19], v[40:41], v[18:19]
	v_mul_f64 v[18:19], v[34:35], v[18:19]
	v_add_f64 v[18:19], v[38:39], v[18:19]
	v_cmp_ngt_f64_e64 vcc, |v[28:29]|, s[64:65]
	v_cndmask_b32_e64 v23, v55, v3, s[2:3]
	v_and_b32_e32 v3, 0x7fffffff, v29
	v_cndmask_b32_e32 v5, v55, v19, vcc
	v_cndmask_b32_e32 v7, 0, v18, vcc
	v_cmp_lt_f64_e64 vcc, |v[28:29]|, s[66:67]
	v_cndmask_b32_e32 v3, v5, v3, vcc
	v_add_u32_e32 v0, s73, v0
	v_cndmask_b32_e32 v18, v7, v28, vcc
	v_bfi_b32 v19, s11, v3, v29
	v_cmp_le_i32_e32 vcc, s9, v0
	v_mul_f64 v[18:19], v[22:23], v[18:19]
	v_add_u32_e32 v2, s77, v2
	v_add_u32_e32 v4, s78, v4
	s_or_b64 s[4:5], vcc, s[4:5]
	v_add_u32_e32 v6, s79, v6
	global_store_dwordx2 v[20:21], v[18:19], off
	global_store_dwordx2 v[24:25], v[28:29], off
	;; [unrolled: 1-line block ×6, first 2 shown]
	s_andn2_b64 exec, exec, s[4:5]
	s_cbranch_execz .LBB0_5
.LBB0_3:                                ; =>This Inner Loop Header: Depth=1
	v_ashrrev_i32_e32 v3, 31, v0
	v_xor_b32_e32 v7, s74, v3
	v_sub_u32_e32 v3, 0, v0
	v_max_i32_e32 v3, v0, v3
	v_mul_hi_u32 v5, v3, v1
	v_mul_lo_u32 v8, v5, s71
	v_sub_u32_e32 v3, v3, v8
	v_add_u32_e32 v8, 1, v5
	v_cmp_le_u32_e32 vcc, s71, v3
	v_cndmask_b32_e32 v5, v5, v8, vcc
	v_subrev_u32_e32 v8, s71, v3
	v_cndmask_b32_e32 v3, v3, v8, vcc
	v_add_u32_e32 v8, 1, v5
	v_cmp_le_u32_e32 vcc, s71, v3
	v_cndmask_b32_e32 v3, v5, v8, vcc
	v_xor_b32_e32 v10, v3, v7
	v_sub_u32_e32 v11, v10, v7
	v_mad_u64_u32 v[8:9], s[2:3], s75, v11, v[0:1]
	v_lshl_add_u32 v3, v10, 1, v10
	v_mul_i32_i24_e32 v5, 3, v7
	v_mul_lo_u32 v12, v8, s33
	v_sub_u32_e32 v3, v3, v5
	v_ashrrev_i32_e32 v13, 31, v12
	v_mul_lo_u32 v5, s8, v3
	v_lshlrev_b64 v[12:13], 3, v[12:13]
	v_add3_u32 v5, v5, s8, v0
	v_add_co_u32_e32 v16, vcc, s10, v12
	v_mul_lo_u32 v12, v5, s33
	v_addc_co_u32_e32 v17, vcc, v52, v13, vcc
	v_ashrrev_i32_e32 v13, 31, v12
	v_lshlrev_b64 v[12:13], 3, v[12:13]
	v_add_co_u32_e32 v18, vcc, s10, v12
	v_add_u32_e32 v9, 2, v3
	v_addc_co_u32_e32 v19, vcc, v52, v13, vcc
	v_mad_u64_u32 v[12:13], s[2:3], s8, v9, v[0:1]
	v_mul_lo_u32 v14, v12, s33
	v_ashrrev_i32_e32 v15, 31, v14
	v_lshlrev_b64 v[14:15], 3, v[14:15]
	v_add_co_u32_e32 v20, vcc, s10, v14
	v_add_u32_e32 v3, 3, v3
	v_addc_co_u32_e32 v21, vcc, v52, v15, vcc
	v_mad_u64_u32 v[14:15], s[2:3], s8, v3, v[0:1]
	v_mul_lo_u32 v22, v14, s33
	v_ashrrev_i32_e32 v23, 31, v22
	v_lshlrev_b64 v[22:23], 3, v[22:23]
	v_add_co_u32_e32 v22, vcc, s10, v22
	v_addc_co_u32_e32 v23, vcc, v52, v23, vcc
	global_load_dwordx2 v[24:25], v[16:17], off
	global_load_dwordx2 v[26:27], v[18:19], off
	;; [unrolled: 1-line block ×3, first 2 shown]
	s_nop 0
	global_load_dwordx2 v[16:17], v[22:23], off
	v_mul_lo_u32 v18, v8, s68
	v_ashrrev_i32_e32 v19, 31, v18
	v_lshlrev_b64 v[18:19], 3, v[18:19]
	v_mul_lo_u32 v20, v5, s68
	v_add_co_u32_e32 v18, vcc, s12, v18
	v_ashrrev_i32_e32 v21, 31, v20
	v_addc_co_u32_e32 v19, vcc, v53, v19, vcc
	v_lshlrev_b64 v[20:21], 3, v[20:21]
	v_mul_lo_u32 v22, v12, s68
	v_add_co_u32_e32 v20, vcc, s12, v20
	v_ashrrev_i32_e32 v23, 31, v22
	v_addc_co_u32_e32 v21, vcc, v53, v21, vcc
	;; [unrolled: 5-line block ×3, first 2 shown]
	v_lshlrev_b64 v[28:29], 3, v[28:29]
	v_add_co_u32_e32 v28, vcc, s12, v28
	v_ashrrev_i32_e32 v3, 31, v2
	v_addc_co_u32_e32 v29, vcc, v53, v29, vcc
	global_load_dwordx2 v[36:37], v[18:19], off
	global_load_dwordx2 v[30:31], v[20:21], off
	;; [unrolled: 1-line block ×3, first 2 shown]
	s_nop 0
	global_load_dwordx2 v[22:23], v[28:29], off
	v_lshlrev_b64 v[18:19], 3, v[2:3]
	v_add_co_u32_e32 v18, vcc, s16, v18
	v_addc_co_u32_e32 v19, vcc, v54, v19, vcc
	global_load_dwordx2 v[18:19], v[18:19], off
	v_pk_mov_b32 v[46:47], 0, 0
	s_and_b64 vcc, exec, s[0:1]
	v_pk_mov_b32 v[42:43], v[46:47], v[46:47] op_sel:[0,1]
	v_pk_mov_b32 v[32:33], v[46:47], v[46:47] op_sel:[0,1]
	;; [unrolled: 1-line block ×7, first 2 shown]
	s_cbranch_vccnz .LBB0_2
; %bb.4:                                ;   in Loop: Header=BB0_3 Depth=1
	v_mad_u64_u32 v[20:21], s[2:3], s76, v11, v[0:1]
	v_sub_u32_e32 v7, v7, v10
	v_mul_lo_u32 v28, v20, s69
	v_mul_lo_u32 v9, s8, v7
	v_ashrrev_i32_e32 v29, 31, v28
	v_add3_u32 v9, v9, s8, v0
	v_lshlrev_b64 v[28:29], 3, v[28:29]
	v_mul_lo_u32 v10, v9, s69
	v_add_u32_e32 v13, 2, v7
	v_mov_b32_e32 v3, s7
	v_add_co_u32_e32 v28, vcc, s6, v28
	v_ashrrev_i32_e32 v11, 31, v10
	v_mad_u64_u32 v[32:33], s[2:3], s8, v13, v[0:1]
	v_addc_co_u32_e32 v29, vcc, v3, v29, vcc
	v_lshlrev_b64 v[10:11], 3, v[10:11]
	v_mul_lo_u32 v40, v32, s69
	v_add_u32_e32 v7, 3, v7
	v_add_co_u32_e32 v10, vcc, s6, v10
	v_ashrrev_i32_e32 v41, 31, v40
	v_mad_u64_u32 v[42:43], s[2:3], s8, v7, v[0:1]
	v_addc_co_u32_e32 v11, vcc, v3, v11, vcc
	v_lshlrev_b64 v[40:41], 3, v[40:41]
	v_mul_lo_u32 v44, v42, s69
	v_add_co_u32_e32 v40, vcc, s6, v40
	v_ashrrev_i32_e32 v45, 31, v44
	v_addc_co_u32_e32 v41, vcc, v3, v41, vcc
	v_lshlrev_b64 v[44:45], 3, v[44:45]
	v_add_co_u32_e32 v46, vcc, s6, v44
	v_addc_co_u32_e32 v47, vcc, v3, v45, vcc
	global_load_dwordx2 v[48:49], v[28:29], off
	global_load_dwordx2 v[44:45], v[10:11], off
	s_nop 0
	global_load_dwordx2 v[40:41], v[40:41], off
	s_nop 0
	global_load_dwordx2 v[28:29], v[46:47], off
	v_mul_lo_u32 v10, v20, s70
	v_ashrrev_i32_e32 v11, 31, v10
	v_lshlrev_b64 v[10:11], 3, v[10:11]
	v_mul_lo_u32 v20, v9, s70
	v_mov_b32_e32 v3, s15
	v_add_co_u32_e32 v10, vcc, s14, v10
	v_ashrrev_i32_e32 v21, 31, v20
	v_addc_co_u32_e32 v11, vcc, v3, v11, vcc
	v_lshlrev_b64 v[20:21], 3, v[20:21]
	v_mul_lo_u32 v32, v32, s70
	v_add_co_u32_e32 v20, vcc, s14, v20
	v_ashrrev_i32_e32 v33, 31, v32
	v_addc_co_u32_e32 v21, vcc, v3, v21, vcc
	v_lshlrev_b64 v[32:33], 3, v[32:33]
	v_mul_lo_u32 v42, v42, s70
	v_add_co_u32_e32 v32, vcc, s14, v32
	v_ashrrev_i32_e32 v43, 31, v42
	v_addc_co_u32_e32 v33, vcc, v3, v33, vcc
	v_lshlrev_b64 v[42:43], 3, v[42:43]
	v_add_co_u32_e32 v56, vcc, s14, v42
	v_addc_co_u32_e32 v57, vcc, v3, v43, vcc
	global_load_dwordx2 v[50:51], v[10:11], off
	global_load_dwordx2 v[46:47], v[20:21], off
	;; [unrolled: 1-line block ×3, first 2 shown]
	s_nop 0
	global_load_dwordx2 v[32:33], v[56:57], off
	s_branch .LBB0_2
.LBB0_5:
	s_endpgm
	.section	.rodata,"a",@progbits
	.p2align	6, 0x0
	.amdhsa_kernel _ZN2at6native12_GLOBAL__N_16kernel17lstm_cell_forwardIddiLi1EEEvNS_4cuda6detail10TensorInfoIT_T1_EES9_S9_S9_S9_S9_S9_S9_S8_S8_
		.amdhsa_group_segment_fixed_size 0
		.amdhsa_private_segment_fixed_size 0
		.amdhsa_kernarg_size 1992
		.amdhsa_user_sgpr_count 6
		.amdhsa_user_sgpr_private_segment_buffer 1
		.amdhsa_user_sgpr_dispatch_ptr 0
		.amdhsa_user_sgpr_queue_ptr 0
		.amdhsa_user_sgpr_kernarg_segment_ptr 1
		.amdhsa_user_sgpr_dispatch_id 0
		.amdhsa_user_sgpr_flat_scratch_init 0
		.amdhsa_user_sgpr_kernarg_preload_length 0
		.amdhsa_user_sgpr_kernarg_preload_offset 0
		.amdhsa_user_sgpr_private_segment_size 0
		.amdhsa_uses_dynamic_stack 0
		.amdhsa_system_sgpr_private_segment_wavefront_offset 0
		.amdhsa_system_sgpr_workgroup_id_x 1
		.amdhsa_system_sgpr_workgroup_id_y 0
		.amdhsa_system_sgpr_workgroup_id_z 0
		.amdhsa_system_sgpr_workgroup_info 0
		.amdhsa_system_vgpr_workitem_id 0
		.amdhsa_next_free_vgpr 64
		.amdhsa_next_free_sgpr 80
		.amdhsa_accum_offset 64
		.amdhsa_reserve_vcc 1
		.amdhsa_reserve_flat_scratch 0
		.amdhsa_float_round_mode_32 0
		.amdhsa_float_round_mode_16_64 0
		.amdhsa_float_denorm_mode_32 3
		.amdhsa_float_denorm_mode_16_64 3
		.amdhsa_dx10_clamp 1
		.amdhsa_ieee_mode 1
		.amdhsa_fp16_overflow 0
		.amdhsa_tg_split 0
		.amdhsa_exception_fp_ieee_invalid_op 0
		.amdhsa_exception_fp_denorm_src 0
		.amdhsa_exception_fp_ieee_div_zero 0
		.amdhsa_exception_fp_ieee_overflow 0
		.amdhsa_exception_fp_ieee_underflow 0
		.amdhsa_exception_fp_ieee_inexact 0
		.amdhsa_exception_int_div_zero 0
	.end_amdhsa_kernel
	.section	.text._ZN2at6native12_GLOBAL__N_16kernel17lstm_cell_forwardIddiLi1EEEvNS_4cuda6detail10TensorInfoIT_T1_EES9_S9_S9_S9_S9_S9_S9_S8_S8_,"axG",@progbits,_ZN2at6native12_GLOBAL__N_16kernel17lstm_cell_forwardIddiLi1EEEvNS_4cuda6detail10TensorInfoIT_T1_EES9_S9_S9_S9_S9_S9_S9_S8_S8_,comdat
.Lfunc_end0:
	.size	_ZN2at6native12_GLOBAL__N_16kernel17lstm_cell_forwardIddiLi1EEEvNS_4cuda6detail10TensorInfoIT_T1_EES9_S9_S9_S9_S9_S9_S9_S8_S8_, .Lfunc_end0-_ZN2at6native12_GLOBAL__N_16kernel17lstm_cell_forwardIddiLi1EEEvNS_4cuda6detail10TensorInfoIT_T1_EES9_S9_S9_S9_S9_S9_S9_S8_S8_
                                        ; -- End function
	.section	.AMDGPU.csdata,"",@progbits
; Kernel info:
; codeLenInByte = 4872
; NumSgprs: 84
; NumVgprs: 64
; NumAgprs: 0
; TotalNumVgprs: 64
; ScratchSize: 0
; MemoryBound: 0
; FloatMode: 240
; IeeeMode: 1
; LDSByteSize: 0 bytes/workgroup (compile time only)
; SGPRBlocks: 10
; VGPRBlocks: 7
; NumSGPRsForWavesPerEU: 84
; NumVGPRsForWavesPerEU: 64
; AccumOffset: 64
; Occupancy: 8
; WaveLimiterHint : 1
; COMPUTE_PGM_RSRC2:SCRATCH_EN: 0
; COMPUTE_PGM_RSRC2:USER_SGPR: 6
; COMPUTE_PGM_RSRC2:TRAP_HANDLER: 0
; COMPUTE_PGM_RSRC2:TGID_X_EN: 1
; COMPUTE_PGM_RSRC2:TGID_Y_EN: 0
; COMPUTE_PGM_RSRC2:TGID_Z_EN: 0
; COMPUTE_PGM_RSRC2:TIDIG_COMP_CNT: 0
; COMPUTE_PGM_RSRC3_GFX90A:ACCUM_OFFSET: 15
; COMPUTE_PGM_RSRC3_GFX90A:TG_SPLIT: 0
	.section	.text._ZN2at6native12_GLOBAL__N_16kernel17lstm_cell_forwardIddiLi2EEEvNS_4cuda6detail10TensorInfoIT_T1_EES9_S9_S9_S9_S9_S9_S9_S8_S8_,"axG",@progbits,_ZN2at6native12_GLOBAL__N_16kernel17lstm_cell_forwardIddiLi2EEEvNS_4cuda6detail10TensorInfoIT_T1_EES9_S9_S9_S9_S9_S9_S9_S8_S8_,comdat
	.globl	_ZN2at6native12_GLOBAL__N_16kernel17lstm_cell_forwardIddiLi2EEEvNS_4cuda6detail10TensorInfoIT_T1_EES9_S9_S9_S9_S9_S9_S9_S8_S8_ ; -- Begin function _ZN2at6native12_GLOBAL__N_16kernel17lstm_cell_forwardIddiLi2EEEvNS_4cuda6detail10TensorInfoIT_T1_EES9_S9_S9_S9_S9_S9_S9_S8_S8_
	.p2align	8
	.type	_ZN2at6native12_GLOBAL__N_16kernel17lstm_cell_forwardIddiLi2EEEvNS_4cuda6detail10TensorInfoIT_T1_EES9_S9_S9_S9_S9_S9_S9_S8_S8_,@function
_ZN2at6native12_GLOBAL__N_16kernel17lstm_cell_forwardIddiLi2EEEvNS_4cuda6detail10TensorInfoIT_T1_EES9_S9_S9_S9_S9_S9_S9_S8_S8_: ; @_ZN2at6native12_GLOBAL__N_16kernel17lstm_cell_forwardIddiLi2EEEvNS_4cuda6detail10TensorInfoIT_T1_EES9_S9_S9_S9_S9_S9_S9_S8_S8_
; %bb.0:
	s_load_dword s7, s[4:5], 0x6d4
	s_load_dwordx2 s[2:3], s[4:5], 0x6c0
	s_add_u32 s0, s4, 0x6c8
	s_addc_u32 s1, s5, 0
	s_waitcnt lgkmcnt(0)
	s_and_b32 s18, s7, 0xffff
	s_mul_i32 s6, s6, s18
	v_add_u32_e32 v0, s6, v0
	v_cmp_gt_i32_e32 vcc, s3, v0
	s_and_saveexec_b64 s[6:7], vcc
	s_cbranch_execz .LBB1_5
; %bb.1:
	s_load_dwordx2 s[6:7], s[4:5], 0x0
	s_load_dword s33, s[4:5], 0xc
	s_load_dwordx2 s[8:9], s[4:5], 0x6c
	s_load_dwordx2 s[10:11], s[4:5], 0xd8
	s_load_dword s80, s[4:5], 0xe4
	s_load_dwordx2 s[12:13], s[4:5], 0x144
	;; [unrolled: 3-line block ×3, first 2 shown]
	s_load_dword s82, s[4:5], 0x2f4
	s_load_dwordx2 s[22:23], s[4:5], 0x360
	s_load_dword s20, s[4:5], 0x36c
	s_load_dwordx2 s[24:25], s[4:5], 0x3cc
	s_waitcnt lgkmcnt(0)
	s_cmp_lg_u64 s[14:15], 0
	s_cselect_b64 s[26:27], -1, 0
	s_abs_i32 s83, s2
	v_cvt_f32_u32_e32 v1, s83
                                        ; implicit-def: $vgpr64 : SGPR spill to VGPR lane
	s_abs_i32 s86, s33
	v_writelane_b32 v64, s24, 0
	v_writelane_b32 v64, s25, 1
	v_rcp_iflag_f32_e32 v1, v1
	s_load_dwordx2 s[24:25], s[4:5], 0x438
	v_cvt_f32_u32_e32 v2, s86
	s_abs_i32 s88, s80
	v_mul_f32_e32 v1, 0x4f7ffffe, v1
	v_cvt_u32_f32_e32 v1, v1
	s_waitcnt lgkmcnt(0)
	v_writelane_b32 v64, s24, 2
	v_writelane_b32 v64, s25, 3
	s_load_dword s21, s[4:5], 0x444
	s_load_dwordx2 s[24:25], s[4:5], 0x4a4
	s_load_dwordx2 s[28:29], s[4:5], 0x510
	s_load_dword s38, s[4:5], 0x51c
	s_load_dwordx2 s[30:31], s[4:5], 0x57c
	s_load_dwordx2 s[34:35], s[4:5], 0x5e8
	s_load_dword s19, s[0:1], 0x0
	s_sub_i32 s0, 0, s83
	v_rcp_iflag_f32_e32 v2, v2
	v_mul_lo_u32 v3, s0, v1
	v_mul_hi_u32 v3, v1, v3
	v_add_u32_e32 v1, v1, v3
	v_cvt_f32_u32_e32 v3, s88
	v_mul_f32_e32 v2, 0x4f7ffffe, v2
	v_cvt_u32_f32_e32 v2, v2
	s_load_dword s84, s[4:5], 0x5f4
	s_load_dwordx2 s[36:37], s[4:5], 0x654
	v_rcp_iflag_f32_e32 v3, v3
	s_sub_i32 s0, 0, s86
	v_mul_lo_u32 v4, s0, v2
	v_mul_hi_u32 v4, v2, v4
	s_waitcnt lgkmcnt(0)
	s_abs_i32 s90, s84
	v_add_u32_e32 v46, v2, v4
	v_mul_f32_e32 v2, 0x4f7ffffe, v3
	v_cvt_f32_u32_e32 v3, s90
	v_cvt_u32_f32_e32 v2, v2
	s_sub_i32 s0, 0, s88
	s_abs_i32 s92, s20
	v_rcp_iflag_f32_e32 v3, v3
	v_mul_lo_u32 v4, s0, v2
	v_mul_hi_u32 v4, v2, v4
	v_add_u32_e32 v47, v2, v4
	v_mul_f32_e32 v2, 0x4f7ffffe, v3
	v_cvt_f32_u32_e32 v3, s92
	v_cvt_u32_f32_e32 v2, v2
	s_sub_i32 s0, 0, s90
	s_abs_i32 s95, s21
	v_rcp_iflag_f32_e32 v3, v3
	v_mul_lo_u32 v4, s0, v2
	v_mul_hi_u32 v4, v2, v4
	v_add_u32_e32 v48, v2, v4
	v_mul_f32_e32 v2, 0x4f7ffffe, v3
	v_cvt_u32_f32_e32 v2, v2
	s_sub_i32 s0, 0, s92
	v_cvt_f32_u32_e32 v3, s95
	s_abs_i32 s85, s38
	v_mul_lo_u32 v4, s0, v2
	v_mul_hi_u32 v4, v2, v4
	v_add_u32_e32 v49, v2, v4
	v_cvt_f32_u32_e32 v2, s85
	v_rcp_iflag_f32_e32 v3, v3
	s_sub_i32 s0, 0, s95
	s_sub_i32 s39, 0, s2
	v_rcp_iflag_f32_e32 v2, v2
	v_mul_f32_e32 v3, 0x4f7ffffe, v3
	v_cvt_u32_f32_e32 v3, v3
	s_mul_i32 s1, s19, s18
	v_mul_f32_e32 v2, 0x4f7ffffe, v2
	v_cvt_u32_f32_e32 v2, v2
	v_mul_lo_u32 v4, s0, v3
	v_mul_hi_u32 v4, v3, v4
	s_sub_i32 s0, 0, s85
	v_add_u32_e32 v50, v3, v4
	v_mul_lo_u32 v3, s0, v2
	s_ashr_i32 s94, s20, 31
	s_ashr_i32 s19, s38, 31
	v_mul_hi_u32 v3, v2, v3
	s_mul_i32 s0, s2, 3
	v_writelane_b32 v64, s39, 4
	s_sub_i32 s45, 0, s20
	s_sub_i32 s20, 0, s38
	s_mov_b32 s38, 0x652b82fe
	s_mov_b32 s40, 0xfefa39ef
	;; [unrolled: 1-line block ×18, first 2 shown]
	s_mov_b64 s[4:5], 0
	s_ashr_i32 s87, s2, 31
	s_ashr_i32 s89, s33, 31
	;; [unrolled: 1-line block ×5, first 2 shown]
	v_add_u32_e32 v51, v2, v3
	s_sub_i32 s44, 0, s21
	s_mov_b32 s21, s0
	v_mov_b32_e32 v52, s7
	v_mov_b32_e32 v53, s11
	s_mov_b32 s11, s1
	v_mov_b32_e32 v54, s23
	s_mov_b32 s39, 0xbff71547
	s_mov_b32 s41, 0xbfe62e42
	;; [unrolled: 1-line block ×8, first 2 shown]
	s_brev_b32 s7, -2
	v_mov_b32_e32 v55, 0x3ff00000
	s_mov_b32 s57, 0x3f811111
	s_mov_b32 s59, 0x3fa55555
	;; [unrolled: 1-line block ×12, first 2 shown]
	s_branch .LBB1_3
.LBB1_2:                                ;   in Loop: Header=BB1_3 Depth=1
	v_mul_hi_u32 v60, v11, v48
	v_mul_lo_u32 v61, v60, s90
	v_sub_u32_e32 v11, v11, v61
	v_add_u32_e32 v61, 1, v60
	v_cmp_le_u32_e32 vcc, s90, v11
	v_cndmask_b32_e32 v60, v60, v61, vcc
	v_subrev_u32_e32 v61, s90, v11
	v_cndmask_b32_e32 v11, v11, v61, vcc
	v_add_u32_e32 v61, 1, v60
	v_cmp_le_u32_e32 vcc, s90, v11
	v_xor_b32_e32 v5, s93, v5
	v_cndmask_b32_e32 v11, v60, v61, vcc
	v_xor_b32_e32 v11, v11, v5
	v_sub_u32_e32 v5, v11, v5
	v_mul_lo_u32 v11, v5, s84
	v_sub_u32_e32 v4, v4, v11
	v_add_u32_e32 v4, v0, v4
	v_mul_lo_u32 v4, v4, s37
	v_mad_u64_u32 v[4:5], s[0:1], v5, s36, v[4:5]
	v_ashrrev_i32_e32 v5, 31, v4
	v_lshlrev_b64 v[4:5], 3, v[4:5]
	v_xor_b32_e32 v11, s93, v13
	v_mul_hi_u32 v13, v17, v48
	v_mov_b32_e32 v60, s35
	v_add_co_u32_e32 v4, vcc, s34, v4
	v_mul_lo_u32 v61, v13, s90
	v_addc_co_u32_e32 v5, vcc, v60, v5, vcc
	v_sub_u32_e32 v17, v17, v61
	v_add_u32_e32 v61, 1, v13
	v_cmp_le_u32_e32 vcc, s90, v17
	v_cndmask_b32_e32 v13, v13, v61, vcc
	v_subrev_u32_e32 v61, s90, v17
	v_cndmask_b32_e32 v17, v17, v61, vcc
	v_add_u32_e32 v61, 1, v13
	v_cmp_le_u32_e32 vcc, s90, v17
	v_cndmask_b32_e32 v13, v13, v61, vcc
	v_xor_b32_e32 v13, v13, v11
	v_sub_u32_e32 v11, v13, v11
	v_mul_lo_u32 v13, v11, s84
	v_sub_u32_e32 v10, v10, v13
	v_add_u32_e32 v10, v0, v10
	v_mul_lo_u32 v10, v10, s37
	v_mad_u64_u32 v[10:11], s[0:1], v11, s36, v[10:11]
	v_ashrrev_i32_e32 v11, 31, v10
	v_lshlrev_b64 v[10:11], 3, v[10:11]
	v_mul_hi_u32 v17, v23, v48
	v_add_co_u32_e32 v10, vcc, s34, v10
	v_xor_b32_e32 v13, s93, v22
	v_mul_lo_u32 v22, v17, s90
	v_addc_co_u32_e32 v11, vcc, v60, v11, vcc
	v_sub_u32_e32 v22, v23, v22
	v_add_u32_e32 v23, 1, v17
	v_cmp_le_u32_e32 vcc, s90, v22
	v_cndmask_b32_e32 v17, v17, v23, vcc
	v_subrev_u32_e32 v23, s90, v22
	v_cndmask_b32_e32 v22, v22, v23, vcc
	v_add_u32_e32 v23, 1, v17
	v_cmp_le_u32_e32 vcc, s90, v22
	v_cndmask_b32_e32 v17, v17, v23, vcc
	v_xor_b32_e32 v17, v17, v13
	v_sub_u32_e32 v13, v17, v13
	v_mul_lo_u32 v17, v13, s84
	v_sub_u32_e32 v12, v12, v17
	v_add_u32_e32 v12, v0, v12
	v_mul_lo_u32 v12, v12, s37
	v_mad_u64_u32 v[12:13], s[0:1], v13, s36, v[12:13]
	v_ashrrev_i32_e32 v13, 31, v12
	v_lshlrev_b64 v[12:13], 3, v[12:13]
	v_mul_hi_u32 v22, v59, v48
	v_add_co_u32_e32 v12, vcc, s34, v12
	v_mul_lo_u32 v23, v22, s90
	v_addc_co_u32_e32 v13, vcc, v60, v13, vcc
	v_sub_u32_e32 v23, v59, v23
	v_xor_b32_e32 v17, s93, v58
	v_add_u32_e32 v58, 1, v22
	v_cmp_le_u32_e32 vcc, s90, v23
	v_cndmask_b32_e32 v22, v22, v58, vcc
	v_subrev_u32_e32 v58, s90, v23
	v_cndmask_b32_e32 v23, v23, v58, vcc
	v_add_u32_e32 v58, 1, v22
	v_cmp_le_u32_e32 vcc, s90, v23
	v_cndmask_b32_e32 v22, v22, v58, vcc
	v_xor_b32_e32 v22, v22, v17
	v_sub_u32_e32 v17, v22, v17
	v_mul_lo_u32 v22, v17, s84
	v_sub_u32_e32 v16, v16, v22
	v_add_u32_e32 v16, v0, v16
	v_mul_lo_u32 v16, v16, s37
	v_mad_u64_u32 v[16:17], s[0:1], v17, s36, v[16:17]
	v_ashrrev_i32_e32 v17, 31, v16
	v_lshlrev_b64 v[16:17], 3, v[16:17]
	v_mul_hi_u32 v23, v57, v50
	v_add_co_u32_e32 v16, vcc, s34, v16
	v_mul_lo_u32 v58, v23, s95
	v_addc_co_u32_e32 v17, vcc, v60, v17, vcc
	v_sub_u32_e32 v58, v57, v58
	v_add_u32_e32 v59, 1, v23
	v_cmp_le_u32_e32 vcc, s95, v58
	v_cndmask_b32_e32 v23, v23, v59, vcc
	v_subrev_u32_e32 v59, s95, v58
	v_cndmask_b32_e32 v58, v58, v59, vcc
	v_add_u32_e32 v59, 1, v23
	v_cmp_le_u32_e32 vcc, s95, v58
	v_xor_b32_e32 v22, s18, v56
	v_cndmask_b32_e32 v23, v23, v59, vcc
	v_xor_b32_e32 v23, v23, v22
	v_sub_u32_e32 v58, v23, v22
	v_mad_u64_u32 v[22:23], s[0:1], s44, v58, v[0:1]
	v_mul_lo_u32 v22, v22, s25
	v_mad_u64_u32 v[22:23], s[0:1], v58, s24, v[22:23]
	v_ashrrev_i32_e32 v23, 31, v22
	v_readlane_b32 s0, v64, 2
	v_lshlrev_b64 v[22:23], 3, v[22:23]
	v_readlane_b32 s1, v64, 3
	v_mov_b32_e32 v58, s1
	v_add_co_u32_e32 v22, vcc, s0, v22
	v_addc_co_u32_e32 v23, vcc, v58, v23, vcc
	v_mul_hi_u32 v58, v57, v51
	v_mul_lo_u32 v59, v58, s85
	v_sub_u32_e32 v57, v57, v59
	v_add_u32_e32 v59, 1, v58
	v_cmp_le_u32_e32 vcc, s85, v57
	v_cndmask_b32_e32 v58, v58, v59, vcc
	v_subrev_u32_e32 v59, s85, v57
	v_cndmask_b32_e32 v57, v57, v59, vcc
	v_add_u32_e32 v59, 1, v58
	v_cmp_le_u32_e32 vcc, s85, v57
	v_xor_b32_e32 v56, s19, v56
	v_cndmask_b32_e32 v57, v58, v59, vcc
	v_xor_b32_e32 v57, v57, v56
	v_sub_u32_e32 v58, v57, v56
	s_waitcnt vmcnt(4)
	v_add_f64 v[26:27], v[26:27], v[34:35]
	v_mad_u64_u32 v[56:57], s[0:1], s20, v58, v[0:1]
	v_add_f64 v[26:27], v[26:27], v[42:43]
	v_mul_lo_u32 v56, v56, s31
	s_waitcnt vmcnt(3)
	v_add_f64 v[42:43], v[44:45], v[26:27]
	v_mad_u64_u32 v[56:57], s[0:1], v58, s30, v[56:57]
	v_mul_f64 v[26:27], v[42:43], s[38:39]
	v_rndne_f64_e32 v[26:27], v[26:27]
	s_mov_b32 s0, 0xfca7ab0c
	v_fma_f64 v[44:45], v[26:27], s[40:41], -v[42:43]
	s_mov_b32 s1, 0x3e928af3
	v_fmac_f64_e32 v[44:45], s[42:43], v[26:27]
	v_pk_mov_b32 v[34:35], s[0:1], s[0:1] op_sel:[0,1]
	v_fma_f64 v[58:59], s[46:47], v[44:45], v[34:35]
	v_fma_f64 v[58:59], v[44:45], v[58:59], s[48:49]
	;; [unrolled: 1-line block ×5, first 2 shown]
	v_add_f64 v[18:19], v[18:19], v[30:31]
	v_fma_f64 v[58:59], v[44:45], v[58:59], s[56:57]
	v_add_f64 v[18:19], v[18:19], v[38:39]
	v_fma_f64 v[58:59], v[44:45], v[58:59], s[58:59]
	s_waitcnt vmcnt(2)
	v_add_f64 v[30:31], v[40:41], v[18:19]
	v_fma_f64 v[58:59], v[44:45], v[58:59], s[60:61]
	v_mul_f64 v[18:19], v[30:31], s[38:39]
	v_fma_f64 v[58:59], v[44:45], v[58:59], s[62:63]
	v_rndne_f64_e32 v[18:19], v[18:19]
	v_fma_f64 v[58:59], v[44:45], v[58:59], 1.0
	v_fma_f64 v[38:39], v[18:19], s[40:41], -v[30:31]
	v_fma_f64 v[44:45], v[44:45], v[58:59], 1.0
	v_cvt_i32_f64_e32 v26, v[26:27]
	v_fmac_f64_e32 v[38:39], s[42:43], v[18:19]
	v_ldexp_f64 v[26:27], v[44:45], v26
	v_fma_f64 v[40:41], s[46:47], v[38:39], v[34:35]
	v_add_f64 v[44:45], v[26:27], 1.0
	v_fma_f64 v[40:41], v[38:39], v[40:41], s[48:49]
	v_div_scale_f64 v[58:59], s[0:1], v[44:45], v[44:45], 1.0
	v_fma_f64 v[40:41], v[38:39], v[40:41], s[50:51]
	v_rcp_f64_e32 v[60:61], v[58:59]
	v_fma_f64 v[40:41], v[38:39], v[40:41], s[52:53]
	v_ashrrev_i32_e32 v57, 31, v56
	v_fma_f64 v[40:41], v[38:39], v[40:41], s[54:55]
	v_lshlrev_b64 v[56:57], 3, v[56:57]
	v_fma_f64 v[40:41], v[38:39], v[40:41], s[56:57]
	v_mov_b32_e32 v62, s29
	v_add_co_u32_e32 v26, vcc, s28, v56
	v_fma_f64 v[40:41], v[38:39], v[40:41], s[58:59]
	v_addc_co_u32_e32 v27, vcc, v62, v57, vcc
	v_fma_f64 v[56:57], -v[58:59], v[60:61], 1.0
	v_fma_f64 v[40:41], v[38:39], v[40:41], s[60:61]
	v_fmac_f64_e32 v[60:61], v[60:61], v[56:57]
	v_fma_f64 v[40:41], v[38:39], v[40:41], s[62:63]
	v_fma_f64 v[56:57], -v[58:59], v[60:61], 1.0
	v_fma_f64 v[40:41], v[38:39], v[40:41], 1.0
	v_fmac_f64_e32 v[60:61], v[60:61], v[56:57]
	v_div_scale_f64 v[56:57], vcc, 1.0, v[44:45], 1.0
	v_fma_f64 v[38:39], v[38:39], v[40:41], 1.0
	v_cvt_i32_f64_e32 v18, v[18:19]
	v_mul_f64 v[62:63], v[56:57], v[60:61]
	v_ldexp_f64 v[18:19], v[38:39], v18
	v_fma_f64 v[56:57], -v[58:59], v[62:63], v[56:57]
	v_add_f64 v[38:39], v[18:19], 1.0
	v_div_fmas_f64 v[56:57], v[56:57], v[60:61], v[62:63]
	v_div_scale_f64 v[40:41], s[0:1], v[38:39], v[38:39], 1.0
	v_div_fixup_f64 v[44:45], v[56:57], v[44:45], 1.0
	v_rcp_f64_e32 v[56:57], v[40:41]
	v_cmp_ngt_f64_e32 vcc, s[64:65], v[42:43]
	v_cmp_nlt_f64_e64 s[0:1], s[66:67], v[42:43]
	v_cndmask_b32_e32 v45, 0, v45, vcc
	v_fma_f64 v[42:43], -v[40:41], v[56:57], 1.0
	v_fmac_f64_e32 v[56:57], v[56:57], v[42:43]
	s_and_b64 vcc, s[0:1], vcc
	v_fma_f64 v[42:43], -v[40:41], v[56:57], 1.0
	v_cndmask_b32_e32 v18, 0, v44, vcc
	v_fmac_f64_e32 v[56:57], v[56:57], v[42:43]
	v_div_scale_f64 v[42:43], vcc, 1.0, v[38:39], 1.0
	v_add_f64 v[14:15], v[14:15], v[28:29]
	v_cndmask_b32_e64 v19, v55, v45, s[0:1]
	v_mul_f64 v[44:45], v[42:43], v[56:57]
	v_add_f64 v[14:15], v[14:15], v[32:33]
	v_fma_f64 v[40:41], -v[40:41], v[44:45], v[42:43]
	s_waitcnt vmcnt(1)
	v_add_f64 v[14:15], v[36:37], v[14:15]
	s_mov_b32 s68, s38
	v_div_fmas_f64 v[40:41], v[40:41], v[56:57], v[44:45]
	v_mul_f64 v[28:29], |v[14:15]|, s[68:69]
	v_div_fixup_f64 v[38:39], v[40:41], v[38:39], 1.0
	v_cmp_ngt_f64_e32 vcc, s[64:65], v[30:31]
	v_cmp_nlt_f64_e64 s[0:1], s[66:67], v[30:31]
	v_rndne_f64_e32 v[28:29], v[28:29]
	s_mov_b32 s71, s41
	v_cndmask_b32_e32 v39, 0, v39, vcc
	s_and_b64 vcc, s[0:1], vcc
	v_fma_f64 v[32:33], v[28:29], s[70:71], |v[14:15]|
	v_cndmask_b32_e64 v31, v55, v39, s[0:1]
	v_cndmask_b32_e32 v30, 0, v38, vcc
	v_add_f64 v[36:37], v[32:33], 0
	v_mul_f64 v[38:39], v[28:29], s[72:73]
	v_add_f64 v[40:41], v[36:37], -v[38:39]
	v_add_f64 v[32:33], v[32:33], -v[36:37]
	;; [unrolled: 1-line block ×3, first 2 shown]
	v_add_f64 v[32:33], v[32:33], 0
	v_add_f64 v[36:37], v[36:37], -v[38:39]
	v_add_f64 v[32:33], v[32:33], v[36:37]
	v_add_f64 v[36:37], v[40:41], v[32:33]
	v_add_f64 v[38:39], v[40:41], -v[36:37]
	v_add_f64 v[32:33], v[32:33], v[38:39]
	v_mul_f64 v[38:39], v[28:29], s[74:75]
	v_add_f64 v[40:41], v[36:37], -v[38:39]
	v_add_f64 v[36:37], v[36:37], -v[40:41]
	;; [unrolled: 1-line block ×3, first 2 shown]
	v_add_f64 v[32:33], v[32:33], v[36:37]
	v_add_f64 v[36:37], v[40:41], v[32:33]
	v_add_f64 v[38:39], v[40:41], -v[36:37]
	v_add_f64 v[32:33], v[32:33], v[38:39]
	v_fma_f64 v[38:39], s[46:47], v[36:37], v[34:35]
	v_fma_f64 v[38:39], v[36:37], v[38:39], s[48:49]
	;; [unrolled: 1-line block ×5, first 2 shown]
	v_mul_f64 v[40:41], v[36:37], v[36:37]
	v_fma_f64 v[38:39], v[36:37], v[38:39], s[56:57]
	v_fma_f64 v[42:43], v[36:37], v[36:37], -v[40:41]
	v_add_f64 v[44:45], v[32:33], v[32:33]
	v_fma_f64 v[38:39], v[36:37], v[38:39], s[58:59]
	v_fmac_f64_e32 v[42:43], v[36:37], v[44:45]
	v_fma_f64 v[38:39], v[36:37], v[38:39], s[60:61]
	v_add_f64 v[44:45], v[40:41], v[42:43]
	v_fma_f64 v[38:39], v[36:37], v[38:39], s[62:63]
	v_add_f64 v[40:41], v[44:45], -v[40:41]
	v_add_f64 v[40:41], v[42:43], -v[40:41]
	v_mul_f64 v[42:43], v[44:45], v[38:39]
	v_fma_f64 v[44:45], v[44:45], v[38:39], -v[42:43]
	v_fmac_f64_e32 v[44:45], v[40:41], v[38:39]
	v_add_f64 v[38:39], v[42:43], v[44:45]
	v_add_f64 v[40:41], v[38:39], -v[42:43]
	v_add_f64 v[42:43], v[36:37], v[38:39]
	v_add_f64 v[40:41], v[44:45], -v[40:41]
	v_add_f64 v[36:37], v[42:43], -v[36:37]
	v_add_f64 v[36:37], v[38:39], -v[36:37]
	v_add_f64 v[32:33], v[32:33], v[40:41]
	v_add_f64 v[32:33], v[32:33], v[36:37]
	;; [unrolled: 1-line block ×3, first 2 shown]
	v_add_f64 v[38:39], v[36:37], -v[42:43]
	v_add_f64 v[32:33], v[32:33], -v[38:39]
	v_add_f64 v[38:39], v[36:37], 1.0
	v_add_f64 v[40:41], v[38:39], -1.0
	v_add_f64 v[36:37], v[36:37], -v[40:41]
	v_add_f64 v[32:33], v[32:33], v[36:37]
	v_add_f64 v[36:37], v[38:39], v[32:33]
	v_cvt_i32_f64_e32 v42, v[28:29]
	v_ldexp_f64 v[28:29], v[36:37], v42
	v_rcp_f64_e32 v[40:41], v[28:29]
	v_add_f64 v[36:37], v[36:37], -v[38:39]
	v_add_f64 v[32:33], v[32:33], -v[36:37]
	v_ldexp_f64 v[32:33], v[32:33], v42
	v_fma_f64 v[36:37], -v[28:29], v[40:41], 1.0
	v_fmac_f64_e32 v[40:41], v[36:37], v[40:41]
	v_fma_f64 v[36:37], -v[28:29], v[40:41], 1.0
	v_fmac_f64_e32 v[40:41], v[36:37], v[40:41]
	v_mul_f64 v[36:37], v[28:29], v[40:41]
	v_fma_f64 v[38:39], v[40:41], v[28:29], -v[36:37]
	v_fmac_f64_e32 v[38:39], v[40:41], v[32:33]
	v_add_f64 v[42:43], v[36:37], v[38:39]
	v_add_f64 v[44:45], -v[42:43], 1.0
	v_add_f64 v[36:37], v[42:43], -v[36:37]
	v_add_f64 v[56:57], -v[44:45], 1.0
	v_add_f64 v[42:43], v[56:57], -v[42:43]
	v_add_f64 v[36:37], v[36:37], -v[38:39]
	v_add_f64 v[36:37], v[36:37], v[42:43]
	v_add_f64 v[38:39], v[44:45], v[36:37]
	v_add_f64 v[42:43], v[44:45], -v[38:39]
	v_add_f64 v[36:37], v[36:37], v[42:43]
	v_mul_f64 v[42:43], v[40:41], v[38:39]
	v_mul_f64 v[44:45], v[28:29], v[42:43]
	v_fma_f64 v[56:57], v[42:43], v[28:29], -v[44:45]
	v_fmac_f64_e32 v[56:57], v[42:43], v[32:33]
	v_add_f64 v[58:59], v[44:45], v[56:57]
	v_add_f64 v[60:61], v[38:39], -v[58:59]
	v_add_f64 v[38:39], v[38:39], -v[60:61]
	;; [unrolled: 1-line block ×4, first 2 shown]
	v_add_f64 v[36:37], v[36:37], v[38:39]
	v_add_f64 v[38:39], v[44:45], -v[56:57]
	v_add_f64 v[36:37], v[38:39], v[36:37]
	v_add_f64 v[36:37], v[60:61], v[36:37]
	;; [unrolled: 1-line block ×3, first 2 shown]
	v_mul_f64 v[36:37], v[40:41], v[36:37]
	v_add_f64 v[40:41], v[38:39], -v[40:41]
	v_add_f64 v[40:41], v[42:43], -v[40:41]
	v_add_f64 v[36:37], v[40:41], v[36:37]
	v_add_f64 v[40:41], v[38:39], v[36:37]
	v_add_f64 v[38:39], v[40:41], -v[38:39]
	v_add_f64 v[36:37], v[36:37], -v[38:39]
	;; [unrolled: 1-line block ×4, first 2 shown]
	v_add_f64 v[56:57], v[28:29], v[40:41]
	v_add_f64 v[42:43], v[42:43], -v[40:41]
	v_add_f64 v[28:29], v[56:57], -v[28:29]
	v_add_f64 v[42:43], v[32:33], v[42:43]
	v_add_f64 v[28:29], v[40:41], -v[28:29]
	v_add_f64 v[32:33], v[32:33], v[36:37]
	v_add_f64 v[28:29], v[32:33], v[28:29]
	;; [unrolled: 1-line block ×3, first 2 shown]
	v_add_f64 v[42:43], v[42:43], -v[36:37]
	v_rcp_f64_e32 v[36:37], v[32:33]
	v_add_f64 v[2:3], v[2:3], v[8:9]
	v_add_f64 v[2:3], v[2:3], v[20:21]
	v_add_f64 v[40:41], v[32:33], -v[56:57]
	s_waitcnt vmcnt(0)
	v_add_f64 v[8:9], v[24:25], v[2:3]
	v_add_f64 v[28:29], v[28:29], -v[40:41]
	v_fma_f64 v[40:41], -v[32:33], v[36:37], 1.0
	v_mul_f64 v[2:3], v[8:9], s[38:39]
	v_fmac_f64_e32 v[36:37], v[40:41], v[36:37]
	v_rndne_f64_e32 v[2:3], v[2:3]
	v_fma_f64 v[40:41], -v[32:33], v[36:37], 1.0
	v_fma_f64 v[20:21], v[2:3], s[40:41], -v[8:9]
	v_add_f64 v[44:45], v[38:39], v[42:43]
	v_fmac_f64_e32 v[36:37], v[40:41], v[36:37]
	v_fmac_f64_e32 v[20:21], s[42:43], v[2:3]
	v_add_f64 v[38:39], v[44:45], -v[38:39]
	v_mul_f64 v[40:41], v[44:45], v[36:37]
	v_fma_f64 v[24:25], s[46:47], v[20:21], v[34:35]
	v_add_f64 v[38:39], v[42:43], -v[38:39]
	v_mul_f64 v[42:43], v[32:33], v[40:41]
	v_fma_f64 v[24:25], v[20:21], v[24:25], s[48:49]
	v_fma_f64 v[32:33], v[40:41], v[32:33], -v[42:43]
	v_fma_f64 v[24:25], v[20:21], v[24:25], s[50:51]
	v_fmac_f64_e32 v[32:33], v[40:41], v[28:29]
	v_fma_f64 v[24:25], v[20:21], v[24:25], s[52:53]
	v_add_f64 v[28:29], v[42:43], v[32:33]
	v_fma_f64 v[24:25], v[20:21], v[24:25], s[54:55]
	v_add_f64 v[42:43], v[28:29], -v[42:43]
	v_fma_f64 v[24:25], v[20:21], v[24:25], s[56:57]
	v_add_f64 v[32:33], v[32:33], -v[42:43]
	v_add_f64 v[42:43], v[44:45], -v[28:29]
	v_fma_f64 v[24:25], v[20:21], v[24:25], s[58:59]
	v_add_f64 v[44:45], v[44:45], -v[42:43]
	v_fma_f64 v[24:25], v[20:21], v[24:25], s[60:61]
	;; [unrolled: 2-line block ×3, first 2 shown]
	v_add_f64 v[28:29], v[28:29], -v[32:33]
	v_fma_f64 v[24:25], v[20:21], v[24:25], 1.0
	v_add_f64 v[28:29], v[38:39], v[28:29]
	v_fma_f64 v[20:21], v[20:21], v[24:25], 1.0
	v_cvt_i32_f64_e32 v2, v[2:3]
	v_add_f64 v[28:29], v[42:43], v[28:29]
	v_ldexp_f64 v[2:3], v[20:21], v2
	v_mul_f64 v[28:29], v[36:37], v[28:29]
	v_add_f64 v[20:21], v[2:3], 1.0
	v_add_f64 v[28:29], v[40:41], v[28:29]
	v_cmp_ngt_f64_e64 vcc, |v[14:15]|, s[76:77]
	v_div_scale_f64 v[24:25], s[0:1], v[20:21], v[20:21], 1.0
	v_cndmask_b32_e32 v32, v55, v29, vcc
	v_cndmask_b32_e32 v33, 0, v28, vcc
	v_rcp_f64_e32 v[28:29], v[24:25]
	v_and_b32_e32 v62, 0x7fffffff, v15
	v_cmp_lt_f64_e64 vcc, |v[14:15]|, s[78:79]
	v_cndmask_b32_e32 v3, v32, v62, vcc
	v_cndmask_b32_e32 v2, v33, v14, vcc
	v_bfi_b32 v3, s7, v3, v15
	v_fma_f64 v[14:15], -v[24:25], v[28:29], 1.0
	v_fmac_f64_e32 v[28:29], v[28:29], v[14:15]
	v_fma_f64 v[14:15], -v[24:25], v[28:29], 1.0
	v_fmac_f64_e32 v[28:29], v[28:29], v[14:15]
	v_div_scale_f64 v[14:15], vcc, 1.0, v[20:21], 1.0
	v_mul_f64 v[32:33], v[14:15], v[28:29]
	v_fma_f64 v[14:15], -v[24:25], v[32:33], v[14:15]
	v_cmp_nlt_f64_e64 s[0:1], s[66:67], v[8:9]
	s_nop 0
	v_div_fmas_f64 v[14:15], v[14:15], v[28:29], v[32:33]
	v_div_fixup_f64 v[14:15], v[14:15], v[20:21], 1.0
	v_cmp_ngt_f64_e32 vcc, s[64:65], v[8:9]
	v_cndmask_b32_e32 v15, 0, v15, vcc
	s_and_b64 vcc, s[0:1], vcc
	v_cndmask_b32_e64 v9, v55, v15, s[0:1]
	v_cndmask_b32_e32 v8, 0, v14, vcc
	v_mul_f64 v[14:15], v[18:19], v[2:3]
	v_fmac_f64_e32 v[14:15], v[6:7], v[30:31]
	v_mul_f64 v[6:7], |v[14:15]|, s[68:69]
	v_rndne_f64_e32 v[6:7], v[6:7]
	v_fma_f64 v[20:21], v[6:7], s[70:71], |v[14:15]|
	v_add_f64 v[24:25], v[20:21], 0
	v_mul_f64 v[28:29], v[6:7], s[72:73]
	v_add_f64 v[32:33], v[24:25], -v[28:29]
	v_add_f64 v[20:21], v[20:21], -v[24:25]
	;; [unrolled: 1-line block ×3, first 2 shown]
	v_add_f64 v[20:21], v[20:21], 0
	v_add_f64 v[24:25], v[24:25], -v[28:29]
	v_add_f64 v[20:21], v[20:21], v[24:25]
	v_add_f64 v[24:25], v[32:33], v[20:21]
	v_add_f64 v[28:29], v[32:33], -v[24:25]
	v_add_f64 v[20:21], v[20:21], v[28:29]
	v_mul_f64 v[28:29], v[6:7], s[74:75]
	v_add_f64 v[32:33], v[24:25], -v[28:29]
	v_add_f64 v[24:25], v[24:25], -v[32:33]
	;; [unrolled: 1-line block ×3, first 2 shown]
	v_add_f64 v[20:21], v[20:21], v[24:25]
	v_add_f64 v[24:25], v[32:33], v[20:21]
	v_add_f64 v[28:29], v[32:33], -v[24:25]
	v_add_f64 v[20:21], v[20:21], v[28:29]
	v_fma_f64 v[28:29], s[46:47], v[24:25], v[34:35]
	v_fma_f64 v[28:29], v[24:25], v[28:29], s[48:49]
	;; [unrolled: 1-line block ×5, first 2 shown]
	v_mul_f64 v[32:33], v[24:25], v[24:25]
	v_fma_f64 v[28:29], v[24:25], v[28:29], s[56:57]
	v_fma_f64 v[34:35], v[24:25], v[24:25], -v[32:33]
	v_add_f64 v[36:37], v[20:21], v[20:21]
	v_fma_f64 v[28:29], v[24:25], v[28:29], s[58:59]
	v_fmac_f64_e32 v[34:35], v[24:25], v[36:37]
	v_fma_f64 v[28:29], v[24:25], v[28:29], s[60:61]
	v_add_f64 v[36:37], v[32:33], v[34:35]
	v_fma_f64 v[28:29], v[24:25], v[28:29], s[62:63]
	v_add_f64 v[32:33], v[36:37], -v[32:33]
	v_add_f64 v[32:33], v[34:35], -v[32:33]
	v_mul_f64 v[34:35], v[36:37], v[28:29]
	v_fma_f64 v[36:37], v[36:37], v[28:29], -v[34:35]
	v_fmac_f64_e32 v[36:37], v[32:33], v[28:29]
	v_add_f64 v[28:29], v[34:35], v[36:37]
	v_add_f64 v[32:33], v[28:29], -v[34:35]
	v_add_f64 v[34:35], v[24:25], v[28:29]
	v_add_f64 v[32:33], v[36:37], -v[32:33]
	v_add_f64 v[24:25], v[34:35], -v[24:25]
	;; [unrolled: 1-line block ×3, first 2 shown]
	v_add_f64 v[20:21], v[20:21], v[32:33]
	v_add_f64 v[20:21], v[20:21], v[24:25]
	;; [unrolled: 1-line block ×3, first 2 shown]
	v_add_f64 v[28:29], v[24:25], -v[34:35]
	v_add_f64 v[20:21], v[20:21], -v[28:29]
	v_add_f64 v[28:29], v[24:25], 1.0
	v_add_f64 v[32:33], v[28:29], -1.0
	v_add_f64 v[24:25], v[24:25], -v[32:33]
	v_add_f64 v[20:21], v[20:21], v[24:25]
	v_add_f64 v[24:25], v[28:29], v[20:21]
	v_cvt_i32_f64_e32 v34, v[6:7]
	v_ldexp_f64 v[6:7], v[24:25], v34
	v_rcp_f64_e32 v[32:33], v[6:7]
	v_add_f64 v[24:25], v[24:25], -v[28:29]
	v_add_f64 v[20:21], v[20:21], -v[24:25]
	v_ldexp_f64 v[20:21], v[20:21], v34
	v_fma_f64 v[24:25], -v[6:7], v[32:33], 1.0
	v_fmac_f64_e32 v[32:33], v[24:25], v[32:33]
	v_fma_f64 v[24:25], -v[6:7], v[32:33], 1.0
	v_fmac_f64_e32 v[32:33], v[24:25], v[32:33]
	v_mul_f64 v[24:25], v[6:7], v[32:33]
	v_fma_f64 v[28:29], v[32:33], v[6:7], -v[24:25]
	v_fmac_f64_e32 v[28:29], v[32:33], v[20:21]
	v_add_f64 v[34:35], v[24:25], v[28:29]
	v_add_f64 v[36:37], -v[34:35], 1.0
	v_add_f64 v[24:25], v[34:35], -v[24:25]
	v_add_f64 v[38:39], -v[36:37], 1.0
	v_add_f64 v[34:35], v[38:39], -v[34:35]
	v_add_f64 v[24:25], v[24:25], -v[28:29]
	v_add_f64 v[24:25], v[24:25], v[34:35]
	v_add_f64 v[28:29], v[36:37], v[24:25]
	v_add_f64 v[34:35], v[36:37], -v[28:29]
	v_add_f64 v[24:25], v[24:25], v[34:35]
	v_mul_f64 v[34:35], v[32:33], v[28:29]
	v_mul_f64 v[36:37], v[6:7], v[34:35]
	v_fma_f64 v[38:39], v[34:35], v[6:7], -v[36:37]
	v_fmac_f64_e32 v[38:39], v[34:35], v[20:21]
	v_add_f64 v[40:41], v[36:37], v[38:39]
	v_add_f64 v[42:43], v[28:29], -v[40:41]
	v_add_f64 v[28:29], v[28:29], -v[42:43]
	;; [unrolled: 1-line block ×4, first 2 shown]
	v_add_f64 v[24:25], v[24:25], v[28:29]
	v_add_f64 v[28:29], v[36:37], -v[38:39]
	v_add_f64 v[24:25], v[28:29], v[24:25]
	v_add_f64 v[24:25], v[42:43], v[24:25]
	v_add_f64 v[28:29], v[32:33], v[34:35]
	v_mul_f64 v[24:25], v[32:33], v[24:25]
	v_add_f64 v[32:33], v[28:29], -v[32:33]
	v_add_f64 v[32:33], v[34:35], -v[32:33]
	v_add_f64 v[24:25], v[32:33], v[24:25]
	v_add_f64 v[32:33], v[28:29], v[24:25]
	v_add_f64 v[28:29], v[32:33], -v[28:29]
	v_add_f64 v[24:25], v[24:25], -v[28:29]
	;; [unrolled: 1-line block ×4, first 2 shown]
	v_add_f64 v[38:39], v[6:7], v[32:33]
	v_add_f64 v[34:35], v[34:35], -v[32:33]
	v_add_f64 v[6:7], v[38:39], -v[6:7]
	v_add_f64 v[34:35], v[20:21], v[34:35]
	v_add_f64 v[6:7], v[32:33], -v[6:7]
	v_add_f64 v[20:21], v[20:21], v[24:25]
	v_add_f64 v[6:7], v[20:21], v[6:7]
	;; [unrolled: 1-line block ×3, first 2 shown]
	v_add_f64 v[34:35], v[34:35], -v[24:25]
	v_rcp_f64_e32 v[24:25], v[20:21]
	v_add_f64 v[32:33], v[20:21], -v[38:39]
	v_add_f64 v[6:7], v[6:7], -v[32:33]
	v_add_f64 v[36:37], v[28:29], v[34:35]
	v_fma_f64 v[32:33], -v[20:21], v[24:25], 1.0
	v_fmac_f64_e32 v[24:25], v[32:33], v[24:25]
	v_fma_f64 v[32:33], -v[20:21], v[24:25], 1.0
	v_fmac_f64_e32 v[24:25], v[32:33], v[24:25]
	v_add_f64 v[28:29], v[36:37], -v[28:29]
	v_mul_f64 v[32:33], v[36:37], v[24:25]
	v_add_f64 v[28:29], v[34:35], -v[28:29]
	v_mul_f64 v[34:35], v[20:21], v[32:33]
	v_fma_f64 v[20:21], v[32:33], v[20:21], -v[34:35]
	v_fmac_f64_e32 v[20:21], v[32:33], v[6:7]
	v_add_f64 v[6:7], v[34:35], v[20:21]
	v_add_f64 v[34:35], v[6:7], -v[34:35]
	v_add_f64 v[20:21], v[20:21], -v[34:35]
	v_add_f64 v[34:35], v[36:37], -v[6:7]
	v_add_f64 v[36:37], v[36:37], -v[34:35]
	v_add_f64 v[6:7], v[36:37], -v[6:7]
	v_add_f64 v[6:7], v[6:7], -v[20:21]
	v_add_f64 v[6:7], v[28:29], v[6:7]
	v_add_f64 v[6:7], v[34:35], v[6:7]
	v_mul_f64 v[6:7], v[24:25], v[6:7]
	v_add_f64 v[6:7], v[32:33], v[6:7]
	v_cmp_ngt_f64_e64 vcc, |v[14:15]|, s[76:77]
	v_and_b32_e32 v44, 0x7fffffff, v15
	v_cndmask_b32_e32 v7, v55, v7, vcc
	v_cndmask_b32_e32 v6, 0, v6, vcc
	v_cmp_lt_f64_e64 vcc, |v[14:15]|, s[78:79]
	v_cndmask_b32_e32 v7, v7, v44, vcc
	v_add_u32_e32 v0, s11, v0
	v_cndmask_b32_e32 v6, v6, v14, vcc
	v_bfi_b32 v7, s7, v7, v15
	v_cmp_le_i32_e32 vcc, s3, v0
	v_mul_f64 v[6:7], v[8:9], v[6:7]
	s_or_b64 s[4:5], vcc, s[4:5]
	global_store_dwordx2 v[22:23], v[6:7], off
	global_store_dwordx2 v[26:27], v[14:15], off
	;; [unrolled: 1-line block ×6, first 2 shown]
	s_andn2_b64 exec, exec, s[4:5]
	s_cbranch_execz .LBB1_5
.LBB1_3:                                ; =>This Inner Loop Header: Depth=1
	v_sub_u32_e32 v2, 0, v0
	v_max_i32_e32 v57, v0, v2
	v_mul_hi_u32 v2, v57, v1
	v_mul_lo_u32 v3, v2, s83
	v_sub_u32_e32 v3, v57, v3
	v_add_u32_e32 v4, 1, v2
	v_cmp_le_u32_e32 vcc, s83, v3
	v_cndmask_b32_e32 v2, v2, v4, vcc
	v_subrev_u32_e32 v4, s83, v3
	v_cndmask_b32_e32 v3, v3, v4, vcc
	v_ashrrev_i32_e32 v56, 31, v0
	v_add_u32_e32 v4, 1, v2
	v_cmp_le_u32_e32 vcc, s83, v3
	v_xor_b32_e32 v60, s87, v56
	v_cndmask_b32_e32 v2, v2, v4, vcc
	v_xor_b32_e32 v61, v2, v60
	v_sub_u32_e32 v62, v61, v60
	v_mul_lo_u32 v4, s21, v62
	v_add_u32_e32 v2, v0, v4
	v_ashrrev_i32_e32 v5, 31, v2
	v_add3_u32 v3, v5, v4, v0
	v_xor_b32_e32 v11, v3, v5
	v_mul_hi_u32 v3, v11, v46
	v_mul_lo_u32 v6, v3, s86
	v_sub_u32_e32 v6, v11, v6
	v_add_u32_e32 v7, 1, v3
	v_cmp_le_u32_e32 vcc, s86, v6
	v_cndmask_b32_e32 v3, v3, v7, vcc
	v_subrev_u32_e32 v7, s86, v6
	v_cndmask_b32_e32 v6, v6, v7, vcc
	v_add_u32_e32 v7, 1, v3
	v_cmp_le_u32_e32 vcc, s86, v6
	v_xor_b32_e32 v2, s89, v5
	v_cndmask_b32_e32 v3, v3, v7, vcc
	v_xor_b32_e32 v3, v3, v2
	v_lshl_add_u32 v6, v61, 1, v61
	v_mul_i32_i24_e32 v7, 3, v60
	v_sub_u32_e32 v3, v3, v2
	v_sub_u32_e32 v14, v6, v7
	v_mul_lo_u32 v2, v3, s33
	v_mul_lo_u32 v6, s2, v14
	v_sub_u32_e32 v2, v4, v2
	v_add_u32_e32 v10, s2, v6
	v_add_u32_e32 v2, v0, v2
	;; [unrolled: 1-line block ×3, first 2 shown]
	v_mul_lo_u32 v2, v2, s9
	v_ashrrev_i32_e32 v13, 31, v6
	v_mad_u64_u32 v[2:3], s[0:1], v3, s8, v[2:3]
	v_add3_u32 v7, v13, v10, v0
	v_ashrrev_i32_e32 v3, 31, v2
	v_xor_b32_e32 v17, v7, v13
	v_lshlrev_b64 v[2:3], 3, v[2:3]
	v_mul_hi_u32 v7, v17, v46
	v_add_co_u32_e32 v2, vcc, s6, v2
	v_mul_lo_u32 v8, v7, s86
	v_addc_co_u32_e32 v3, vcc, v52, v3, vcc
	v_sub_u32_e32 v8, v17, v8
	v_add_u32_e32 v9, 1, v7
	v_cmp_le_u32_e32 vcc, s86, v8
	v_cndmask_b32_e32 v7, v7, v9, vcc
	v_subrev_u32_e32 v9, s86, v8
	v_cndmask_b32_e32 v8, v8, v9, vcc
	v_add_u32_e32 v9, 1, v7
	v_cmp_le_u32_e32 vcc, s86, v8
	v_xor_b32_e32 v6, s89, v13
	v_cndmask_b32_e32 v7, v7, v9, vcc
	v_xor_b32_e32 v7, v7, v6
	v_sub_u32_e32 v7, v7, v6
	v_mul_lo_u32 v6, v7, s33
	v_add_u32_e32 v8, 2, v14
	v_sub_u32_e32 v6, v10, v6
	v_mul_lo_u32 v12, s2, v8
	v_add_u32_e32 v6, v0, v6
	v_add_u32_e32 v8, v0, v12
	v_mul_lo_u32 v6, v6, s9
	v_ashrrev_i32_e32 v22, 31, v8
	v_mad_u64_u32 v[6:7], s[0:1], v7, s8, v[6:7]
	v_add3_u32 v9, v22, v12, v0
	v_ashrrev_i32_e32 v7, 31, v6
	v_xor_b32_e32 v23, v9, v22
	v_lshlrev_b64 v[6:7], 3, v[6:7]
	v_mul_hi_u32 v9, v23, v46
	v_add_co_u32_e32 v6, vcc, s6, v6
	v_mul_lo_u32 v15, v9, s86
	v_addc_co_u32_e32 v7, vcc, v52, v7, vcc
	v_sub_u32_e32 v15, v23, v15
	v_add_u32_e32 v16, 1, v9
	v_cmp_le_u32_e32 vcc, s86, v15
	v_cndmask_b32_e32 v9, v9, v16, vcc
	v_subrev_u32_e32 v16, s86, v15
	v_cndmask_b32_e32 v15, v15, v16, vcc
	v_add_u32_e32 v16, 1, v9
	v_cmp_le_u32_e32 vcc, s86, v15
	v_xor_b32_e32 v8, s89, v22
	v_cndmask_b32_e32 v9, v9, v16, vcc
	v_xor_b32_e32 v9, v9, v8
	v_sub_u32_e32 v9, v9, v8
	v_mul_lo_u32 v8, v9, s33
	v_add_u32_e32 v14, 3, v14
	v_sub_u32_e32 v8, v12, v8
	v_mul_lo_u32 v16, s2, v14
	v_add_u32_e32 v8, v0, v8
	v_add_u32_e32 v14, v0, v16
	v_mul_lo_u32 v8, v8, s9
	v_ashrrev_i32_e32 v58, 31, v14
	v_mad_u64_u32 v[8:9], s[0:1], v9, s8, v[8:9]
	v_add3_u32 v15, v58, v16, v0
	v_ashrrev_i32_e32 v9, 31, v8
	v_xor_b32_e32 v59, v15, v58
	v_lshlrev_b64 v[8:9], 3, v[8:9]
	v_mul_hi_u32 v15, v59, v46
	v_add_co_u32_e32 v8, vcc, s6, v8
	v_mul_lo_u32 v18, v15, s86
	v_addc_co_u32_e32 v9, vcc, v52, v9, vcc
	v_sub_u32_e32 v18, v59, v18
	v_add_u32_e32 v19, 1, v15
	v_cmp_le_u32_e32 vcc, s86, v18
	v_cndmask_b32_e32 v15, v15, v19, vcc
	v_subrev_u32_e32 v19, s86, v18
	v_cndmask_b32_e32 v18, v18, v19, vcc
	v_add_u32_e32 v19, 1, v15
	v_cmp_le_u32_e32 vcc, s86, v18
	v_xor_b32_e32 v14, s89, v58
	v_cndmask_b32_e32 v15, v15, v19, vcc
	v_xor_b32_e32 v15, v15, v14
	v_sub_u32_e32 v15, v15, v14
	v_mul_lo_u32 v14, v15, s33
	v_sub_u32_e32 v14, v16, v14
	v_add_u32_e32 v14, v0, v14
	v_mul_lo_u32 v14, v14, s9
	v_mad_u64_u32 v[14:15], s[0:1], v15, s8, v[14:15]
	v_ashrrev_i32_e32 v15, 31, v14
	v_lshlrev_b64 v[14:15], 3, v[14:15]
	v_add_co_u32_e32 v20, vcc, s6, v14
	v_addc_co_u32_e32 v21, vcc, v52, v15, vcc
	global_load_dwordx2 v[26:27], v[2:3], off
	global_load_dwordx2 v[18:19], v[6:7], off
	;; [unrolled: 1-line block ×3, first 2 shown]
	s_nop 0
	global_load_dwordx2 v[2:3], v[20:21], off
	v_mul_hi_u32 v7, v11, v47
	v_mul_lo_u32 v8, v7, s88
	v_sub_u32_e32 v8, v11, v8
	v_add_u32_e32 v9, 1, v7
	v_cmp_le_u32_e32 vcc, s88, v8
	v_cndmask_b32_e32 v7, v7, v9, vcc
	v_subrev_u32_e32 v9, s88, v8
	v_cndmask_b32_e32 v8, v8, v9, vcc
	v_add_u32_e32 v9, 1, v7
	v_cmp_le_u32_e32 vcc, s88, v8
	v_xor_b32_e32 v6, s91, v5
	v_cndmask_b32_e32 v7, v7, v9, vcc
	v_xor_b32_e32 v7, v7, v6
	v_sub_u32_e32 v7, v7, v6
	v_mul_lo_u32 v6, v7, s80
	v_sub_u32_e32 v6, v4, v6
	v_add_u32_e32 v6, v0, v6
	v_mul_lo_u32 v6, v6, s13
	v_mad_u64_u32 v[6:7], s[0:1], v7, s12, v[6:7]
	v_ashrrev_i32_e32 v7, 31, v6
	v_lshlrev_b64 v[6:7], 3, v[6:7]
	v_mul_hi_u32 v9, v17, v47
	v_add_co_u32_e32 v6, vcc, s10, v6
	v_mul_lo_u32 v20, v9, s88
	v_addc_co_u32_e32 v7, vcc, v53, v7, vcc
	v_sub_u32_e32 v20, v17, v20
	v_add_u32_e32 v21, 1, v9
	v_cmp_le_u32_e32 vcc, s88, v20
	v_cndmask_b32_e32 v9, v9, v21, vcc
	v_subrev_u32_e32 v21, s88, v20
	v_cndmask_b32_e32 v20, v20, v21, vcc
	v_add_u32_e32 v21, 1, v9
	v_cmp_le_u32_e32 vcc, s88, v20
	v_xor_b32_e32 v8, s91, v13
	v_cndmask_b32_e32 v9, v9, v21, vcc
	v_xor_b32_e32 v9, v9, v8
	v_sub_u32_e32 v9, v9, v8
	v_mul_lo_u32 v8, v9, s80
	v_sub_u32_e32 v8, v10, v8
	v_add_u32_e32 v8, v0, v8
	v_mul_lo_u32 v8, v8, s13
	v_mad_u64_u32 v[8:9], s[0:1], v9, s12, v[8:9]
	v_ashrrev_i32_e32 v9, 31, v8
	v_lshlrev_b64 v[8:9], 3, v[8:9]
	v_mul_hi_u32 v21, v23, v47
	v_add_co_u32_e32 v8, vcc, s10, v8
	v_mul_lo_u32 v24, v21, s88
	v_addc_co_u32_e32 v9, vcc, v53, v9, vcc
	;; [unrolled: 23-line block ×3, first 2 shown]
	v_sub_u32_e32 v28, v59, v28
	v_add_u32_e32 v29, 1, v25
	v_cmp_le_u32_e32 vcc, s88, v28
	v_cndmask_b32_e32 v25, v25, v29, vcc
	v_subrev_u32_e32 v29, s88, v28
	v_cndmask_b32_e32 v28, v28, v29, vcc
	v_add_u32_e32 v29, 1, v25
	v_cmp_le_u32_e32 vcc, s88, v28
	v_xor_b32_e32 v24, s91, v58
	v_cndmask_b32_e32 v25, v25, v29, vcc
	v_xor_b32_e32 v25, v25, v24
	v_sub_u32_e32 v25, v25, v24
	v_mul_lo_u32 v24, v25, s80
	v_sub_u32_e32 v24, v16, v24
	v_add_u32_e32 v24, v0, v24
	v_mul_lo_u32 v24, v24, s13
	v_mad_u64_u32 v[24:25], s[0:1], v25, s12, v[24:25]
	v_ashrrev_i32_e32 v25, 31, v24
	v_lshlrev_b64 v[24:25], 3, v[24:25]
	v_add_co_u32_e32 v24, vcc, s10, v24
	v_addc_co_u32_e32 v25, vcc, v53, v25, vcc
	global_load_dwordx2 v[34:35], v[6:7], off
	global_load_dwordx2 v[30:31], v[8:9], off
	;; [unrolled: 1-line block ×3, first 2 shown]
	s_nop 0
	global_load_dwordx2 v[8:9], v[24:25], off
	v_mul_hi_u32 v7, v57, v49
	v_mul_lo_u32 v20, v7, s92
	v_sub_u32_e32 v20, v57, v20
	v_add_u32_e32 v21, 1, v7
	v_cmp_le_u32_e32 vcc, s92, v20
	v_cndmask_b32_e32 v7, v7, v21, vcc
	v_subrev_u32_e32 v21, s92, v20
	v_cndmask_b32_e32 v20, v20, v21, vcc
	v_add_u32_e32 v21, 1, v7
	v_cmp_le_u32_e32 vcc, s92, v20
	v_xor_b32_e32 v6, s94, v56
	v_cndmask_b32_e32 v7, v7, v21, vcc
	v_xor_b32_e32 v7, v7, v6
	v_sub_u32_e32 v20, v7, v6
	v_mad_u64_u32 v[6:7], s[0:1], s45, v20, v[0:1]
	v_readlane_b32 s0, v64, 0
	v_readlane_b32 s1, v64, 1
	v_mul_lo_u32 v6, v6, s1
	v_mad_u64_u32 v[6:7], s[0:1], v20, s0, v[6:7]
	v_ashrrev_i32_e32 v7, 31, v6
	v_lshlrev_b64 v[6:7], 3, v[6:7]
	v_add_co_u32_e32 v6, vcc, s22, v6
	v_addc_co_u32_e32 v7, vcc, v54, v7, vcc
	global_load_dwordx2 v[6:7], v[6:7], off
	v_pk_mov_b32 v[40:41], 0, 0
	s_andn2_b64 vcc, exec, s[26:27]
	v_pk_mov_b32 v[36:37], v[40:41], v[40:41] op_sel:[0,1]
	v_pk_mov_b32 v[24:25], v[40:41], v[40:41] op_sel:[0,1]
	;; [unrolled: 1-line block ×7, first 2 shown]
	s_cbranch_vccnz .LBB1_2
; %bb.4:                                ;   in Loop: Header=BB1_3 Depth=1
	v_readlane_b32 s0, v64, 4
	v_mad_u64_u32 v[24:25], s[0:1], s0, v62, v[0:1]
	v_sub_u32_e32 v42, v60, v61
	v_mul_lo_u32 v20, v24, s81
	v_mul_lo_u32 v32, s2, v42
	v_ashrrev_i32_e32 v21, 31, v20
	v_add3_u32 v62, v32, s2, v0
	v_lshlrev_b64 v[20:21], 3, v[20:21]
	v_mul_lo_u32 v32, v62, s81
	v_add_u32_e32 v36, 2, v42
	v_mov_b32_e32 v25, s15
	v_add_co_u32_e32 v20, vcc, s14, v20
	v_ashrrev_i32_e32 v33, 31, v32
	v_mad_u64_u32 v[36:37], s[0:1], s2, v36, v[0:1]
	v_addc_co_u32_e32 v21, vcc, v25, v21, vcc
	v_lshlrev_b64 v[32:33], 3, v[32:33]
	v_mul_lo_u32 v38, v36, s81
	v_add_co_u32_e32 v32, vcc, s14, v32
	v_ashrrev_i32_e32 v39, 31, v38
	v_add_u32_e32 v37, 3, v42
	v_addc_co_u32_e32 v33, vcc, v25, v33, vcc
	v_lshlrev_b64 v[38:39], 3, v[38:39]
	v_mad_u64_u32 v[44:45], s[0:1], s2, v37, v[0:1]
	v_add_co_u32_e32 v40, vcc, s14, v38
	v_mul_lo_u32 v38, v44, s81
	v_addc_co_u32_e32 v41, vcc, v25, v39, vcc
	v_ashrrev_i32_e32 v39, 31, v38
	v_lshlrev_b64 v[38:39], 3, v[38:39]
	v_add_co_u32_e32 v60, vcc, s14, v38
	v_mul_lo_u32 v24, v24, s82
	v_addc_co_u32_e32 v61, vcc, v25, v39, vcc
	v_ashrrev_i32_e32 v25, 31, v24
	global_load_dwordx2 v[42:43], v[20:21], off
	global_load_dwordx2 v[38:39], v[32:33], off
	s_nop 0
	global_load_dwordx2 v[32:33], v[40:41], off
	global_load_dwordx2 v[20:21], v[60:61], off
	v_lshlrev_b64 v[24:25], 3, v[24:25]
	v_mul_lo_u32 v40, v62, s82
	v_mov_b32_e32 v61, s17
	v_add_co_u32_e32 v24, vcc, s16, v24
	v_ashrrev_i32_e32 v41, 31, v40
	v_addc_co_u32_e32 v25, vcc, v61, v25, vcc
	v_lshlrev_b64 v[40:41], 3, v[40:41]
	v_mul_lo_u32 v36, v36, s82
	v_add_co_u32_e32 v40, vcc, s16, v40
	v_ashrrev_i32_e32 v37, 31, v36
	v_addc_co_u32_e32 v41, vcc, v61, v41, vcc
	v_lshlrev_b64 v[36:37], 3, v[36:37]
	v_mul_lo_u32 v44, v44, s82
	v_add_co_u32_e32 v36, vcc, s16, v36
	v_ashrrev_i32_e32 v45, 31, v44
	v_addc_co_u32_e32 v37, vcc, v61, v37, vcc
	v_lshlrev_b64 v[44:45], 3, v[44:45]
	v_add_co_u32_e32 v60, vcc, s16, v44
	v_addc_co_u32_e32 v61, vcc, v61, v45, vcc
	global_load_dwordx2 v[44:45], v[24:25], off
	s_nop 0
	global_load_dwordx2 v[40:41], v[40:41], off
	s_nop 0
	;; [unrolled: 2-line block ×3, first 2 shown]
	global_load_dwordx2 v[24:25], v[60:61], off
	s_branch .LBB1_2
.LBB1_5:
	s_endpgm
	.section	.rodata,"a",@progbits
	.p2align	6, 0x0
	.amdhsa_kernel _ZN2at6native12_GLOBAL__N_16kernel17lstm_cell_forwardIddiLi2EEEvNS_4cuda6detail10TensorInfoIT_T1_EES9_S9_S9_S9_S9_S9_S9_S8_S8_
		.amdhsa_group_segment_fixed_size 0
		.amdhsa_private_segment_fixed_size 0
		.amdhsa_kernarg_size 1992
		.amdhsa_user_sgpr_count 6
		.amdhsa_user_sgpr_private_segment_buffer 1
		.amdhsa_user_sgpr_dispatch_ptr 0
		.amdhsa_user_sgpr_queue_ptr 0
		.amdhsa_user_sgpr_kernarg_segment_ptr 1
		.amdhsa_user_sgpr_dispatch_id 0
		.amdhsa_user_sgpr_flat_scratch_init 0
		.amdhsa_user_sgpr_kernarg_preload_length 0
		.amdhsa_user_sgpr_kernarg_preload_offset 0
		.amdhsa_user_sgpr_private_segment_size 0
		.amdhsa_uses_dynamic_stack 0
		.amdhsa_system_sgpr_private_segment_wavefront_offset 0
		.amdhsa_system_sgpr_workgroup_id_x 1
		.amdhsa_system_sgpr_workgroup_id_y 0
		.amdhsa_system_sgpr_workgroup_id_z 0
		.amdhsa_system_sgpr_workgroup_info 0
		.amdhsa_system_vgpr_workitem_id 0
		.amdhsa_next_free_vgpr 65
		.amdhsa_next_free_sgpr 96
		.amdhsa_accum_offset 68
		.amdhsa_reserve_vcc 1
		.amdhsa_reserve_flat_scratch 0
		.amdhsa_float_round_mode_32 0
		.amdhsa_float_round_mode_16_64 0
		.amdhsa_float_denorm_mode_32 3
		.amdhsa_float_denorm_mode_16_64 3
		.amdhsa_dx10_clamp 1
		.amdhsa_ieee_mode 1
		.amdhsa_fp16_overflow 0
		.amdhsa_tg_split 0
		.amdhsa_exception_fp_ieee_invalid_op 0
		.amdhsa_exception_fp_denorm_src 0
		.amdhsa_exception_fp_ieee_div_zero 0
		.amdhsa_exception_fp_ieee_overflow 0
		.amdhsa_exception_fp_ieee_underflow 0
		.amdhsa_exception_fp_ieee_inexact 0
		.amdhsa_exception_int_div_zero 0
	.end_amdhsa_kernel
	.section	.text._ZN2at6native12_GLOBAL__N_16kernel17lstm_cell_forwardIddiLi2EEEvNS_4cuda6detail10TensorInfoIT_T1_EES9_S9_S9_S9_S9_S9_S9_S8_S8_,"axG",@progbits,_ZN2at6native12_GLOBAL__N_16kernel17lstm_cell_forwardIddiLi2EEEvNS_4cuda6detail10TensorInfoIT_T1_EES9_S9_S9_S9_S9_S9_S9_S8_S8_,comdat
.Lfunc_end1:
	.size	_ZN2at6native12_GLOBAL__N_16kernel17lstm_cell_forwardIddiLi2EEEvNS_4cuda6detail10TensorInfoIT_T1_EES9_S9_S9_S9_S9_S9_S9_S8_S8_, .Lfunc_end1-_ZN2at6native12_GLOBAL__N_16kernel17lstm_cell_forwardIddiLi2EEEvNS_4cuda6detail10TensorInfoIT_T1_EES9_S9_S9_S9_S9_S9_S9_S8_S8_
                                        ; -- End function
	.section	.AMDGPU.csdata,"",@progbits
; Kernel info:
; codeLenInByte = 6668
; NumSgprs: 100
; NumVgprs: 65
; NumAgprs: 0
; TotalNumVgprs: 65
; ScratchSize: 0
; MemoryBound: 0
; FloatMode: 240
; IeeeMode: 1
; LDSByteSize: 0 bytes/workgroup (compile time only)
; SGPRBlocks: 12
; VGPRBlocks: 8
; NumSGPRsForWavesPerEU: 100
; NumVGPRsForWavesPerEU: 65
; AccumOffset: 68
; Occupancy: 7
; WaveLimiterHint : 1
; COMPUTE_PGM_RSRC2:SCRATCH_EN: 0
; COMPUTE_PGM_RSRC2:USER_SGPR: 6
; COMPUTE_PGM_RSRC2:TRAP_HANDLER: 0
; COMPUTE_PGM_RSRC2:TGID_X_EN: 1
; COMPUTE_PGM_RSRC2:TGID_Y_EN: 0
; COMPUTE_PGM_RSRC2:TGID_Z_EN: 0
; COMPUTE_PGM_RSRC2:TIDIG_COMP_CNT: 0
; COMPUTE_PGM_RSRC3_GFX90A:ACCUM_OFFSET: 16
; COMPUTE_PGM_RSRC3_GFX90A:TG_SPLIT: 0
	.section	.text._ZN2at6native12_GLOBAL__N_16kernel17lstm_cell_forwardIddlLi1EEEvNS_4cuda6detail10TensorInfoIT_T1_EES9_S9_S9_S9_S9_S9_S9_S8_S8_,"axG",@progbits,_ZN2at6native12_GLOBAL__N_16kernel17lstm_cell_forwardIddlLi1EEEvNS_4cuda6detail10TensorInfoIT_T1_EES9_S9_S9_S9_S9_S9_S9_S8_S8_,comdat
	.globl	_ZN2at6native12_GLOBAL__N_16kernel17lstm_cell_forwardIddlLi1EEEvNS_4cuda6detail10TensorInfoIT_T1_EES9_S9_S9_S9_S9_S9_S9_S8_S8_ ; -- Begin function _ZN2at6native12_GLOBAL__N_16kernel17lstm_cell_forwardIddlLi1EEEvNS_4cuda6detail10TensorInfoIT_T1_EES9_S9_S9_S9_S9_S9_S9_S8_S8_
	.p2align	8
	.type	_ZN2at6native12_GLOBAL__N_16kernel17lstm_cell_forwardIddlLi1EEEvNS_4cuda6detail10TensorInfoIT_T1_EES9_S9_S9_S9_S9_S9_S9_S8_S8_,@function
_ZN2at6native12_GLOBAL__N_16kernel17lstm_cell_forwardIddlLi1EEEvNS_4cuda6detail10TensorInfoIT_T1_EES9_S9_S9_S9_S9_S9_S9_S8_S8_: ; @_ZN2at6native12_GLOBAL__N_16kernel17lstm_cell_forwardIddlLi1EEEvNS_4cuda6detail10TensorInfoIT_T1_EES9_S9_S9_S9_S9_S9_S9_S8_S8_
; %bb.0:
	s_load_dword s2, s[4:5], 0xd1c
	s_load_dwordx4 s[8:11], s[4:5], 0xd00
	s_add_u32 s0, s4, 0xd10
	s_addc_u32 s1, s5, 0
	v_mov_b32_e32 v2, 0
	s_waitcnt lgkmcnt(0)
	s_and_b32 s30, s2, 0xffff
	s_mul_i32 s6, s6, s30
	v_add_u32_e32 v0, s6, v0
	v_mov_b32_e32 v1, v2
	v_cmp_gt_i64_e32 vcc, s[10:11], v[0:1]
	s_and_saveexec_b64 s[2:3], vcc
	s_cbranch_execz .LBB2_9
; %bb.1:
	s_load_dwordx2 s[2:3], s[4:5], 0x0
	s_load_dwordx2 s[6:7], s[4:5], 0xd0
	;; [unrolled: 1-line block ×12, first 2 shown]
	s_load_dword s31, s[0:1], 0x0
	s_load_dwordx2 s[42:43], s[4:5], 0x9c0
	s_load_dwordx2 s[44:45], s[4:5], 0xa90
                                        ; kill: killed $sgpr0 killed $sgpr1
	s_load_dwordx2 s[24:25], s[4:5], 0xb60
	s_load_dwordx2 s[26:27], s[4:5], 0xc30
	s_waitcnt lgkmcnt(0)
	s_cmp_lg_u64 s[16:17], 0
	s_mul_i32 s0, s9, 3
	s_mul_hi_u32 s1, s8, 3
	s_cselect_b64 s[28:29], -1, 0
	s_add_i32 s87, s1, s0
	v_mul_lo_u32 v3, 0, s36
	v_mul_lo_u32 v6, v0, s37
	v_mad_u64_u32 v[4:5], s[0:1], v0, s36, 0
	s_mul_i32 s33, s31, s30
	v_add3_u32 v5, v5, v6, v3
	s_sub_u32 s89, 0, s8
	v_lshlrev_b64 v[4:5], 3, v[4:5]
	s_mul_i32 s0, s33, s37
	s_mul_hi_u32 s1, s33, s36
	s_subb_u32 s90, 0, s9
	v_mov_b32_e32 v3, s35
	v_add_co_u32_e32 v4, vcc, s34, v4
	s_add_i32 s1, s1, s0
	s_mul_i32 s0, s33, s36
	v_addc_co_u32_e32 v5, vcc, v3, v5, vcc
	s_lshl_b64 s[30:31], s[0:1], 3
	v_mul_lo_u32 v3, 0, s40
	v_mul_lo_u32 v8, v0, s41
	v_mad_u64_u32 v[6:7], s[0:1], v0, s40, 0
	v_add3_u32 v7, v7, v8, v3
	v_lshlrev_b64 v[6:7], 3, v[6:7]
	s_mul_i32 s0, s33, s41
	s_mul_hi_u32 s1, s33, s40
	v_mov_b32_e32 v3, s39
	v_add_co_u32_e32 v6, vcc, s38, v6
	s_add_i32 s1, s1, s0
	s_mul_i32 s0, s33, s40
	v_addc_co_u32_e32 v7, vcc, v3, v7, vcc
	s_lshl_b64 s[34:35], s[0:1], 3
	v_mul_lo_u32 v3, 0, s44
	v_mul_lo_u32 v10, v0, s45
	v_mad_u64_u32 v[8:9], s[0:1], v0, s44, 0
	v_add3_u32 v9, v9, v10, v3
	v_lshlrev_b64 v[8:9], 3, v[8:9]
	s_mul_i32 s0, s33, s45
	s_mul_hi_u32 s1, s33, s44
	v_mov_b32_e32 v3, s43
	v_add_co_u32_e32 v8, vcc, s42, v8
	s_add_i32 s1, s1, s0
	s_mul_i32 s0, s33, s44
	s_mov_b32 s38, 0x652b82fe
	s_mov_b32 s40, 0xfefa39ef
	;; [unrolled: 1-line block ×19, first 2 shown]
	s_mov_b64 s[4:5], 0
	s_mov_b32 s86, 0
	s_mul_i32 s88, s8, 3
	v_addc_co_u32_e32 v9, vcc, v3, v9, vcc
	s_lshl_b64 s[36:37], s[0:1], 3
	s_mov_b32 s39, 0xbff71547
	s_mov_b32 s41, 0xbfe62e42
	;; [unrolled: 1-line block ×15, first 2 shown]
	s_brev_b32 s91, -2
	s_mov_b32 s69, 0x3ff71547
	s_mov_b32 s70, 0xfefa3000
	v_mov_b32_e32 v54, 0x3ff00000
	s_mov_b32 s73, 0x3d53de6a
	s_mov_b32 s75, 0x3ac9cc01
	;; [unrolled: 1-line block ×4, first 2 shown]
	s_branch .LBB2_3
.LBB2_2:                                ;   in Loop: Header=BB2_3 Depth=1
	v_mul_lo_u32 v3, v3, s26
	v_mul_lo_u32 v38, v14, s27
	v_mad_u64_u32 v[14:15], s[0:1], v14, s26, 0
	v_add3_u32 v15, v15, v38, v3
	v_mul_lo_u32 v38, v17, s26
	v_mul_lo_u32 v39, v16, s27
	v_mad_u64_u32 v[16:17], s[0:1], v16, s26, 0
	v_add3_u32 v17, v17, v39, v38
	v_mul_lo_u32 v38, v19, s26
	v_mul_lo_u32 v39, v18, s27
	v_mad_u64_u32 v[18:19], s[0:1], v18, s26, 0
	s_waitcnt vmcnt(4)
	v_add_f64 v[34:35], v[34:35], v[42:43]
	v_add3_u32 v19, v19, v39, v38
	v_mul_lo_u32 v38, v23, s26
	v_mul_lo_u32 v39, v22, s27
	v_mad_u64_u32 v[22:23], s[0:1], v22, s26, 0
	v_add_f64 v[34:35], v[34:35], v[50:51]
	v_add3_u32 v23, v23, v39, v38
	s_waitcnt vmcnt(3)
	v_add_f64 v[38:39], v[52:53], v[34:35]
	v_mul_f64 v[34:35], v[38:39], s[38:39]
	v_rndne_f64_e32 v[42:43], v[34:35]
	v_fma_f64 v[50:51], v[42:43], s[40:41], -v[38:39]
	v_fmac_f64_e32 v[50:51], s[42:43], v[42:43]
	v_pk_mov_b32 v[34:35], s[44:45], s[44:45] op_sel:[0,1]
	v_fma_f64 v[52:53], s[46:47], v[50:51], v[34:35]
	v_fma_f64 v[52:53], v[50:51], v[52:53], s[48:49]
	;; [unrolled: 1-line block ×5, first 2 shown]
	v_add_f64 v[24:25], v[24:25], v[28:29]
	v_fma_f64 v[52:53], v[50:51], v[52:53], s[56:57]
	v_add_f64 v[24:25], v[24:25], v[46:47]
	v_fma_f64 v[52:53], v[50:51], v[52:53], s[58:59]
	s_waitcnt vmcnt(2)
	v_add_f64 v[28:29], v[48:49], v[24:25]
	v_fma_f64 v[52:53], v[50:51], v[52:53], s[60:61]
	v_mul_f64 v[24:25], v[28:29], s[38:39]
	v_fma_f64 v[52:53], v[50:51], v[52:53], s[62:63]
	v_rndne_f64_e32 v[24:25], v[24:25]
	v_fma_f64 v[52:53], v[50:51], v[52:53], 1.0
	v_fma_f64 v[46:47], v[24:25], s[40:41], -v[28:29]
	v_fma_f64 v[50:51], v[50:51], v[52:53], 1.0
	v_cvt_i32_f64_e32 v42, v[42:43]
	v_fmac_f64_e32 v[46:47], s[42:43], v[24:25]
	v_ldexp_f64 v[42:43], v[50:51], v42
	v_fma_f64 v[48:49], s[46:47], v[46:47], v[34:35]
	v_lshlrev_b64 v[14:15], 3, v[14:15]
	v_add_f64 v[42:43], v[42:43], 1.0
	v_fma_f64 v[48:49], v[46:47], v[48:49], s[48:49]
	v_mov_b32_e32 v3, s25
	v_add_co_u32_e32 v14, vcc, s24, v14
	v_div_scale_f64 v[50:51], s[0:1], v[42:43], v[42:43], 1.0
	v_fma_f64 v[48:49], v[46:47], v[48:49], s[50:51]
	v_addc_co_u32_e32 v15, vcc, v3, v15, vcc
	v_lshlrev_b64 v[16:17], 3, v[16:17]
	v_rcp_f64_e32 v[52:53], v[50:51]
	v_fma_f64 v[48:49], v[46:47], v[48:49], s[52:53]
	v_add_co_u32_e32 v16, vcc, s24, v16
	v_fma_f64 v[48:49], v[46:47], v[48:49], s[54:55]
	v_addc_co_u32_e32 v17, vcc, v3, v17, vcc
	v_lshlrev_b64 v[18:19], 3, v[18:19]
	v_fma_f64 v[48:49], v[46:47], v[48:49], s[56:57]
	v_add_co_u32_e32 v18, vcc, s24, v18
	v_fma_f64 v[48:49], v[46:47], v[48:49], s[58:59]
	v_addc_co_u32_e32 v19, vcc, v3, v19, vcc
	v_lshlrev_b64 v[22:23], 3, v[22:23]
	v_fma_f64 v[56:57], -v[50:51], v[52:53], 1.0
	v_fma_f64 v[48:49], v[46:47], v[48:49], s[60:61]
	v_add_co_u32_e32 v22, vcc, s24, v22
	v_fmac_f64_e32 v[52:53], v[52:53], v[56:57]
	v_fma_f64 v[48:49], v[46:47], v[48:49], s[62:63]
	v_addc_co_u32_e32 v23, vcc, v3, v23, vcc
	v_fma_f64 v[56:57], -v[50:51], v[52:53], 1.0
	v_fma_f64 v[48:49], v[46:47], v[48:49], 1.0
	v_fmac_f64_e32 v[52:53], v[52:53], v[56:57]
	v_div_scale_f64 v[56:57], vcc, 1.0, v[42:43], 1.0
	v_fma_f64 v[46:47], v[46:47], v[48:49], 1.0
	v_cvt_i32_f64_e32 v24, v[24:25]
	v_mul_f64 v[58:59], v[56:57], v[52:53]
	v_ldexp_f64 v[24:25], v[46:47], v24
	v_fma_f64 v[50:51], -v[50:51], v[58:59], v[56:57]
	v_add_f64 v[46:47], v[24:25], 1.0
	v_div_fmas_f64 v[50:51], v[50:51], v[52:53], v[58:59]
	v_div_scale_f64 v[48:49], s[0:1], v[46:47], v[46:47], 1.0
	v_div_fixup_f64 v[42:43], v[50:51], v[42:43], 1.0
	v_rcp_f64_e32 v[50:51], v[48:49]
	v_cmp_ngt_f64_e32 vcc, s[64:65], v[38:39]
	v_cmp_nlt_f64_e64 s[0:1], s[66:67], v[38:39]
	v_cndmask_b32_e32 v3, 0, v43, vcc
	v_fma_f64 v[38:39], -v[48:49], v[50:51], 1.0
	v_fmac_f64_e32 v[50:51], v[50:51], v[38:39]
	s_and_b64 vcc, s[0:1], vcc
	v_fma_f64 v[38:39], -v[48:49], v[50:51], 1.0
	v_cndmask_b32_e32 v24, 0, v42, vcc
	v_fmac_f64_e32 v[50:51], v[50:51], v[38:39]
	v_div_scale_f64 v[38:39], vcc, 1.0, v[46:47], 1.0
	v_mul_f64 v[42:43], v[38:39], v[50:51]
	v_add_f64 v[30:31], v[30:31], v[36:37]
	v_fma_f64 v[38:39], -v[48:49], v[42:43], v[38:39]
	v_add_f64 v[30:31], v[30:31], v[40:41]
	v_div_fmas_f64 v[38:39], v[38:39], v[50:51], v[42:43]
	s_waitcnt vmcnt(1)
	v_add_f64 v[30:31], v[44:45], v[30:31]
	s_mov_b32 s68, s38
	v_cndmask_b32_e64 v25, v54, v3, s[0:1]
	v_div_fixup_f64 v[38:39], v[38:39], v[46:47], 1.0
	v_cmp_ngt_f64_e32 vcc, s[64:65], v[28:29]
	v_cmp_nlt_f64_e64 s[0:1], s[66:67], v[28:29]
	v_mul_f64 v[36:37], |v[30:31]|, s[68:69]
	v_cndmask_b32_e32 v3, 0, v39, vcc
	s_and_b64 vcc, s[0:1], vcc
	v_rndne_f64_e32 v[36:37], v[36:37]
	s_mov_b32 s71, s41
	v_cndmask_b32_e32 v28, 0, v38, vcc
	v_fma_f64 v[38:39], v[36:37], s[70:71], |v[30:31]|
	v_add_f64 v[40:41], v[38:39], 0
	v_mul_f64 v[42:43], v[36:37], s[72:73]
	v_add_f64 v[44:45], v[40:41], -v[42:43]
	v_add_f64 v[38:39], v[38:39], -v[40:41]
	;; [unrolled: 1-line block ×3, first 2 shown]
	v_add_f64 v[38:39], v[38:39], 0
	v_add_f64 v[40:41], v[40:41], -v[42:43]
	v_add_f64 v[38:39], v[38:39], v[40:41]
	v_add_f64 v[40:41], v[44:45], v[38:39]
	v_add_f64 v[42:43], v[44:45], -v[40:41]
	v_add_f64 v[38:39], v[38:39], v[42:43]
	v_mul_f64 v[42:43], v[36:37], s[74:75]
	v_add_f64 v[44:45], v[40:41], -v[42:43]
	v_add_f64 v[40:41], v[40:41], -v[44:45]
	;; [unrolled: 1-line block ×3, first 2 shown]
	v_add_f64 v[38:39], v[38:39], v[40:41]
	v_add_f64 v[40:41], v[44:45], v[38:39]
	v_add_f64 v[42:43], v[44:45], -v[40:41]
	v_add_f64 v[38:39], v[38:39], v[42:43]
	v_fma_f64 v[42:43], s[46:47], v[40:41], v[34:35]
	v_fma_f64 v[42:43], v[40:41], v[42:43], s[48:49]
	;; [unrolled: 1-line block ×5, first 2 shown]
	v_mul_f64 v[44:45], v[40:41], v[40:41]
	v_fma_f64 v[42:43], v[40:41], v[42:43], s[56:57]
	v_fma_f64 v[46:47], v[40:41], v[40:41], -v[44:45]
	v_add_f64 v[48:49], v[38:39], v[38:39]
	v_fma_f64 v[42:43], v[40:41], v[42:43], s[58:59]
	v_fmac_f64_e32 v[46:47], v[40:41], v[48:49]
	v_fma_f64 v[42:43], v[40:41], v[42:43], s[60:61]
	v_add_f64 v[48:49], v[44:45], v[46:47]
	v_fma_f64 v[42:43], v[40:41], v[42:43], s[62:63]
	v_add_f64 v[44:45], v[48:49], -v[44:45]
	v_add_f64 v[44:45], v[46:47], -v[44:45]
	v_mul_f64 v[46:47], v[48:49], v[42:43]
	v_fma_f64 v[48:49], v[48:49], v[42:43], -v[46:47]
	v_fmac_f64_e32 v[48:49], v[44:45], v[42:43]
	v_add_f64 v[42:43], v[46:47], v[48:49]
	v_add_f64 v[44:45], v[42:43], -v[46:47]
	v_add_f64 v[46:47], v[40:41], v[42:43]
	v_add_f64 v[44:45], v[48:49], -v[44:45]
	v_add_f64 v[40:41], v[46:47], -v[40:41]
	;; [unrolled: 1-line block ×3, first 2 shown]
	v_add_f64 v[38:39], v[38:39], v[44:45]
	v_add_f64 v[38:39], v[38:39], v[40:41]
	;; [unrolled: 1-line block ×3, first 2 shown]
	v_add_f64 v[42:43], v[40:41], -v[46:47]
	v_add_f64 v[38:39], v[38:39], -v[42:43]
	v_add_f64 v[42:43], v[40:41], 1.0
	v_add_f64 v[44:45], v[42:43], -1.0
	v_add_f64 v[40:41], v[40:41], -v[44:45]
	v_add_f64 v[38:39], v[38:39], v[40:41]
	v_add_f64 v[40:41], v[42:43], v[38:39]
	v_cvt_i32_f64_e32 v46, v[36:37]
	v_ldexp_f64 v[36:37], v[40:41], v46
	v_rcp_f64_e32 v[44:45], v[36:37]
	v_add_f64 v[40:41], v[40:41], -v[42:43]
	v_add_f64 v[38:39], v[38:39], -v[40:41]
	v_ldexp_f64 v[38:39], v[38:39], v46
	v_fma_f64 v[40:41], -v[36:37], v[44:45], 1.0
	v_fmac_f64_e32 v[44:45], v[40:41], v[44:45]
	v_fma_f64 v[40:41], -v[36:37], v[44:45], 1.0
	v_fmac_f64_e32 v[44:45], v[40:41], v[44:45]
	v_mul_f64 v[40:41], v[36:37], v[44:45]
	v_fma_f64 v[42:43], v[44:45], v[36:37], -v[40:41]
	v_fmac_f64_e32 v[42:43], v[44:45], v[38:39]
	v_add_f64 v[46:47], v[40:41], v[42:43]
	v_add_f64 v[48:49], -v[46:47], 1.0
	v_add_f64 v[40:41], v[46:47], -v[40:41]
	v_add_f64 v[50:51], -v[48:49], 1.0
	v_add_f64 v[46:47], v[50:51], -v[46:47]
	v_add_f64 v[40:41], v[40:41], -v[42:43]
	v_add_f64 v[40:41], v[40:41], v[46:47]
	v_add_f64 v[42:43], v[48:49], v[40:41]
	v_add_f64 v[46:47], v[48:49], -v[42:43]
	v_add_f64 v[40:41], v[40:41], v[46:47]
	v_mul_f64 v[46:47], v[44:45], v[42:43]
	v_mul_f64 v[48:49], v[36:37], v[46:47]
	v_fma_f64 v[50:51], v[46:47], v[36:37], -v[48:49]
	v_fmac_f64_e32 v[50:51], v[46:47], v[38:39]
	v_add_f64 v[52:53], v[48:49], v[50:51]
	v_add_f64 v[56:57], v[42:43], -v[52:53]
	v_add_f64 v[42:43], v[42:43], -v[56:57]
	;; [unrolled: 1-line block ×4, first 2 shown]
	v_add_f64 v[40:41], v[40:41], v[42:43]
	v_add_f64 v[42:43], v[48:49], -v[50:51]
	v_add_f64 v[40:41], v[42:43], v[40:41]
	v_add_f64 v[40:41], v[56:57], v[40:41]
	;; [unrolled: 1-line block ×3, first 2 shown]
	v_mul_f64 v[40:41], v[44:45], v[40:41]
	v_add_f64 v[44:45], v[42:43], -v[44:45]
	v_add_f64 v[44:45], v[46:47], -v[44:45]
	v_add_f64 v[40:41], v[44:45], v[40:41]
	v_add_f64 v[44:45], v[42:43], v[40:41]
	v_add_f64 v[42:43], v[44:45], -v[42:43]
	v_add_f64 v[40:41], v[40:41], -v[42:43]
	;; [unrolled: 1-line block ×4, first 2 shown]
	v_add_f64 v[50:51], v[36:37], v[44:45]
	v_add_f64 v[46:47], v[46:47], -v[44:45]
	v_add_f64 v[36:37], v[50:51], -v[36:37]
	v_add_f64 v[46:47], v[38:39], v[46:47]
	v_add_f64 v[36:37], v[44:45], -v[36:37]
	v_add_f64 v[38:39], v[38:39], v[40:41]
	v_add_f64 v[36:37], v[38:39], v[36:37]
	;; [unrolled: 1-line block ×3, first 2 shown]
	v_add_f64 v[46:47], v[46:47], -v[40:41]
	v_rcp_f64_e32 v[40:41], v[38:39]
	v_add_f64 v[10:11], v[10:11], v[20:21]
	v_add_f64 v[10:11], v[10:11], v[26:27]
	v_add_f64 v[44:45], v[38:39], -v[50:51]
	s_waitcnt vmcnt(0)
	v_add_f64 v[20:21], v[32:33], v[10:11]
	v_add_f64 v[36:37], v[36:37], -v[44:45]
	v_fma_f64 v[44:45], -v[38:39], v[40:41], 1.0
	v_mul_f64 v[10:11], v[20:21], s[38:39]
	v_fmac_f64_e32 v[40:41], v[44:45], v[40:41]
	v_rndne_f64_e32 v[10:11], v[10:11]
	v_fma_f64 v[44:45], -v[38:39], v[40:41], 1.0
	v_fma_f64 v[26:27], v[10:11], s[40:41], -v[20:21]
	v_add_f64 v[48:49], v[42:43], v[46:47]
	v_fmac_f64_e32 v[40:41], v[44:45], v[40:41]
	v_fmac_f64_e32 v[26:27], s[42:43], v[10:11]
	v_add_f64 v[42:43], v[48:49], -v[42:43]
	v_mul_f64 v[44:45], v[48:49], v[40:41]
	v_fma_f64 v[32:33], s[46:47], v[26:27], v[34:35]
	v_add_f64 v[42:43], v[46:47], -v[42:43]
	v_mul_f64 v[46:47], v[38:39], v[44:45]
	v_fma_f64 v[32:33], v[26:27], v[32:33], s[48:49]
	v_fma_f64 v[38:39], v[44:45], v[38:39], -v[46:47]
	v_fma_f64 v[32:33], v[26:27], v[32:33], s[50:51]
	v_fmac_f64_e32 v[38:39], v[44:45], v[36:37]
	v_fma_f64 v[32:33], v[26:27], v[32:33], s[52:53]
	v_add_f64 v[36:37], v[46:47], v[38:39]
	v_fma_f64 v[32:33], v[26:27], v[32:33], s[54:55]
	v_add_f64 v[46:47], v[36:37], -v[46:47]
	v_fma_f64 v[32:33], v[26:27], v[32:33], s[56:57]
	v_add_f64 v[38:39], v[38:39], -v[46:47]
	v_add_f64 v[46:47], v[48:49], -v[36:37]
	v_fma_f64 v[32:33], v[26:27], v[32:33], s[58:59]
	v_add_f64 v[48:49], v[48:49], -v[46:47]
	v_fma_f64 v[32:33], v[26:27], v[32:33], s[60:61]
	;; [unrolled: 2-line block ×3, first 2 shown]
	v_add_f64 v[36:37], v[36:37], -v[38:39]
	v_fma_f64 v[32:33], v[26:27], v[32:33], 1.0
	v_add_f64 v[36:37], v[42:43], v[36:37]
	v_fma_f64 v[26:27], v[26:27], v[32:33], 1.0
	v_cvt_i32_f64_e32 v10, v[10:11]
	v_add_f64 v[36:37], v[46:47], v[36:37]
	v_ldexp_f64 v[10:11], v[26:27], v10
	v_mul_f64 v[36:37], v[40:41], v[36:37]
	v_add_f64 v[26:27], v[10:11], 1.0
	v_cndmask_b32_e64 v29, v54, v3, s[0:1]
	v_add_f64 v[36:37], v[44:45], v[36:37]
	v_cmp_ngt_f64_e64 vcc, |v[30:31]|, s[76:77]
	v_div_scale_f64 v[32:33], s[0:1], v[26:27], v[26:27], 1.0
	v_cndmask_b32_e32 v38, v54, v37, vcc
	v_cndmask_b32_e32 v39, 0, v36, vcc
	v_rcp_f64_e32 v[36:37], v[32:33]
	v_and_b32_e32 v3, 0x7fffffff, v31
	v_cmp_lt_f64_e64 vcc, |v[30:31]|, s[78:79]
	v_cndmask_b32_e32 v3, v38, v3, vcc
	v_cndmask_b32_e32 v10, v39, v30, vcc
	v_bfi_b32 v11, s91, v3, v31
	v_fma_f64 v[30:31], -v[32:33], v[36:37], 1.0
	v_fmac_f64_e32 v[36:37], v[36:37], v[30:31]
	v_fma_f64 v[30:31], -v[32:33], v[36:37], 1.0
	v_fmac_f64_e32 v[36:37], v[36:37], v[30:31]
	v_div_scale_f64 v[30:31], vcc, 1.0, v[26:27], 1.0
	v_mul_f64 v[38:39], v[30:31], v[36:37]
	v_fma_f64 v[30:31], -v[32:33], v[38:39], v[30:31]
	v_cmp_nlt_f64_e64 s[0:1], s[66:67], v[20:21]
	s_nop 0
	v_div_fmas_f64 v[30:31], v[30:31], v[36:37], v[38:39]
	v_div_fixup_f64 v[26:27], v[30:31], v[26:27], 1.0
	v_cmp_ngt_f64_e32 vcc, s[64:65], v[20:21]
	v_cndmask_b32_e32 v3, 0, v27, vcc
	s_and_b64 vcc, s[0:1], vcc
	v_cndmask_b32_e32 v20, 0, v26, vcc
	v_mul_f64 v[26:27], v[24:25], v[10:11]
	v_fmac_f64_e32 v[26:27], v[12:13], v[28:29]
	v_mul_f64 v[12:13], |v[26:27]|, s[68:69]
	v_rndne_f64_e32 v[12:13], v[12:13]
	v_fma_f64 v[30:31], v[12:13], s[70:71], |v[26:27]|
	v_add_f64 v[32:33], v[30:31], 0
	v_mul_f64 v[36:37], v[12:13], s[72:73]
	v_add_f64 v[38:39], v[32:33], -v[36:37]
	v_add_f64 v[30:31], v[30:31], -v[32:33]
	;; [unrolled: 1-line block ×3, first 2 shown]
	v_add_f64 v[30:31], v[30:31], 0
	v_add_f64 v[32:33], v[32:33], -v[36:37]
	v_add_f64 v[30:31], v[30:31], v[32:33]
	v_add_f64 v[32:33], v[38:39], v[30:31]
	v_add_f64 v[36:37], v[38:39], -v[32:33]
	v_add_f64 v[30:31], v[30:31], v[36:37]
	v_mul_f64 v[36:37], v[12:13], s[74:75]
	v_add_f64 v[38:39], v[32:33], -v[36:37]
	v_add_f64 v[32:33], v[32:33], -v[38:39]
	;; [unrolled: 1-line block ×3, first 2 shown]
	v_add_f64 v[30:31], v[30:31], v[32:33]
	v_add_f64 v[32:33], v[38:39], v[30:31]
	v_fma_f64 v[34:35], s[46:47], v[32:33], v[34:35]
	v_fma_f64 v[34:35], v[32:33], v[34:35], s[48:49]
	;; [unrolled: 1-line block ×3, first 2 shown]
	v_add_f64 v[36:37], v[38:39], -v[32:33]
	v_fma_f64 v[34:35], v[32:33], v[34:35], s[52:53]
	v_add_f64 v[30:31], v[30:31], v[36:37]
	v_fma_f64 v[34:35], v[32:33], v[34:35], s[54:55]
	v_mul_f64 v[36:37], v[32:33], v[32:33]
	v_fma_f64 v[34:35], v[32:33], v[34:35], s[56:57]
	v_fma_f64 v[38:39], v[32:33], v[32:33], -v[36:37]
	v_add_f64 v[40:41], v[30:31], v[30:31]
	v_fma_f64 v[34:35], v[32:33], v[34:35], s[58:59]
	v_fmac_f64_e32 v[38:39], v[32:33], v[40:41]
	v_fma_f64 v[34:35], v[32:33], v[34:35], s[60:61]
	v_add_f64 v[40:41], v[36:37], v[38:39]
	v_fma_f64 v[34:35], v[32:33], v[34:35], s[62:63]
	v_add_f64 v[36:37], v[40:41], -v[36:37]
	v_add_f64 v[36:37], v[38:39], -v[36:37]
	v_mul_f64 v[38:39], v[40:41], v[34:35]
	v_fma_f64 v[40:41], v[40:41], v[34:35], -v[38:39]
	v_fmac_f64_e32 v[40:41], v[36:37], v[34:35]
	v_add_f64 v[34:35], v[38:39], v[40:41]
	v_add_f64 v[36:37], v[34:35], -v[38:39]
	v_add_f64 v[38:39], v[32:33], v[34:35]
	v_add_f64 v[36:37], v[40:41], -v[36:37]
	v_add_f64 v[32:33], v[38:39], -v[32:33]
	v_add_f64 v[32:33], v[34:35], -v[32:33]
	v_add_f64 v[30:31], v[30:31], v[36:37]
	v_add_f64 v[30:31], v[30:31], v[32:33]
	;; [unrolled: 1-line block ×3, first 2 shown]
	v_add_f64 v[34:35], v[32:33], -v[38:39]
	v_add_f64 v[30:31], v[30:31], -v[34:35]
	v_add_f64 v[34:35], v[32:33], 1.0
	v_add_f64 v[36:37], v[34:35], -1.0
	v_add_f64 v[32:33], v[32:33], -v[36:37]
	v_add_f64 v[30:31], v[30:31], v[32:33]
	v_add_f64 v[32:33], v[34:35], v[30:31]
	v_cvt_i32_f64_e32 v38, v[12:13]
	v_ldexp_f64 v[12:13], v[32:33], v38
	v_rcp_f64_e32 v[36:37], v[12:13]
	v_add_f64 v[32:33], v[32:33], -v[34:35]
	v_add_f64 v[30:31], v[30:31], -v[32:33]
	v_ldexp_f64 v[30:31], v[30:31], v38
	v_fma_f64 v[32:33], -v[12:13], v[36:37], 1.0
	v_fmac_f64_e32 v[36:37], v[32:33], v[36:37]
	v_fma_f64 v[32:33], -v[12:13], v[36:37], 1.0
	v_fmac_f64_e32 v[36:37], v[32:33], v[36:37]
	v_mul_f64 v[32:33], v[12:13], v[36:37]
	v_fma_f64 v[34:35], v[36:37], v[12:13], -v[32:33]
	v_fmac_f64_e32 v[34:35], v[36:37], v[30:31]
	v_add_f64 v[38:39], v[32:33], v[34:35]
	v_add_f64 v[40:41], -v[38:39], 1.0
	v_add_f64 v[32:33], v[38:39], -v[32:33]
	v_add_f64 v[42:43], -v[40:41], 1.0
	v_add_f64 v[38:39], v[42:43], -v[38:39]
	v_add_f64 v[32:33], v[32:33], -v[34:35]
	v_add_f64 v[32:33], v[32:33], v[38:39]
	v_add_f64 v[34:35], v[40:41], v[32:33]
	v_add_f64 v[38:39], v[40:41], -v[34:35]
	v_add_f64 v[32:33], v[32:33], v[38:39]
	v_mul_f64 v[38:39], v[36:37], v[34:35]
	v_mul_f64 v[40:41], v[12:13], v[38:39]
	v_fma_f64 v[42:43], v[38:39], v[12:13], -v[40:41]
	v_fmac_f64_e32 v[42:43], v[38:39], v[30:31]
	v_add_f64 v[44:45], v[40:41], v[42:43]
	v_add_f64 v[46:47], v[34:35], -v[44:45]
	v_add_f64 v[34:35], v[34:35], -v[46:47]
	;; [unrolled: 1-line block ×4, first 2 shown]
	v_add_f64 v[32:33], v[32:33], v[34:35]
	v_add_f64 v[34:35], v[40:41], -v[42:43]
	v_add_f64 v[32:33], v[34:35], v[32:33]
	v_add_f64 v[32:33], v[46:47], v[32:33]
	;; [unrolled: 1-line block ×3, first 2 shown]
	v_mul_f64 v[32:33], v[36:37], v[32:33]
	v_add_f64 v[36:37], v[34:35], -v[36:37]
	v_add_f64 v[36:37], v[38:39], -v[36:37]
	v_add_f64 v[32:33], v[36:37], v[32:33]
	v_add_f64 v[36:37], v[34:35], v[32:33]
	v_add_f64 v[34:35], v[36:37], -v[34:35]
	v_add_f64 v[32:33], v[32:33], -v[34:35]
	v_add_f64 v[34:35], v[12:13], -v[36:37]
	v_add_f64 v[38:39], v[12:13], -v[34:35]
	v_add_f64 v[42:43], v[12:13], v[36:37]
	v_add_f64 v[38:39], v[38:39], -v[36:37]
	v_add_f64 v[12:13], v[42:43], -v[12:13]
	v_add_f64 v[38:39], v[30:31], v[38:39]
	v_add_f64 v[12:13], v[36:37], -v[12:13]
	v_add_f64 v[30:31], v[30:31], v[32:33]
	v_add_f64 v[12:13], v[30:31], v[12:13]
	;; [unrolled: 1-line block ×3, first 2 shown]
	v_add_f64 v[38:39], v[38:39], -v[32:33]
	v_rcp_f64_e32 v[32:33], v[30:31]
	v_add_f64 v[36:37], v[30:31], -v[42:43]
	v_add_f64 v[12:13], v[12:13], -v[36:37]
	v_add_f64 v[40:41], v[34:35], v[38:39]
	v_fma_f64 v[36:37], -v[30:31], v[32:33], 1.0
	v_fmac_f64_e32 v[32:33], v[36:37], v[32:33]
	v_fma_f64 v[36:37], -v[30:31], v[32:33], 1.0
	v_fmac_f64_e32 v[32:33], v[36:37], v[32:33]
	v_add_f64 v[34:35], v[40:41], -v[34:35]
	v_mul_f64 v[36:37], v[40:41], v[32:33]
	v_add_f64 v[34:35], v[38:39], -v[34:35]
	v_mul_f64 v[38:39], v[30:31], v[36:37]
	v_fma_f64 v[30:31], v[36:37], v[30:31], -v[38:39]
	v_fmac_f64_e32 v[30:31], v[36:37], v[12:13]
	v_add_f64 v[12:13], v[38:39], v[30:31]
	v_add_f64 v[38:39], v[12:13], -v[38:39]
	v_add_f64 v[30:31], v[30:31], -v[38:39]
	v_add_f64 v[38:39], v[40:41], -v[12:13]
	v_add_f64 v[40:41], v[40:41], -v[38:39]
	v_add_f64 v[12:13], v[40:41], -v[12:13]
	v_add_f64 v[12:13], v[12:13], -v[30:31]
	v_add_f64 v[12:13], v[34:35], v[12:13]
	v_add_f64 v[12:13], v[38:39], v[12:13]
	v_mul_f64 v[12:13], v[32:33], v[12:13]
	v_add_f64 v[12:13], v[36:37], v[12:13]
	v_cmp_ngt_f64_e64 vcc, |v[26:27]|, s[76:77]
	v_cndmask_b32_e64 v21, v54, v3, s[0:1]
	v_and_b32_e32 v3, 0x7fffffff, v27
	v_cndmask_b32_e32 v13, v54, v13, vcc
	v_cndmask_b32_e32 v12, 0, v12, vcc
	v_cmp_lt_f64_e64 vcc, |v[26:27]|, s[78:79]
	v_cndmask_b32_e32 v3, v13, v3, vcc
	v_cndmask_b32_e32 v12, v12, v26, vcc
	v_bfi_b32 v13, s91, v3, v27
	v_mov_b32_e32 v3, s86
	v_add_co_u32_e32 v0, vcc, s33, v0
	v_addc_co_u32_e32 v1, vcc, v1, v3, vcc
	v_mov_b32_e32 v3, s31
	v_add_co_u32_e32 v4, vcc, s30, v4
	v_mul_f64 v[12:13], v[20:21], v[12:13]
	v_addc_co_u32_e32 v5, vcc, v5, v3, vcc
	global_store_dwordx2 v[6:7], v[12:13], off
	global_store_dwordx2 v[8:9], v[26:27], off
	;; [unrolled: 1-line block ×6, first 2 shown]
	v_mov_b32_e32 v3, s35
	v_add_co_u32_e32 v6, vcc, s34, v6
	v_addc_co_u32_e32 v7, vcc, v7, v3, vcc
	v_cmp_le_i64_e32 vcc, s[10:11], v[0:1]
	v_mov_b32_e32 v3, s37
	s_or_b64 s[4:5], vcc, s[4:5]
	v_add_co_u32_e32 v8, vcc, s36, v8
	v_addc_co_u32_e32 v9, vcc, v9, v3, vcc
	s_andn2_b64 exec, exec, s[4:5]
	s_cbranch_execz .LBB2_9
.LBB2_3:                                ; =>This Inner Loop Header: Depth=1
	v_or_b32_e32 v3, s9, v1
	v_cmp_ne_u64_e32 vcc, 0, v[2:3]
                                        ; implicit-def: $vgpr38_vgpr39
	s_and_saveexec_b64 s[0:1], vcc
	s_xor_b64 s[80:81], exec, s[0:1]
	s_cbranch_execz .LBB2_5
; %bb.4:                                ;   in Loop: Header=BB2_3 Depth=1
	s_ashr_i32 s82, s9, 31
	s_add_u32 s0, s8, s82
	s_mov_b32 s83, s82
	s_addc_u32 s1, s9, s82
	s_xor_b64 s[84:85], s[0:1], s[82:83]
	v_cvt_f32_u32_e32 v3, s84
	v_cvt_f32_u32_e32 v10, s85
	s_sub_u32 s0, 0, s84
	s_subb_u32 s1, 0, s85
	v_mac_f32_e32 v3, 0x4f800000, v10
	v_rcp_f32_e32 v3, v3
	v_mul_f32_e32 v3, 0x5f7ffffc, v3
	v_mul_f32_e32 v10, 0x2f800000, v3
	v_trunc_f32_e32 v10, v10
	v_mac_f32_e32 v3, 0xcf800000, v10
	v_cvt_u32_f32_e32 v10, v10
	v_cvt_u32_f32_e32 v3, v3
	v_mul_lo_u32 v11, s0, v10
	v_mul_hi_u32 v13, s0, v3
	v_mul_lo_u32 v12, s1, v3
	v_add_u32_e32 v11, v13, v11
	v_mul_lo_u32 v14, s0, v3
	v_add_u32_e32 v11, v11, v12
	v_mul_lo_u32 v13, v3, v11
	v_mul_hi_u32 v15, v3, v14
	v_mul_hi_u32 v12, v3, v11
	v_add_co_u32_e32 v13, vcc, v15, v13
	v_addc_co_u32_e32 v12, vcc, 0, v12, vcc
	v_mul_hi_u32 v16, v10, v14
	v_mul_lo_u32 v14, v10, v14
	v_add_co_u32_e32 v13, vcc, v13, v14
	v_mul_hi_u32 v15, v10, v11
	v_addc_co_u32_e32 v12, vcc, v12, v16, vcc
	v_addc_co_u32_e32 v13, vcc, 0, v15, vcc
	v_mul_lo_u32 v11, v10, v11
	v_add_co_u32_e32 v11, vcc, v12, v11
	v_addc_co_u32_e32 v12, vcc, 0, v13, vcc
	v_add_co_u32_e32 v3, vcc, v3, v11
	v_addc_co_u32_e32 v10, vcc, v10, v12, vcc
	v_mul_lo_u32 v11, s0, v10
	v_mul_hi_u32 v12, s0, v3
	v_add_u32_e32 v11, v12, v11
	v_mul_lo_u32 v12, s1, v3
	v_add_u32_e32 v11, v11, v12
	v_mul_lo_u32 v13, s0, v3
	v_mul_hi_u32 v14, v10, v13
	v_mul_lo_u32 v15, v10, v13
	v_mul_lo_u32 v17, v3, v11
	v_mul_hi_u32 v13, v3, v13
	v_mul_hi_u32 v16, v3, v11
	v_add_co_u32_e32 v13, vcc, v13, v17
	v_addc_co_u32_e32 v16, vcc, 0, v16, vcc
	v_add_co_u32_e32 v13, vcc, v13, v15
	v_mul_hi_u32 v12, v10, v11
	v_addc_co_u32_e32 v13, vcc, v16, v14, vcc
	v_addc_co_u32_e32 v12, vcc, 0, v12, vcc
	v_mul_lo_u32 v11, v10, v11
	v_add_co_u32_e32 v11, vcc, v13, v11
	v_addc_co_u32_e32 v12, vcc, 0, v12, vcc
	v_add_co_u32_e32 v3, vcc, v3, v11
	v_addc_co_u32_e32 v12, vcc, v10, v12, vcc
	v_ashrrev_i32_e32 v14, 31, v1
	v_add_co_u32_e32 v10, vcc, v0, v14
	v_addc_co_u32_e32 v11, vcc, v1, v14, vcc
	v_xor_b32_e32 v16, v10, v14
	v_xor_b32_e32 v15, v11, v14
	v_mad_u64_u32 v[10:11], s[0:1], v16, v12, 0
	v_mul_hi_u32 v13, v16, v3
	v_add_co_u32_e32 v17, vcc, v13, v10
	v_addc_co_u32_e32 v18, vcc, 0, v11, vcc
	v_mad_u64_u32 v[10:11], s[0:1], v15, v12, 0
	v_mad_u64_u32 v[12:13], s[0:1], v15, v3, 0
	v_add_co_u32_e32 v3, vcc, v17, v12
	v_addc_co_u32_e32 v3, vcc, v18, v13, vcc
	v_addc_co_u32_e32 v11, vcc, 0, v11, vcc
	v_add_co_u32_e32 v3, vcc, v3, v10
	v_addc_co_u32_e32 v12, vcc, 0, v11, vcc
	v_mul_lo_u32 v13, s85, v3
	v_mul_lo_u32 v17, s84, v12
	v_mad_u64_u32 v[10:11], s[0:1], s84, v3, 0
	v_add3_u32 v11, v11, v17, v13
	v_sub_u32_e32 v13, v15, v11
	v_mov_b32_e32 v17, s85
	v_sub_co_u32_e32 v10, vcc, v16, v10
	v_subb_co_u32_e64 v13, s[0:1], v13, v17, vcc
	v_subrev_co_u32_e64 v16, s[0:1], s84, v10
	v_subbrev_co_u32_e64 v13, s[0:1], 0, v13, s[0:1]
	v_cmp_le_u32_e64 s[0:1], s85, v13
	v_cndmask_b32_e64 v17, 0, -1, s[0:1]
	v_cmp_le_u32_e64 s[0:1], s84, v16
	v_cndmask_b32_e64 v16, 0, -1, s[0:1]
	v_cmp_eq_u32_e64 s[0:1], s85, v13
	v_cndmask_b32_e64 v13, v17, v16, s[0:1]
	v_add_co_u32_e64 v16, s[0:1], 2, v3
	v_subb_co_u32_e32 v11, vcc, v15, v11, vcc
	v_addc_co_u32_e64 v17, s[0:1], 0, v12, s[0:1]
	v_cmp_le_u32_e32 vcc, s85, v11
	v_add_co_u32_e64 v18, s[0:1], 1, v3
	v_cndmask_b32_e64 v15, 0, -1, vcc
	v_cmp_le_u32_e32 vcc, s84, v10
	v_addc_co_u32_e64 v19, s[0:1], 0, v12, s[0:1]
	v_cndmask_b32_e64 v10, 0, -1, vcc
	v_cmp_eq_u32_e32 vcc, s85, v11
	v_cmp_ne_u32_e64 s[0:1], 0, v13
	v_cndmask_b32_e32 v10, v15, v10, vcc
	v_cmp_ne_u32_e32 vcc, 0, v10
	v_cndmask_b32_e64 v11, v18, v16, s[0:1]
	v_cndmask_b32_e64 v13, v19, v17, s[0:1]
	v_cndmask_b32_e32 v3, v3, v11, vcc
	v_xor_b32_e32 v11, s82, v14
	v_cndmask_b32_e32 v10, v12, v13, vcc
	v_xor_b32_e32 v3, v3, v11
	v_xor_b32_e32 v10, v10, v11
	v_sub_co_u32_e32 v38, vcc, v3, v11
	v_subb_co_u32_e32 v39, vcc, v10, v11, vcc
.LBB2_5:                                ;   in Loop: Header=BB2_3 Depth=1
	s_andn2_saveexec_b64 s[0:1], s[80:81]
	s_cbranch_execz .LBB2_7
; %bb.6:                                ;   in Loop: Header=BB2_3 Depth=1
	v_cvt_f32_u32_e32 v3, s8
	s_sub_i32 s68, 0, s8
	v_mov_b32_e32 v39, v2
	v_rcp_iflag_f32_e32 v3, v3
	v_mul_f32_e32 v3, 0x4f7ffffe, v3
	v_cvt_u32_f32_e32 v3, v3
	v_mul_lo_u32 v10, s68, v3
	v_mul_hi_u32 v10, v3, v10
	v_add_u32_e32 v3, v3, v10
	v_mul_hi_u32 v3, v0, v3
	v_mul_lo_u32 v10, v3, s8
	v_sub_u32_e32 v10, v0, v10
	v_add_u32_e32 v11, 1, v3
	v_subrev_u32_e32 v12, s8, v10
	v_cmp_le_u32_e32 vcc, s8, v10
	v_cndmask_b32_e32 v10, v10, v12, vcc
	v_cndmask_b32_e32 v3, v3, v11, vcc
	v_add_u32_e32 v11, 1, v3
	v_cmp_le_u32_e32 vcc, s8, v10
	v_cndmask_b32_e32 v38, v3, v11, vcc
.LBB2_7:                                ;   in Loop: Header=BB2_3 Depth=1
	s_or_b64 exec, exec, s[0:1]
	v_mad_u64_u32 v[14:15], s[0:1], s88, v38, v[0:1]
	v_mul_lo_u32 v3, s88, v39
	v_mul_lo_u32 v10, s87, v38
	v_add3_u32 v3, v10, v15, v3
	v_mul_lo_u32 v12, v14, s7
	v_mul_lo_u32 v13, v3, s6
	v_mad_u64_u32 v[10:11], s[0:1], v14, s6, 0
	v_add3_u32 v11, v11, v12, v13
	v_mad_u64_u32 v[12:13], s[0:1], v38, 3, 1
	v_lshl_add_u32 v24, v39, 1, v39
	v_add_u32_e32 v13, v24, v13
	v_mul_lo_u32 v18, s9, v12
	v_mul_lo_u32 v13, s8, v13
	v_mad_u64_u32 v[16:17], s[0:1], s8, v12, v[0:1]
	v_add3_u32 v17, v18, v17, v13
	v_mul_lo_u32 v18, v17, s6
	v_mul_lo_u32 v19, v16, s7
	v_mad_u64_u32 v[12:13], s[0:1], v16, s6, 0
	v_add3_u32 v13, v13, v19, v18
	v_mad_u64_u32 v[18:19], s[0:1], v38, 3, 2
	v_add_u32_e32 v19, v24, v19
	v_mul_lo_u32 v20, s9, v18
	v_mul_lo_u32 v21, s8, v19
	v_mad_u64_u32 v[18:19], s[0:1], s8, v18, v[0:1]
	v_add3_u32 v19, v20, v19, v21
	v_mul_lo_u32 v22, v19, s6
	v_mul_lo_u32 v23, v18, s7
	v_mad_u64_u32 v[20:21], s[0:1], v18, s6, 0
	v_lshlrev_b64 v[10:11], 3, v[10:11]
	v_add3_u32 v21, v21, v23, v22
	v_mad_u64_u32 v[22:23], s[0:1], v38, 3, 3
	v_mov_b32_e32 v15, s3
	v_add_co_u32_e32 v10, vcc, s2, v10
	v_add_u32_e32 v23, v24, v23
	v_addc_co_u32_e32 v11, vcc, v15, v11, vcc
	v_lshlrev_b64 v[12:13], 3, v[12:13]
	v_mul_lo_u32 v24, s9, v22
	v_mul_lo_u32 v25, s8, v23
	v_mad_u64_u32 v[22:23], s[0:1], s8, v22, v[0:1]
	v_add_co_u32_e32 v12, vcc, s2, v12
	v_add3_u32 v23, v24, v23, v25
	v_addc_co_u32_e32 v13, vcc, v15, v13, vcc
	v_lshlrev_b64 v[20:21], 3, v[20:21]
	v_mul_lo_u32 v26, v23, s6
	v_mul_lo_u32 v27, v22, s7
	v_mad_u64_u32 v[24:25], s[0:1], v22, s6, 0
	v_add_co_u32_e32 v20, vcc, s2, v20
	v_add3_u32 v25, v25, v27, v26
	v_addc_co_u32_e32 v21, vcc, v15, v21, vcc
	v_lshlrev_b64 v[24:25], 3, v[24:25]
	v_add_co_u32_e32 v26, vcc, s2, v24
	v_addc_co_u32_e32 v27, vcc, v15, v25, vcc
	global_load_dwordx2 v[34:35], v[10:11], off
	global_load_dwordx2 v[24:25], v[12:13], off
	;; [unrolled: 1-line block ×3, first 2 shown]
	s_nop 0
	global_load_dwordx2 v[10:11], v[26:27], off
	v_mul_lo_u32 v15, v14, s15
	v_mul_lo_u32 v20, v3, s14
	v_mad_u64_u32 v[12:13], s[0:1], v14, s14, 0
	v_add3_u32 v13, v13, v15, v20
	v_lshlrev_b64 v[12:13], 3, v[12:13]
	v_mul_lo_u32 v26, v17, s14
	v_mul_lo_u32 v27, v16, s15
	v_mad_u64_u32 v[20:21], s[0:1], v16, s14, 0
	v_mov_b32_e32 v15, s13
	v_add_co_u32_e32 v12, vcc, s12, v12
	v_add3_u32 v21, v21, v27, v26
	v_addc_co_u32_e32 v13, vcc, v15, v13, vcc
	v_lshlrev_b64 v[20:21], 3, v[20:21]
	v_mul_lo_u32 v28, v19, s14
	v_mul_lo_u32 v29, v18, s15
	v_mad_u64_u32 v[26:27], s[0:1], v18, s14, 0
	v_add_co_u32_e32 v20, vcc, s12, v20
	v_add3_u32 v27, v27, v29, v28
	v_addc_co_u32_e32 v21, vcc, v15, v21, vcc
	v_lshlrev_b64 v[26:27], 3, v[26:27]
	v_mul_lo_u32 v32, v23, s14
	v_mul_lo_u32 v33, v22, s15
	v_mad_u64_u32 v[28:29], s[0:1], v22, s14, 0
	v_add_co_u32_e32 v26, vcc, s12, v26
	v_add3_u32 v29, v29, v33, v32
	v_addc_co_u32_e32 v27, vcc, v15, v27, vcc
	v_lshlrev_b64 v[28:29], 3, v[28:29]
	v_add_co_u32_e32 v32, vcc, s12, v28
	v_addc_co_u32_e32 v33, vcc, v15, v29, vcc
	global_load_dwordx2 v[42:43], v[12:13], off
	global_load_dwordx2 v[28:29], v[20:21], off
	;; [unrolled: 1-line block ×3, first 2 shown]
	s_nop 0
	global_load_dwordx2 v[20:21], v[32:33], off
	global_load_dwordx2 v[12:13], v[4:5], off
	v_pk_mov_b32 v[48:49], 0, 0
	s_andn2_b64 vcc, exec, s[28:29]
	v_pk_mov_b32 v[44:45], v[48:49], v[48:49] op_sel:[0,1]
	v_pk_mov_b32 v[32:33], v[48:49], v[48:49] op_sel:[0,1]
	;; [unrolled: 1-line block ×7, first 2 shown]
	s_cbranch_vccnz .LBB2_2
; %bb.8:                                ;   in Loop: Header=BB2_3 Depth=1
	v_mad_u64_u32 v[32:33], s[0:1], s89, v38, v[0:1]
	v_mul_lo_u32 v15, s89, v39
	v_mul_lo_u32 v26, s90, v38
	v_add3_u32 v15, v26, v33, v15
	v_mul_lo_u32 v33, v32, s19
	v_mul_lo_u32 v40, v15, s18
	v_mad_u64_u32 v[26:27], s[0:1], v32, s18, 0
	v_add3_u32 v27, v27, v33, v40
	v_lshlrev_b64 v[26:27], 3, v[26:27]
	v_mov_b32_e32 v33, s17
	v_add_co_u32_e32 v26, vcc, s16, v26
	v_addc_co_u32_e32 v27, vcc, v33, v27, vcc
	v_sub_co_u32_e32 v40, vcc, 1, v38
	v_subb_co_u32_e32 v41, vcc, 0, v39, vcc
	v_mul_lo_u32 v41, s8, v41
	v_mul_lo_u32 v46, s9, v40
	v_mad_u64_u32 v[44:45], s[0:1], s8, v40, v[0:1]
	v_add3_u32 v45, v46, v45, v41
	v_mul_lo_u32 v46, v45, s18
	v_mul_lo_u32 v47, v44, s19
	v_mad_u64_u32 v[40:41], s[0:1], v44, s18, 0
	v_add3_u32 v41, v41, v47, v46
	v_lshlrev_b64 v[40:41], 3, v[40:41]
	v_add_co_u32_e32 v40, vcc, s16, v40
	v_addc_co_u32_e32 v41, vcc, v33, v41, vcc
	v_sub_co_u32_e32 v46, vcc, 2, v38
	v_subb_co_u32_e32 v47, vcc, 0, v39, vcc
	v_mul_lo_u32 v47, s8, v47
	v_mul_lo_u32 v50, s9, v46
	v_mad_u64_u32 v[48:49], s[0:1], s8, v46, v[0:1]
	v_add3_u32 v49, v50, v49, v47
	v_mul_lo_u32 v50, v49, s18
	v_mul_lo_u32 v51, v48, s19
	v_mad_u64_u32 v[46:47], s[0:1], v48, s18, 0
	v_add3_u32 v47, v47, v51, v50
	v_lshlrev_b64 v[46:47], 3, v[46:47]
	;; [unrolled: 13-line block ×3, first 2 shown]
	v_add_co_u32_e32 v56, vcc, s16, v46
	v_addc_co_u32_e32 v57, vcc, v33, v47, vcc
	global_load_dwordx2 v[50:51], v[26:27], off
	global_load_dwordx2 v[46:47], v[40:41], off
	s_nop 0
	global_load_dwordx2 v[40:41], v[52:53], off
	global_load_dwordx2 v[26:27], v[56:57], off
	v_mul_lo_u32 v52, v32, s23
	v_mul_lo_u32 v15, v15, s22
	v_mad_u64_u32 v[32:33], s[0:1], v32, s22, 0
	v_add3_u32 v33, v33, v52, v15
	v_lshlrev_b64 v[32:33], 3, v[32:33]
	v_mul_lo_u32 v52, v45, s22
	v_mul_lo_u32 v53, v44, s23
	v_mad_u64_u32 v[44:45], s[0:1], v44, s22, 0
	v_mov_b32_e32 v15, s21
	v_add_co_u32_e32 v32, vcc, s20, v32
	v_add3_u32 v45, v45, v53, v52
	v_addc_co_u32_e32 v33, vcc, v15, v33, vcc
	v_lshlrev_b64 v[44:45], 3, v[44:45]
	v_mul_lo_u32 v52, v49, s22
	v_mul_lo_u32 v53, v48, s23
	v_mad_u64_u32 v[48:49], s[0:1], v48, s22, 0
	v_add_co_u32_e32 v44, vcc, s20, v44
	v_add3_u32 v49, v49, v53, v52
	v_addc_co_u32_e32 v45, vcc, v15, v45, vcc
	v_lshlrev_b64 v[48:49], 3, v[48:49]
	v_add_co_u32_e32 v56, vcc, s20, v48
	v_addc_co_u32_e32 v57, vcc, v15, v49, vcc
	v_mul_lo_u32 v48, v39, s22
	v_mul_lo_u32 v49, v38, s23
	v_mad_u64_u32 v[38:39], s[0:1], v38, s22, 0
	v_add3_u32 v39, v39, v49, v48
	v_lshlrev_b64 v[38:39], 3, v[38:39]
	v_add_co_u32_e32 v38, vcc, s20, v38
	v_addc_co_u32_e32 v39, vcc, v15, v39, vcc
	global_load_dwordx2 v[52:53], v[32:33], off
	global_load_dwordx2 v[48:49], v[44:45], off
	s_nop 0
	global_load_dwordx2 v[44:45], v[56:57], off
	global_load_dwordx2 v[32:33], v[38:39], off
	s_branch .LBB2_2
.LBB2_9:
	s_endpgm
	.section	.rodata,"a",@progbits
	.p2align	6, 0x0
	.amdhsa_kernel _ZN2at6native12_GLOBAL__N_16kernel17lstm_cell_forwardIddlLi1EEEvNS_4cuda6detail10TensorInfoIT_T1_EES9_S9_S9_S9_S9_S9_S9_S8_S8_
		.amdhsa_group_segment_fixed_size 0
		.amdhsa_private_segment_fixed_size 0
		.amdhsa_kernarg_size 3600
		.amdhsa_user_sgpr_count 6
		.amdhsa_user_sgpr_private_segment_buffer 1
		.amdhsa_user_sgpr_dispatch_ptr 0
		.amdhsa_user_sgpr_queue_ptr 0
		.amdhsa_user_sgpr_kernarg_segment_ptr 1
		.amdhsa_user_sgpr_dispatch_id 0
		.amdhsa_user_sgpr_flat_scratch_init 0
		.amdhsa_user_sgpr_kernarg_preload_length 0
		.amdhsa_user_sgpr_kernarg_preload_offset 0
		.amdhsa_user_sgpr_private_segment_size 0
		.amdhsa_uses_dynamic_stack 0
		.amdhsa_system_sgpr_private_segment_wavefront_offset 0
		.amdhsa_system_sgpr_workgroup_id_x 1
		.amdhsa_system_sgpr_workgroup_id_y 0
		.amdhsa_system_sgpr_workgroup_id_z 0
		.amdhsa_system_sgpr_workgroup_info 0
		.amdhsa_system_vgpr_workitem_id 0
		.amdhsa_next_free_vgpr 60
		.amdhsa_next_free_sgpr 92
		.amdhsa_accum_offset 60
		.amdhsa_reserve_vcc 1
		.amdhsa_reserve_flat_scratch 0
		.amdhsa_float_round_mode_32 0
		.amdhsa_float_round_mode_16_64 0
		.amdhsa_float_denorm_mode_32 3
		.amdhsa_float_denorm_mode_16_64 3
		.amdhsa_dx10_clamp 1
		.amdhsa_ieee_mode 1
		.amdhsa_fp16_overflow 0
		.amdhsa_tg_split 0
		.amdhsa_exception_fp_ieee_invalid_op 0
		.amdhsa_exception_fp_denorm_src 0
		.amdhsa_exception_fp_ieee_div_zero 0
		.amdhsa_exception_fp_ieee_overflow 0
		.amdhsa_exception_fp_ieee_underflow 0
		.amdhsa_exception_fp_ieee_inexact 0
		.amdhsa_exception_int_div_zero 0
	.end_amdhsa_kernel
	.section	.text._ZN2at6native12_GLOBAL__N_16kernel17lstm_cell_forwardIddlLi1EEEvNS_4cuda6detail10TensorInfoIT_T1_EES9_S9_S9_S9_S9_S9_S9_S8_S8_,"axG",@progbits,_ZN2at6native12_GLOBAL__N_16kernel17lstm_cell_forwardIddlLi1EEEvNS_4cuda6detail10TensorInfoIT_T1_EES9_S9_S9_S9_S9_S9_S9_S8_S8_,comdat
.Lfunc_end2:
	.size	_ZN2at6native12_GLOBAL__N_16kernel17lstm_cell_forwardIddlLi1EEEvNS_4cuda6detail10TensorInfoIT_T1_EES9_S9_S9_S9_S9_S9_S9_S8_S8_, .Lfunc_end2-_ZN2at6native12_GLOBAL__N_16kernel17lstm_cell_forwardIddlLi1EEEvNS_4cuda6detail10TensorInfoIT_T1_EES9_S9_S9_S9_S9_S9_S9_S8_S8_
                                        ; -- End function
	.section	.AMDGPU.csdata,"",@progbits
; Kernel info:
; codeLenInByte = 6292
; NumSgprs: 96
; NumVgprs: 60
; NumAgprs: 0
; TotalNumVgprs: 60
; ScratchSize: 0
; MemoryBound: 0
; FloatMode: 240
; IeeeMode: 1
; LDSByteSize: 0 bytes/workgroup (compile time only)
; SGPRBlocks: 11
; VGPRBlocks: 7
; NumSGPRsForWavesPerEU: 96
; NumVGPRsForWavesPerEU: 60
; AccumOffset: 60
; Occupancy: 8
; WaveLimiterHint : 1
; COMPUTE_PGM_RSRC2:SCRATCH_EN: 0
; COMPUTE_PGM_RSRC2:USER_SGPR: 6
; COMPUTE_PGM_RSRC2:TRAP_HANDLER: 0
; COMPUTE_PGM_RSRC2:TGID_X_EN: 1
; COMPUTE_PGM_RSRC2:TGID_Y_EN: 0
; COMPUTE_PGM_RSRC2:TGID_Z_EN: 0
; COMPUTE_PGM_RSRC2:TIDIG_COMP_CNT: 0
; COMPUTE_PGM_RSRC3_GFX90A:ACCUM_OFFSET: 14
; COMPUTE_PGM_RSRC3_GFX90A:TG_SPLIT: 0
	.section	.text._ZN2at6native12_GLOBAL__N_16kernel17lstm_cell_forwardIddlLi2EEEvNS_4cuda6detail10TensorInfoIT_T1_EES9_S9_S9_S9_S9_S9_S9_S8_S8_,"axG",@progbits,_ZN2at6native12_GLOBAL__N_16kernel17lstm_cell_forwardIddlLi2EEEvNS_4cuda6detail10TensorInfoIT_T1_EES9_S9_S9_S9_S9_S9_S9_S8_S8_,comdat
	.globl	_ZN2at6native12_GLOBAL__N_16kernel17lstm_cell_forwardIddlLi2EEEvNS_4cuda6detail10TensorInfoIT_T1_EES9_S9_S9_S9_S9_S9_S9_S8_S8_ ; -- Begin function _ZN2at6native12_GLOBAL__N_16kernel17lstm_cell_forwardIddlLi2EEEvNS_4cuda6detail10TensorInfoIT_T1_EES9_S9_S9_S9_S9_S9_S9_S8_S8_
	.p2align	8
	.type	_ZN2at6native12_GLOBAL__N_16kernel17lstm_cell_forwardIddlLi2EEEvNS_4cuda6detail10TensorInfoIT_T1_EES9_S9_S9_S9_S9_S9_S9_S8_S8_,@function
_ZN2at6native12_GLOBAL__N_16kernel17lstm_cell_forwardIddlLi2EEEvNS_4cuda6detail10TensorInfoIT_T1_EES9_S9_S9_S9_S9_S9_S9_S8_S8_: ; @_ZN2at6native12_GLOBAL__N_16kernel17lstm_cell_forwardIddlLi2EEEvNS_4cuda6detail10TensorInfoIT_T1_EES9_S9_S9_S9_S9_S9_S9_S8_S8_
; %bb.0:
	s_load_dword s2, s[4:5], 0xd1c
	s_load_dwordx4 s[8:11], s[4:5], 0xd00
	s_add_u32 s0, s4, 0xd10
	s_addc_u32 s1, s5, 0
	v_mov_b32_e32 v2, 0
	s_waitcnt lgkmcnt(0)
	s_and_b32 s7, s2, 0xffff
	s_mul_i32 s6, s6, s7
	v_add_u32_e32 v0, s6, v0
	v_mov_b32_e32 v1, v2
	v_cmp_gt_i64_e32 vcc, s[10:11], v[0:1]
	s_and_saveexec_b64 s[2:3], vcc
	s_cbranch_execz .LBB3_69
; %bb.1:
	s_load_dwordx2 s[2:3], s[4:5], 0x0
	s_load_dwordx2 s[34:35], s[4:5], 0x10
	s_load_dwordx4 s[12:15], s[4:5], 0xd0
	s_load_dwordx2 s[36:37], s[4:5], 0x1a0
	s_load_dwordx2 s[38:39], s[4:5], 0x1b0
	s_load_dwordx4 s[16:19], s[4:5], 0x270
	s_load_dwordx2 s[30:31], s[4:5], 0x340
	s_load_dwordx2 s[42:43], s[4:5], 0x410
	;; [unrolled: 1-line block ×3, first 2 shown]
                                        ; implicit-def: $vgpr64 : SGPR spill to VGPR lane
	v_cvt_f32_u32_e32 v3, s8
	s_load_dwordx2 s[58:59], s[4:5], 0x9d0
	s_mov_b32 s52, 0xfefa39ef
	s_mov_b32 s76, 0x6a5dcb37
	s_waitcnt lgkmcnt(0)
	v_writelane_b32 v64, s20, 0
	v_writelane_b32 v64, s21, 1
	s_load_dwordx2 s[46:47], s[4:5], 0x5b0
	s_load_dwordx2 s[20:21], s[4:5], 0x680
	v_rcp_iflag_f32_e32 v3, v3
	s_mov_b32 s78, 0x623fde64
	s_mov_b32 s80, 0x7c89e6b0
	;; [unrolled: 1-line block ×3, first 2 shown]
	s_waitcnt lgkmcnt(0)
	v_writelane_b32 v64, s20, 2
	v_writelane_b32 v64, s21, 3
	s_load_dwordx2 s[50:51], s[4:5], 0x690
	s_load_dwordx4 s[20:23], s[4:5], 0x750
	s_load_dwordx2 s[24:25], s[4:5], 0x820
	v_mul_f32_e32 v3, 0x4f7ffffe, v3
	v_cvt_u32_f32_e32 v60, v3
	s_mov_b32 s84, 0x1852b7b0
	s_mov_b32 s86, 0x11122322
	s_waitcnt lgkmcnt(0)
	v_writelane_b32 v64, s24, 4
	v_writelane_b32 v64, s25, 5
	s_load_dwordx2 s[54:55], s[4:5], 0x830
	s_load_dwordx4 s[24:27], s[4:5], 0x8f0
	s_nop 0
	s_load_dword s0, s[0:1], 0x0
	s_nop 0
	s_load_dwordx2 s[28:29], s[4:5], 0x9c0
	s_mul_hi_u32 s1, s8, 3
	s_mov_b32 s88, 0x555502a1
	s_mov_b32 s90, 0x55555511
	s_waitcnt lgkmcnt(0)
	s_mul_i32 s0, s0, s7
	v_writelane_b32 v64, s28, 6
	v_writelane_b32 v64, s29, 7
	;; [unrolled: 1-line block ×3, first 2 shown]
	s_cmp_lg_u64 s[30:31], 0
	v_writelane_b32 v64, s31, 9
	s_cselect_b64 s[28:29], -1, 0
	v_writelane_b32 v64, s28, 10
	v_writelane_b32 v64, s29, 11
	v_writelane_b32 v64, s0, 12
	s_mul_i32 s0, s9, 3
	s_add_i32 s0, s1, s0
	v_writelane_b32 v64, s0, 13
	s_sub_u32 s0, 0, s8
	v_writelane_b32 v64, s0, 14
	s_subb_u32 s0, 0, s9
	s_load_dwordx2 s[62:63], s[4:5], 0xb60
	s_load_dwordx4 s[28:31], s[4:5], 0xa90
	s_load_dwordx2 s[64:65], s[4:5], 0xb70
	s_nop 0
	s_load_dwordx4 s[4:7], s[4:5], 0xc30
	v_writelane_b32 v64, s0, 15
	s_sub_u32 s0, 0, s50
	v_writelane_b32 v64, s0, 16
	s_subb_u32 s0, 0, s51
	s_sub_u32 s33, 0, s54
	v_writelane_b32 v64, s0, 17
	s_subb_u32 s0, 0, s55
	v_writelane_b32 v64, s0, 18
	s_sub_u32 s0, 0, s58
	s_mov_b32 s92, 11
	s_mov_b32 s74, 0
	s_mov_b32 s94, 0xf97b57a0
	s_mov_b32 s44, 0
	s_mul_i32 s68, s8, 3
	v_writelane_b32 v64, s0, 19
	s_subb_u32 s0, 0, s59
	v_mov_b32_e32 v61, 0x3ff00000
	s_mov_b64 s[66:67], 0
	s_mov_b32 s53, 0xbfe62e42
	s_mov_b32 s77, 0x3e5ade15
	s_mov_b32 s79, 0x3ec71dee
	s_mov_b32 s81, 0x3efa0199
	s_mov_b32 s83, 0x3f2a01a0
	s_mov_b32 s85, 0x3f56c16c
	s_mov_b32 s87, 0x3f811111
	s_mov_b32 s89, 0x3fa55555
	s_mov_b32 s91, 0x3fc55555
	s_mov_b32 s93, 0x3fe00000
	s_mov_b32 s69, 0x3ff71547
	s_mov_b32 s70, 0xfefa3000
	s_mov_b32 s75, 0xc0900000
	s_mov_b32 s95, 0x3ac9cc01
	s_mov_b32 s45, 0x40331000
	v_writelane_b32 v64, s0, 20
	s_branch .LBB3_3
.LBB3_2:                                ;   in Loop: Header=BB3_3 Depth=1
	v_readlane_b32 s1, v64, 19
	v_readlane_b32 s0, v64, 20
	v_mul_lo_u32 v3, s1, v57
	v_mul_lo_u32 v62, s0, v56
	v_mad_u64_u32 v[8:9], s[0:1], s1, v56, v[0:1]
	v_add3_u32 v3, v62, v9, v3
	v_mul_lo_u32 v3, v3, s30
	v_mul_lo_u32 v62, v8, s31
	v_mad_u64_u32 v[8:9], s[0:1], v8, s30, 0
	v_add3_u32 v9, v9, v62, v3
	;; [unrolled: 4-line block ×3, first 2 shown]
	v_readlane_b32 s0, v64, 6
	v_lshlrev_b64 v[56:57], 3, v[56:57]
	v_readlane_b32 s1, v64, 7
	v_mov_b32_e32 v3, s1
	v_add_co_u32_e32 v56, vcc, s0, v56
	v_addc_co_u32_e32 v3, vcc, v3, v57, vcc
	v_lshlrev_b64 v[8:9], 3, v[8:9]
	v_add_co_u32_e32 v8, vcc, v56, v8
	v_readlane_b32 s0, v64, 18
	v_addc_co_u32_e32 v9, vcc, v3, v9, vcc
	v_mul_lo_u32 v3, s33, v37
	v_mul_lo_u32 v62, s0, v36
	v_mad_u64_u32 v[56:57], s[0:1], s33, v36, v[0:1]
	v_add3_u32 v3, v62, v57, v3
	v_mul_lo_u32 v3, v3, s26
	v_mul_lo_u32 v62, v56, s27
	v_mad_u64_u32 v[56:57], s[0:1], v56, s26, 0
	v_add3_u32 v57, v57, v62, v3
	;; [unrolled: 4-line block ×3, first 2 shown]
	v_readlane_b32 s0, v64, 4
	v_lshlrev_b64 v[36:37], 3, v[36:37]
	v_readlane_b32 s1, v64, 5
	v_mov_b32_e32 v3, s1
	v_add_co_u32_e32 v62, vcc, s0, v36
	v_addc_co_u32_e32 v3, vcc, v3, v37, vcc
	v_lshlrev_b64 v[36:37], 3, v[56:57]
	v_add_co_u32_e32 v36, vcc, v62, v36
	v_addc_co_u32_e32 v37, vcc, v3, v37, vcc
	v_mul_lo_u32 v3, v41, s64
	v_mul_lo_u32 v62, v40, s65
	v_mad_u64_u32 v[56:57], s[0:1], v40, s64, 0
	v_add3_u32 v3, v57, v62, v3
	v_sub_co_u32_e32 v20, vcc, v20, v56
	v_subb_co_u32_e32 v3, vcc, v21, v3, vcc
	v_add_co_u32_e32 v20, vcc, v0, v20
	v_addc_co_u32_e32 v3, vcc, v1, v3, vcc
	v_mul_lo_u32 v3, v3, s6
	v_mul_lo_u32 v56, v20, s7
	v_mad_u64_u32 v[20:21], s[0:1], v20, s6, 0
	v_add3_u32 v21, v21, v56, v3
	v_mul_lo_u32 v3, v41, s4
	v_mul_lo_u32 v56, v40, s5
	v_mad_u64_u32 v[40:41], s[0:1], v40, s4, 0
	v_add3_u32 v41, v41, v56, v3
	v_lshlrev_b64 v[40:41], 3, v[40:41]
	v_mov_b32_e32 v3, s63
	v_add_co_u32_e32 v40, vcc, s62, v40
	v_addc_co_u32_e32 v41, vcc, v3, v41, vcc
	v_lshlrev_b64 v[20:21], 3, v[20:21]
	v_add_co_u32_e32 v20, vcc, v40, v20
	v_addc_co_u32_e32 v21, vcc, v41, v21, vcc
	v_mul_lo_u32 v56, v33, s64
	v_mul_lo_u32 v57, v32, s65
	v_mad_u64_u32 v[40:41], s[0:1], v32, s64, 0
	v_add3_u32 v41, v41, v57, v56
	v_sub_co_u32_e32 v18, vcc, v18, v40
	v_subb_co_u32_e32 v19, vcc, v19, v41, vcc
	v_add_co_u32_e32 v18, vcc, v0, v18
	v_addc_co_u32_e32 v19, vcc, v1, v19, vcc
	v_mul_lo_u32 v40, v19, s6
	v_mul_lo_u32 v41, v18, s7
	v_mad_u64_u32 v[18:19], s[0:1], v18, s6, 0
	v_add3_u32 v19, v19, v41, v40
	v_mul_lo_u32 v40, v33, s4
	v_mul_lo_u32 v41, v32, s5
	v_mad_u64_u32 v[32:33], s[0:1], v32, s4, 0
	v_add3_u32 v33, v33, v41, v40
	v_lshlrev_b64 v[32:33], 3, v[32:33]
	v_add_co_u32_e32 v32, vcc, s62, v32
	v_addc_co_u32_e32 v33, vcc, v3, v33, vcc
	v_lshlrev_b64 v[18:19], 3, v[18:19]
	v_add_co_u32_e32 v18, vcc, v32, v18
	v_addc_co_u32_e32 v19, vcc, v33, v19, vcc
	v_mul_lo_u32 v40, v31, s64
	v_mul_lo_u32 v41, v30, s65
	v_mad_u64_u32 v[32:33], s[0:1], v30, s64, 0
	v_add3_u32 v33, v33, v41, v40
	v_sub_co_u32_e32 v12, vcc, v12, v32
	v_subb_co_u32_e32 v13, vcc, v13, v33, vcc
	v_add_co_u32_e32 v12, vcc, v0, v12
	v_addc_co_u32_e32 v13, vcc, v1, v13, vcc
	v_mul_lo_u32 v32, v13, s6
	v_mul_lo_u32 v33, v12, s7
	v_mad_u64_u32 v[12:13], s[0:1], v12, s6, 0
	v_add3_u32 v13, v13, v33, v32
	v_mul_lo_u32 v32, v31, s4
	v_mul_lo_u32 v33, v30, s5
	v_mad_u64_u32 v[30:31], s[0:1], v30, s4, 0
	v_add3_u32 v31, v31, v33, v32
	v_lshlrev_b64 v[30:31], 3, v[30:31]
	v_add_co_u32_e32 v30, vcc, s62, v30
	v_addc_co_u32_e32 v31, vcc, v3, v31, vcc
	v_lshlrev_b64 v[12:13], 3, v[12:13]
	v_add_co_u32_e32 v12, vcc, v30, v12
	v_addc_co_u32_e32 v13, vcc, v31, v13, vcc
	v_mul_lo_u32 v32, v39, s64
	v_mul_lo_u32 v33, v38, s65
	v_mad_u64_u32 v[30:31], s[0:1], v38, s64, 0
	v_add3_u32 v31, v31, v33, v32
	v_sub_co_u32_e32 v4, vcc, v4, v30
	v_subb_co_u32_e32 v5, vcc, v5, v31, vcc
	v_add_co_u32_e32 v4, vcc, v0, v4
	v_addc_co_u32_e32 v5, vcc, v1, v5, vcc
	v_mul_lo_u32 v30, v5, s6
	v_mul_lo_u32 v31, v4, s7
	v_mad_u64_u32 v[4:5], s[0:1], v4, s6, 0
	v_add3_u32 v5, v5, v31, v30
	v_mul_lo_u32 v32, v39, s4
	v_mul_lo_u32 v33, v38, s5
	v_mad_u64_u32 v[30:31], s[0:1], v38, s4, 0
	s_waitcnt vmcnt(4)
	v_add_f64 v[6:7], v[6:7], v[22:23]
	v_add3_u32 v31, v31, v33, v32
	v_add_f64 v[6:7], v[6:7], v[54:55]
	s_mov_b32 s48, 0x652b82fe
	v_lshlrev_b64 v[30:31], 3, v[30:31]
	s_waitcnt vmcnt(3)
	v_add_f64 v[6:7], v[58:59], v[6:7]
	s_mov_b32 s49, 0xbff71547
	v_add_co_u32_e32 v40, vcc, s62, v30
	v_mul_f64 v[22:23], v[6:7], s[48:49]
	v_addc_co_u32_e32 v3, vcc, v3, v31, vcc
	v_rndne_f64_e32 v[30:31], v[22:23]
	s_mov_b32 s56, 0x3b39803f
	s_mov_b32 s0, 0xfca7ab0c
	v_fma_f64 v[32:33], v[30:31], s[52:53], -v[6:7]
	s_mov_b32 s57, 0xbc7abc9e
	s_mov_b32 s1, 0x3e928af3
	v_fmac_f64_e32 v[32:33], s[56:57], v[30:31]
	v_pk_mov_b32 v[22:23], s[0:1], s[0:1] op_sel:[0,1]
	v_fma_f64 v[38:39], s[76:77], v[32:33], v[22:23]
	v_fma_f64 v[38:39], v[32:33], v[38:39], s[78:79]
	;; [unrolled: 1-line block ×9, first 2 shown]
	v_fma_f64 v[38:39], v[32:33], v[38:39], 1.0
	v_fma_f64 v[32:33], v[32:33], v[38:39], 1.0
	v_cvt_i32_f64_e32 v30, v[30:31]
	v_ldexp_f64 v[30:31], v[32:33], v30
	v_add_f64 v[30:31], v[30:31], 1.0
	v_div_scale_f64 v[32:33], s[0:1], v[30:31], v[30:31], 1.0
	v_rcp_f64_e32 v[38:39], v[32:33]
	v_lshlrev_b64 v[4:5], 3, v[4:5]
	v_add_co_u32_e32 v4, vcc, v40, v4
	v_fma_f64 v[40:41], -v[32:33], v[38:39], 1.0
	v_fmac_f64_e32 v[38:39], v[38:39], v[40:41]
	v_addc_co_u32_e32 v5, vcc, v3, v5, vcc
	v_fma_f64 v[40:41], -v[32:33], v[38:39], 1.0
	v_add_f64 v[10:11], v[10:11], v[24:25]
	v_fmac_f64_e32 v[38:39], v[38:39], v[40:41]
	v_div_scale_f64 v[40:41], vcc, 1.0, v[30:31], 1.0
	v_add_f64 v[10:11], v[10:11], v[50:51]
	v_mul_f64 v[54:55], v[40:41], v[38:39]
	s_waitcnt vmcnt(2)
	v_add_f64 v[10:11], v[52:53], v[10:11]
	v_fma_f64 v[32:33], -v[32:33], v[54:55], v[40:41]
	v_mul_f64 v[24:25], v[10:11], s[48:49]
	v_div_fmas_f64 v[32:33], v[32:33], v[38:39], v[54:55]
	v_rndne_f64_e32 v[24:25], v[24:25]
	v_div_fixup_f64 v[30:31], v[32:33], v[30:31], 1.0
	v_fma_f64 v[32:33], v[24:25], s[52:53], -v[10:11]
	v_fmac_f64_e32 v[32:33], s[56:57], v[24:25]
	v_fma_f64 v[38:39], s[76:77], v[32:33], v[22:23]
	v_fma_f64 v[38:39], v[32:33], v[38:39], s[78:79]
	;; [unrolled: 1-line block ×9, first 2 shown]
	v_fma_f64 v[38:39], v[32:33], v[38:39], 1.0
	v_fma_f64 v[32:33], v[32:33], v[38:39], 1.0
	v_cvt_i32_f64_e32 v24, v[24:25]
	v_ldexp_f64 v[24:25], v[32:33], v24
	v_add_f64 v[24:25], v[24:25], 1.0
	v_div_scale_f64 v[32:33], s[0:1], v[24:25], v[24:25], 1.0
	v_rcp_f64_e32 v[38:39], v[32:33]
	s_mov_b32 s40, 0
	s_mov_b32 s41, 0x4090cc00
	v_cmp_ngt_f64_e32 vcc, s[74:75], v[6:7]
	v_cmp_nlt_f64_e64 s[0:1], s[40:41], v[6:7]
	v_cndmask_b32_e32 v3, 0, v31, vcc
	s_and_b64 vcc, s[0:1], vcc
	v_cndmask_b32_e32 v6, 0, v30, vcc
	v_fma_f64 v[30:31], -v[32:33], v[38:39], 1.0
	v_fmac_f64_e32 v[38:39], v[38:39], v[30:31]
	v_fma_f64 v[30:31], -v[32:33], v[38:39], 1.0
	v_fmac_f64_e32 v[38:39], v[38:39], v[30:31]
	v_div_scale_f64 v[30:31], vcc, 1.0, v[24:25], 1.0
	v_mul_f64 v[40:41], v[30:31], v[38:39]
	v_fma_f64 v[30:31], -v[32:33], v[40:41], v[30:31]
	v_add_f64 v[14:15], v[14:15], v[26:27]
	s_nop 0
	v_div_fmas_f64 v[30:31], v[30:31], v[38:39], v[40:41]
	v_cndmask_b32_e64 v7, v61, v3, s[0:1]
	v_div_fixup_f64 v[24:25], v[30:31], v[24:25], 1.0
	v_cmp_ngt_f64_e32 vcc, s[74:75], v[10:11]
	v_cmp_nlt_f64_e64 s[0:1], s[40:41], v[10:11]
	v_add_f64 v[14:15], v[14:15], v[46:47]
	v_cndmask_b32_e32 v3, 0, v25, vcc
	s_and_b64 vcc, s[0:1], vcc
	s_waitcnt vmcnt(1)
	v_add_f64 v[14:15], v[48:49], v[14:15]
	s_mov_b32 s68, s48
	v_cndmask_b32_e32 v10, 0, v24, vcc
	v_mul_f64 v[24:25], |v[14:15]|, s[68:69]
	v_rndne_f64_e32 v[24:25], v[24:25]
	s_mov_b32 s71, s53
	s_mov_b32 s72, 0xf278e000
	v_fma_f64 v[26:27], v[24:25], s[70:71], |v[14:15]|
	s_mov_b32 s73, 0x3d53de6a
	v_add_f64 v[30:31], v[26:27], 0
	v_mul_f64 v[32:33], v[24:25], s[72:73]
	v_add_f64 v[38:39], v[30:31], -v[32:33]
	v_add_f64 v[26:27], v[26:27], -v[30:31]
	;; [unrolled: 1-line block ×3, first 2 shown]
	v_add_f64 v[26:27], v[26:27], 0
	v_add_f64 v[30:31], v[30:31], -v[32:33]
	v_add_f64 v[26:27], v[26:27], v[30:31]
	v_add_f64 v[30:31], v[38:39], v[26:27]
	v_add_f64 v[32:33], v[38:39], -v[30:31]
	v_add_f64 v[26:27], v[26:27], v[32:33]
	v_mul_f64 v[32:33], v[24:25], s[94:95]
	v_add_f64 v[38:39], v[30:31], -v[32:33]
	v_add_f64 v[30:31], v[30:31], -v[38:39]
	;; [unrolled: 1-line block ×3, first 2 shown]
	v_add_f64 v[26:27], v[26:27], v[30:31]
	v_add_f64 v[30:31], v[38:39], v[26:27]
	v_add_f64 v[32:33], v[38:39], -v[30:31]
	v_add_f64 v[26:27], v[26:27], v[32:33]
	v_fma_f64 v[32:33], s[76:77], v[30:31], v[22:23]
	v_fma_f64 v[32:33], v[30:31], v[32:33], s[78:79]
	;; [unrolled: 1-line block ×5, first 2 shown]
	v_mul_f64 v[38:39], v[30:31], v[30:31]
	v_fma_f64 v[32:33], v[30:31], v[32:33], s[86:87]
	v_fma_f64 v[40:41], v[30:31], v[30:31], -v[38:39]
	v_add_f64 v[46:47], v[26:27], v[26:27]
	v_fma_f64 v[32:33], v[30:31], v[32:33], s[88:89]
	v_fmac_f64_e32 v[40:41], v[30:31], v[46:47]
	v_fma_f64 v[32:33], v[30:31], v[32:33], s[90:91]
	v_add_f64 v[46:47], v[38:39], v[40:41]
	v_fma_f64 v[32:33], v[30:31], v[32:33], s[92:93]
	v_add_f64 v[38:39], v[46:47], -v[38:39]
	v_add_f64 v[38:39], v[40:41], -v[38:39]
	v_mul_f64 v[40:41], v[46:47], v[32:33]
	v_fma_f64 v[46:47], v[46:47], v[32:33], -v[40:41]
	v_fmac_f64_e32 v[46:47], v[38:39], v[32:33]
	v_add_f64 v[32:33], v[40:41], v[46:47]
	v_add_f64 v[38:39], v[32:33], -v[40:41]
	v_add_f64 v[40:41], v[30:31], v[32:33]
	v_add_f64 v[38:39], v[46:47], -v[38:39]
	v_add_f64 v[30:31], v[40:41], -v[30:31]
	;; [unrolled: 1-line block ×3, first 2 shown]
	v_add_f64 v[26:27], v[26:27], v[38:39]
	v_add_f64 v[26:27], v[26:27], v[30:31]
	;; [unrolled: 1-line block ×3, first 2 shown]
	v_add_f64 v[32:33], v[30:31], -v[40:41]
	v_add_f64 v[26:27], v[26:27], -v[32:33]
	v_add_f64 v[32:33], v[30:31], 1.0
	v_add_f64 v[38:39], v[32:33], -1.0
	v_add_f64 v[30:31], v[30:31], -v[38:39]
	v_add_f64 v[26:27], v[26:27], v[30:31]
	v_add_f64 v[30:31], v[32:33], v[26:27]
	v_cvt_i32_f64_e32 v40, v[24:25]
	v_ldexp_f64 v[24:25], v[30:31], v40
	v_rcp_f64_e32 v[38:39], v[24:25]
	v_add_f64 v[30:31], v[30:31], -v[32:33]
	v_add_f64 v[26:27], v[26:27], -v[30:31]
	v_ldexp_f64 v[26:27], v[26:27], v40
	v_fma_f64 v[30:31], -v[24:25], v[38:39], 1.0
	v_fmac_f64_e32 v[38:39], v[30:31], v[38:39]
	v_fma_f64 v[30:31], -v[24:25], v[38:39], 1.0
	v_fmac_f64_e32 v[38:39], v[30:31], v[38:39]
	v_mul_f64 v[30:31], v[24:25], v[38:39]
	v_fma_f64 v[32:33], v[38:39], v[24:25], -v[30:31]
	v_fmac_f64_e32 v[32:33], v[38:39], v[26:27]
	v_add_f64 v[40:41], v[30:31], v[32:33]
	v_add_f64 v[46:47], -v[40:41], 1.0
	v_add_f64 v[30:31], v[40:41], -v[30:31]
	v_add_f64 v[48:49], -v[46:47], 1.0
	v_add_f64 v[40:41], v[48:49], -v[40:41]
	v_add_f64 v[30:31], v[30:31], -v[32:33]
	v_add_f64 v[30:31], v[30:31], v[40:41]
	v_add_f64 v[32:33], v[46:47], v[30:31]
	v_add_f64 v[40:41], v[46:47], -v[32:33]
	v_add_f64 v[30:31], v[30:31], v[40:41]
	v_mul_f64 v[40:41], v[38:39], v[32:33]
	v_mul_f64 v[46:47], v[24:25], v[40:41]
	v_fma_f64 v[48:49], v[40:41], v[24:25], -v[46:47]
	v_fmac_f64_e32 v[48:49], v[40:41], v[26:27]
	v_add_f64 v[50:51], v[46:47], v[48:49]
	v_add_f64 v[52:53], v[32:33], -v[50:51]
	v_add_f64 v[32:33], v[32:33], -v[52:53]
	;; [unrolled: 1-line block ×4, first 2 shown]
	v_add_f64 v[30:31], v[30:31], v[32:33]
	v_add_f64 v[32:33], v[46:47], -v[48:49]
	v_add_f64 v[30:31], v[32:33], v[30:31]
	v_add_f64 v[30:31], v[52:53], v[30:31]
	;; [unrolled: 1-line block ×3, first 2 shown]
	v_mul_f64 v[30:31], v[38:39], v[30:31]
	v_add_f64 v[38:39], v[32:33], -v[38:39]
	v_add_f64 v[38:39], v[40:41], -v[38:39]
	v_add_f64 v[30:31], v[38:39], v[30:31]
	v_add_f64 v[38:39], v[32:33], v[30:31]
	v_add_f64 v[32:33], v[38:39], -v[32:33]
	v_add_f64 v[30:31], v[30:31], -v[32:33]
	;; [unrolled: 1-line block ×4, first 2 shown]
	v_add_f64 v[48:49], v[24:25], v[38:39]
	v_add_f64 v[40:41], v[40:41], -v[38:39]
	v_add_f64 v[24:25], v[48:49], -v[24:25]
	v_add_f64 v[40:41], v[26:27], v[40:41]
	v_add_f64 v[24:25], v[38:39], -v[24:25]
	v_add_f64 v[26:27], v[26:27], v[30:31]
	v_add_f64 v[24:25], v[26:27], v[24:25]
	;; [unrolled: 1-line block ×3, first 2 shown]
	v_add_f64 v[40:41], v[40:41], -v[30:31]
	v_rcp_f64_e32 v[30:31], v[26:27]
	v_add_f64 v[38:39], v[26:27], -v[48:49]
	v_add_f64 v[24:25], v[24:25], -v[38:39]
	v_add_f64 v[46:47], v[32:33], v[40:41]
	v_fma_f64 v[38:39], -v[26:27], v[30:31], 1.0
	v_fmac_f64_e32 v[30:31], v[38:39], v[30:31]
	v_fma_f64 v[38:39], -v[26:27], v[30:31], 1.0
	v_fmac_f64_e32 v[30:31], v[38:39], v[30:31]
	v_add_f64 v[32:33], v[46:47], -v[32:33]
	v_mul_f64 v[38:39], v[46:47], v[30:31]
	v_add_f64 v[32:33], v[40:41], -v[32:33]
	v_mul_f64 v[40:41], v[26:27], v[38:39]
	v_fma_f64 v[26:27], v[38:39], v[26:27], -v[40:41]
	v_fmac_f64_e32 v[26:27], v[38:39], v[24:25]
	v_add_f64 v[24:25], v[40:41], v[26:27]
	v_add_f64 v[40:41], v[24:25], -v[40:41]
	v_add_f64 v[26:27], v[26:27], -v[40:41]
	;; [unrolled: 1-line block ×6, first 2 shown]
	v_add_f64 v[24:25], v[32:33], v[24:25]
	v_add_f64 v[24:25], v[40:41], v[24:25]
	;; [unrolled: 1-line block ×3, first 2 shown]
	v_mul_f64 v[24:25], v[30:31], v[24:25]
	v_add_f64 v[16:17], v[16:17], v[42:43]
	v_add_f64 v[24:25], v[38:39], v[24:25]
	v_cmp_ngt_f64_e64 vcc, |v[14:15]|, s[44:45]
	s_waitcnt vmcnt(0)
	v_add_f64 v[16:17], v[44:45], v[16:17]
	v_cndmask_b32_e32 v30, v61, v25, vcc
	v_cndmask_b32_e32 v31, 0, v24, vcc
	v_mul_f64 v[24:25], v[16:17], s[48:49]
	v_rndne_f64_e32 v[24:25], v[24:25]
	v_fma_f64 v[26:27], v[24:25], s[52:53], -v[16:17]
	v_fmac_f64_e32 v[26:27], s[56:57], v[24:25]
	v_fma_f64 v[28:29], s[76:77], v[26:27], v[22:23]
	v_fma_f64 v[28:29], v[26:27], v[28:29], s[78:79]
	;; [unrolled: 1-line block ×9, first 2 shown]
	v_fma_f64 v[28:29], v[26:27], v[28:29], 1.0
	v_fma_f64 v[26:27], v[26:27], v[28:29], 1.0
	v_cvt_i32_f64_e32 v24, v[24:25]
	v_ldexp_f64 v[24:25], v[26:27], v24
	v_add_f64 v[24:25], v[24:25], 1.0
	v_cndmask_b32_e64 v11, v61, v3, s[0:1]
	v_div_scale_f64 v[26:27], s[0:1], v[24:25], v[24:25], 1.0
	v_rcp_f64_e32 v[28:29], v[26:27]
	s_mov_b32 s48, 0
	s_mov_b32 s49, 0x3e400000
	v_and_b32_e32 v3, 0x7fffffff, v15
	v_cmp_lt_f64_e64 vcc, |v[14:15]|, s[48:49]
	v_cndmask_b32_e32 v14, v31, v14, vcc
	v_cndmask_b32_e32 v3, v30, v3, vcc
	v_fma_f64 v[30:31], -v[26:27], v[28:29], 1.0
	v_fmac_f64_e32 v[28:29], v[28:29], v[30:31]
	v_fma_f64 v[30:31], -v[26:27], v[28:29], 1.0
	v_fmac_f64_e32 v[28:29], v[28:29], v[30:31]
	v_div_scale_f64 v[30:31], vcc, 1.0, v[24:25], 1.0
	v_mul_f64 v[32:33], v[30:31], v[28:29]
	v_fma_f64 v[26:27], -v[26:27], v[32:33], v[30:31]
	s_brev_b32 s56, -2
	s_nop 0
	v_div_fmas_f64 v[26:27], v[26:27], v[28:29], v[32:33]
	v_div_fixup_f64 v[24:25], v[26:27], v[24:25], 1.0
	v_cmp_ngt_f64_e32 vcc, s[74:75], v[16:17]
	v_cmp_nlt_f64_e64 s[0:1], s[40:41], v[16:17]
	v_bfi_b32 v15, s56, v3, v15
	v_cndmask_b32_e32 v3, 0, v25, vcc
	s_and_b64 vcc, s[0:1], vcc
	v_cndmask_b32_e32 v16, 0, v24, vcc
	v_mul_f64 v[24:25], v[6:7], v[14:15]
	v_fmac_f64_e32 v[24:25], v[34:35], v[10:11]
	v_mul_f64 v[26:27], |v[24:25]|, s[68:69]
	v_rndne_f64_e32 v[26:27], v[26:27]
	v_fma_f64 v[28:29], v[26:27], s[70:71], |v[24:25]|
	v_add_f64 v[30:31], v[28:29], 0
	v_mul_f64 v[32:33], v[26:27], s[72:73]
	v_add_f64 v[34:35], v[30:31], -v[32:33]
	v_add_f64 v[28:29], v[28:29], -v[30:31]
	;; [unrolled: 1-line block ×3, first 2 shown]
	v_add_f64 v[28:29], v[28:29], 0
	v_add_f64 v[30:31], v[30:31], -v[32:33]
	v_add_f64 v[28:29], v[28:29], v[30:31]
	v_add_f64 v[30:31], v[34:35], v[28:29]
	v_add_f64 v[32:33], v[34:35], -v[30:31]
	v_add_f64 v[28:29], v[28:29], v[32:33]
	v_mul_f64 v[32:33], v[26:27], s[94:95]
	v_add_f64 v[34:35], v[30:31], -v[32:33]
	v_add_f64 v[30:31], v[30:31], -v[34:35]
	;; [unrolled: 1-line block ×3, first 2 shown]
	v_add_f64 v[28:29], v[28:29], v[30:31]
	v_add_f64 v[30:31], v[34:35], v[28:29]
	v_fma_f64 v[22:23], s[76:77], v[30:31], v[22:23]
	v_fma_f64 v[22:23], v[30:31], v[22:23], s[78:79]
	;; [unrolled: 1-line block ×3, first 2 shown]
	v_add_f64 v[32:33], v[34:35], -v[30:31]
	v_fma_f64 v[22:23], v[30:31], v[22:23], s[82:83]
	v_add_f64 v[28:29], v[28:29], v[32:33]
	v_fma_f64 v[22:23], v[30:31], v[22:23], s[84:85]
	v_mul_f64 v[32:33], v[30:31], v[30:31]
	v_fma_f64 v[22:23], v[30:31], v[22:23], s[86:87]
	v_fma_f64 v[34:35], v[30:31], v[30:31], -v[32:33]
	v_add_f64 v[38:39], v[28:29], v[28:29]
	v_fma_f64 v[22:23], v[30:31], v[22:23], s[88:89]
	v_fmac_f64_e32 v[34:35], v[30:31], v[38:39]
	v_fma_f64 v[22:23], v[30:31], v[22:23], s[90:91]
	v_add_f64 v[38:39], v[32:33], v[34:35]
	v_fma_f64 v[22:23], v[30:31], v[22:23], s[92:93]
	v_add_f64 v[32:33], v[38:39], -v[32:33]
	v_add_f64 v[32:33], v[34:35], -v[32:33]
	v_mul_f64 v[34:35], v[38:39], v[22:23]
	v_fma_f64 v[38:39], v[38:39], v[22:23], -v[34:35]
	v_fmac_f64_e32 v[38:39], v[32:33], v[22:23]
	v_add_f64 v[22:23], v[34:35], v[38:39]
	v_add_f64 v[32:33], v[22:23], -v[34:35]
	v_add_f64 v[34:35], v[30:31], v[22:23]
	v_add_f64 v[32:33], v[38:39], -v[32:33]
	v_add_f64 v[30:31], v[34:35], -v[30:31]
	;; [unrolled: 1-line block ×3, first 2 shown]
	v_add_f64 v[28:29], v[28:29], v[32:33]
	v_add_f64 v[22:23], v[28:29], v[22:23]
	;; [unrolled: 1-line block ×3, first 2 shown]
	v_add_f64 v[30:31], v[28:29], -v[34:35]
	v_add_f64 v[22:23], v[22:23], -v[30:31]
	v_add_f64 v[30:31], v[28:29], 1.0
	v_add_f64 v[32:33], v[30:31], -1.0
	v_add_f64 v[28:29], v[28:29], -v[32:33]
	v_add_f64 v[22:23], v[22:23], v[28:29]
	v_add_f64 v[28:29], v[30:31], v[22:23]
	v_cvt_i32_f64_e32 v34, v[26:27]
	v_ldexp_f64 v[26:27], v[28:29], v34
	v_rcp_f64_e32 v[32:33], v[26:27]
	v_add_f64 v[28:29], v[28:29], -v[30:31]
	v_add_f64 v[22:23], v[22:23], -v[28:29]
	v_ldexp_f64 v[22:23], v[22:23], v34
	v_fma_f64 v[28:29], -v[26:27], v[32:33], 1.0
	v_fmac_f64_e32 v[32:33], v[28:29], v[32:33]
	v_fma_f64 v[28:29], -v[26:27], v[32:33], 1.0
	v_fmac_f64_e32 v[32:33], v[28:29], v[32:33]
	v_mul_f64 v[28:29], v[26:27], v[32:33]
	v_fma_f64 v[30:31], v[32:33], v[26:27], -v[28:29]
	v_fmac_f64_e32 v[30:31], v[32:33], v[22:23]
	v_add_f64 v[34:35], v[28:29], v[30:31]
	v_add_f64 v[38:39], -v[34:35], 1.0
	v_add_f64 v[28:29], v[34:35], -v[28:29]
	v_add_f64 v[40:41], -v[38:39], 1.0
	v_add_f64 v[34:35], v[40:41], -v[34:35]
	v_add_f64 v[28:29], v[28:29], -v[30:31]
	v_add_f64 v[28:29], v[28:29], v[34:35]
	v_add_f64 v[30:31], v[38:39], v[28:29]
	v_add_f64 v[34:35], v[38:39], -v[30:31]
	v_add_f64 v[28:29], v[28:29], v[34:35]
	v_mul_f64 v[34:35], v[32:33], v[30:31]
	v_mul_f64 v[38:39], v[26:27], v[34:35]
	v_fma_f64 v[40:41], v[34:35], v[26:27], -v[38:39]
	v_fmac_f64_e32 v[40:41], v[34:35], v[22:23]
	v_add_f64 v[42:43], v[38:39], v[40:41]
	v_add_f64 v[44:45], v[30:31], -v[42:43]
	v_add_f64 v[30:31], v[30:31], -v[44:45]
	;; [unrolled: 1-line block ×4, first 2 shown]
	v_add_f64 v[28:29], v[28:29], v[30:31]
	v_add_f64 v[30:31], v[38:39], -v[40:41]
	v_add_f64 v[28:29], v[30:31], v[28:29]
	v_add_f64 v[28:29], v[44:45], v[28:29]
	;; [unrolled: 1-line block ×3, first 2 shown]
	v_mul_f64 v[28:29], v[32:33], v[28:29]
	v_add_f64 v[32:33], v[30:31], -v[32:33]
	v_add_f64 v[32:33], v[34:35], -v[32:33]
	v_add_f64 v[28:29], v[32:33], v[28:29]
	v_add_f64 v[32:33], v[30:31], v[28:29]
	v_add_f64 v[30:31], v[32:33], -v[30:31]
	v_add_f64 v[28:29], v[28:29], -v[30:31]
	;; [unrolled: 1-line block ×4, first 2 shown]
	v_add_f64 v[40:41], v[26:27], v[32:33]
	v_add_f64 v[34:35], v[34:35], -v[32:33]
	v_add_f64 v[26:27], v[40:41], -v[26:27]
	v_add_f64 v[34:35], v[22:23], v[34:35]
	v_add_f64 v[26:27], v[32:33], -v[26:27]
	v_add_f64 v[22:23], v[22:23], v[28:29]
	v_add_f64 v[22:23], v[22:23], v[26:27]
	;; [unrolled: 1-line block ×3, first 2 shown]
	v_add_f64 v[34:35], v[34:35], -v[28:29]
	v_rcp_f64_e32 v[28:29], v[26:27]
	v_add_f64 v[32:33], v[26:27], -v[40:41]
	v_add_f64 v[22:23], v[22:23], -v[32:33]
	v_add_f64 v[38:39], v[30:31], v[34:35]
	v_fma_f64 v[32:33], -v[26:27], v[28:29], 1.0
	v_fmac_f64_e32 v[28:29], v[32:33], v[28:29]
	v_fma_f64 v[32:33], -v[26:27], v[28:29], 1.0
	v_fmac_f64_e32 v[28:29], v[32:33], v[28:29]
	v_add_f64 v[30:31], v[38:39], -v[30:31]
	v_mul_f64 v[32:33], v[38:39], v[28:29]
	v_add_f64 v[30:31], v[34:35], -v[30:31]
	v_mul_f64 v[34:35], v[26:27], v[32:33]
	v_fma_f64 v[26:27], v[32:33], v[26:27], -v[34:35]
	v_fmac_f64_e32 v[26:27], v[32:33], v[22:23]
	v_add_f64 v[22:23], v[34:35], v[26:27]
	v_add_f64 v[34:35], v[22:23], -v[34:35]
	v_add_f64 v[26:27], v[26:27], -v[34:35]
	;; [unrolled: 1-line block ×6, first 2 shown]
	v_add_f64 v[22:23], v[30:31], v[22:23]
	v_add_f64 v[22:23], v[34:35], v[22:23]
	v_mul_f64 v[22:23], v[28:29], v[22:23]
	v_add_f64 v[22:23], v[32:33], v[22:23]
	v_cmp_ngt_f64_e64 vcc, |v[24:25]|, s[44:45]
	v_cndmask_b32_e64 v17, v61, v3, s[0:1]
	v_and_b32_e32 v3, 0x7fffffff, v25
	v_cndmask_b32_e32 v23, v61, v23, vcc
	v_cndmask_b32_e32 v22, 0, v22, vcc
	v_cmp_lt_f64_e64 vcc, |v[24:25]|, s[48:49]
	v_cndmask_b32_e32 v3, v23, v3, vcc
	s_mov_b32 s0, 0
	v_bfi_b32 v23, s56, v3, v25
	v_mov_b32_e32 v3, s0
	v_readlane_b32 s0, v64, 12
	v_cndmask_b32_e32 v22, v22, v24, vcc
	v_add_co_u32_e32 v0, vcc, s0, v0
	v_addc_co_u32_e32 v1, vcc, v1, v3, vcc
	v_cmp_le_i64_e32 vcc, s[10:11], v[0:1]
	v_mul_f64 v[22:23], v[16:17], v[22:23]
	s_or_b64 s[66:67], vcc, s[66:67]
	s_mov_b32 s68, s60
	global_store_dwordx2 v[36:37], v[22:23], off
	global_store_dwordx2 v[8:9], v[24:25], off
	;; [unrolled: 1-line block ×6, first 2 shown]
	s_andn2_b64 exec, exec, s[66:67]
	s_cbranch_execz .LBB3_69
.LBB3_3:                                ; =>This Inner Loop Header: Depth=1
	v_or_b32_e32 v3, s9, v1
	v_cmp_ne_u64_e32 vcc, 0, v[2:3]
	v_ashrrev_i32_e32 v42, 31, v1
                                        ; implicit-def: $vgpr8_vgpr9
	s_and_saveexec_b64 s[0:1], vcc
	s_xor_b64 s[56:57], exec, s[0:1]
	s_cbranch_execz .LBB3_5
; %bb.4:                                ;   in Loop: Header=BB3_3 Depth=1
	s_ashr_i32 s60, s9, 31
	s_add_u32 s0, s8, s60
	s_mov_b32 s61, s60
	s_addc_u32 s1, s9, s60
	s_xor_b64 s[72:73], s[0:1], s[60:61]
	v_cvt_f32_u32_e32 v3, s72
	v_cvt_f32_u32_e32 v4, s73
	s_sub_u32 s0, 0, s72
	s_subb_u32 s1, 0, s73
	v_mac_f32_e32 v3, 0x4f800000, v4
	v_rcp_f32_e32 v3, v3
	v_mul_f32_e32 v3, 0x5f7ffffc, v3
	v_mul_f32_e32 v4, 0x2f800000, v3
	v_trunc_f32_e32 v4, v4
	v_mac_f32_e32 v3, 0xcf800000, v4
	v_cvt_u32_f32_e32 v4, v4
	v_cvt_u32_f32_e32 v3, v3
	v_mul_lo_u32 v5, s0, v4
	v_mul_hi_u32 v7, s0, v3
	v_mul_lo_u32 v6, s1, v3
	v_add_u32_e32 v5, v7, v5
	v_mul_lo_u32 v8, s0, v3
	v_add_u32_e32 v5, v5, v6
	v_mul_lo_u32 v7, v3, v5
	v_mul_hi_u32 v9, v3, v8
	v_mul_hi_u32 v6, v3, v5
	v_add_co_u32_e32 v7, vcc, v9, v7
	v_addc_co_u32_e32 v6, vcc, 0, v6, vcc
	v_mul_hi_u32 v10, v4, v8
	v_mul_lo_u32 v8, v4, v8
	v_add_co_u32_e32 v7, vcc, v7, v8
	v_mul_hi_u32 v9, v4, v5
	v_addc_co_u32_e32 v6, vcc, v6, v10, vcc
	v_addc_co_u32_e32 v7, vcc, 0, v9, vcc
	v_mul_lo_u32 v5, v4, v5
	v_add_co_u32_e32 v5, vcc, v6, v5
	v_addc_co_u32_e32 v6, vcc, 0, v7, vcc
	v_add_co_u32_e32 v3, vcc, v3, v5
	v_addc_co_u32_e32 v4, vcc, v4, v6, vcc
	v_mul_lo_u32 v5, s0, v4
	v_mul_hi_u32 v6, s0, v3
	v_add_u32_e32 v5, v6, v5
	v_mul_lo_u32 v6, s1, v3
	v_add_u32_e32 v5, v5, v6
	v_mul_lo_u32 v7, s0, v3
	v_mul_hi_u32 v8, v4, v7
	v_mul_lo_u32 v9, v4, v7
	v_mul_lo_u32 v11, v3, v5
	v_mul_hi_u32 v7, v3, v7
	v_mul_hi_u32 v10, v3, v5
	v_add_co_u32_e32 v7, vcc, v7, v11
	v_addc_co_u32_e32 v10, vcc, 0, v10, vcc
	v_add_co_u32_e32 v7, vcc, v7, v9
	v_mul_hi_u32 v6, v4, v5
	v_addc_co_u32_e32 v7, vcc, v10, v8, vcc
	v_addc_co_u32_e32 v6, vcc, 0, v6, vcc
	v_mul_lo_u32 v5, v4, v5
	v_add_co_u32_e32 v5, vcc, v7, v5
	v_addc_co_u32_e32 v6, vcc, 0, v6, vcc
	v_add_co_u32_e32 v3, vcc, v3, v5
	v_addc_co_u32_e32 v6, vcc, v4, v6, vcc
	;; [unrolled: 2-line block ×3, first 2 shown]
	v_xor_b32_e32 v9, v4, v42
	v_xor_b32_e32 v8, v5, v42
	v_mad_u64_u32 v[4:5], s[0:1], v9, v6, 0
	v_mul_hi_u32 v7, v9, v3
	v_add_co_u32_e32 v10, vcc, v7, v4
	v_addc_co_u32_e32 v11, vcc, 0, v5, vcc
	v_mad_u64_u32 v[4:5], s[0:1], v8, v6, 0
	v_mad_u64_u32 v[6:7], s[0:1], v8, v3, 0
	v_add_co_u32_e32 v3, vcc, v10, v6
	v_addc_co_u32_e32 v3, vcc, v11, v7, vcc
	v_addc_co_u32_e32 v5, vcc, 0, v5, vcc
	v_add_co_u32_e32 v3, vcc, v3, v4
	v_addc_co_u32_e32 v6, vcc, 0, v5, vcc
	v_mul_lo_u32 v7, s73, v3
	v_mul_lo_u32 v10, s72, v6
	v_mad_u64_u32 v[4:5], s[0:1], s72, v3, 0
	v_add3_u32 v5, v5, v10, v7
	v_sub_u32_e32 v7, v8, v5
	v_mov_b32_e32 v10, s73
	v_sub_co_u32_e32 v4, vcc, v9, v4
	v_subb_co_u32_e64 v7, s[0:1], v7, v10, vcc
	v_subrev_co_u32_e64 v9, s[0:1], s72, v4
	v_subbrev_co_u32_e64 v7, s[0:1], 0, v7, s[0:1]
	v_cmp_le_u32_e64 s[0:1], s73, v7
	v_cndmask_b32_e64 v10, 0, -1, s[0:1]
	v_cmp_le_u32_e64 s[0:1], s72, v9
	v_cndmask_b32_e64 v9, 0, -1, s[0:1]
	v_cmp_eq_u32_e64 s[0:1], s73, v7
	v_cndmask_b32_e64 v7, v10, v9, s[0:1]
	v_add_co_u32_e64 v9, s[0:1], 2, v3
	v_subb_co_u32_e32 v5, vcc, v8, v5, vcc
	v_addc_co_u32_e64 v10, s[0:1], 0, v6, s[0:1]
	v_cmp_le_u32_e32 vcc, s73, v5
	v_add_co_u32_e64 v11, s[0:1], 1, v3
	v_cndmask_b32_e64 v8, 0, -1, vcc
	v_cmp_le_u32_e32 vcc, s72, v4
	v_addc_co_u32_e64 v12, s[0:1], 0, v6, s[0:1]
	v_cndmask_b32_e64 v4, 0, -1, vcc
	v_cmp_eq_u32_e32 vcc, s73, v5
	v_cmp_ne_u32_e64 s[0:1], 0, v7
	v_cndmask_b32_e32 v4, v8, v4, vcc
	v_cmp_ne_u32_e32 vcc, 0, v4
	v_cndmask_b32_e64 v5, v11, v9, s[0:1]
	v_cndmask_b32_e64 v7, v12, v10, s[0:1]
	v_cndmask_b32_e32 v3, v3, v5, vcc
	v_xor_b32_e32 v5, s60, v42
	v_cndmask_b32_e32 v4, v6, v7, vcc
	v_xor_b32_e32 v3, v3, v5
	v_xor_b32_e32 v4, v4, v5
	v_sub_co_u32_e32 v8, vcc, v3, v5
	v_subb_co_u32_e32 v9, vcc, v4, v5, vcc
.LBB3_5:                                ;   in Loop: Header=BB3_3 Depth=1
	s_andn2_saveexec_b64 s[0:1], s[56:57]
	s_cbranch_execz .LBB3_7
; %bb.6:                                ;   in Loop: Header=BB3_3 Depth=1
	s_sub_i32 s56, 0, s8
	v_mul_lo_u32 v3, s56, v60
	v_mul_hi_u32 v3, v60, v3
	v_add_u32_e32 v3, v60, v3
	v_mul_hi_u32 v3, v0, v3
	v_mul_lo_u32 v4, v3, s8
	v_sub_u32_e32 v4, v0, v4
	v_subrev_u32_e32 v5, s8, v4
	v_cmp_le_u32_e32 vcc, s8, v4
	v_cndmask_b32_e32 v4, v4, v5, vcc
	v_add_u32_e32 v5, 1, v3
	v_cndmask_b32_e32 v3, v3, v5, vcc
	v_add_u32_e32 v5, 1, v3
	v_cmp_le_u32_e32 vcc, s8, v4
	v_cndmask_b32_e32 v8, v3, v5, vcc
	v_mov_b32_e32 v9, v2
.LBB3_7:                                ;   in Loop: Header=BB3_3 Depth=1
	s_or_b64 exec, exec, s[0:1]
	v_readlane_b32 s0, v64, 13
	v_mul_lo_u32 v10, s0, v8
	v_mul_lo_u32 v11, s68, v9
	v_mad_u64_u32 v[30:31], s[0:1], s68, v8, v[0:1]
	v_add3_u32 v31, v10, v31, v11
	v_or_b32_e32 v3, s35, v31
	v_cmp_ne_u64_e32 vcc, 0, v[2:3]
	v_ashrrev_i32_e32 v40, 31, v31
                                        ; implicit-def: $vgpr6_vgpr7
	s_and_saveexec_b64 s[0:1], vcc
	s_xor_b64 s[56:57], exec, s[0:1]
	s_cbranch_execz .LBB3_9
; %bb.8:                                ;   in Loop: Header=BB3_3 Depth=1
	s_ashr_i32 s60, s35, 31
	s_add_u32 s0, s34, s60
	s_mov_b32 s61, s60
	s_addc_u32 s1, s35, s60
	s_xor_b64 s[72:73], s[0:1], s[60:61]
	v_cvt_f32_u32_e32 v3, s72
	v_cvt_f32_u32_e32 v4, s73
	s_sub_u32 s0, 0, s72
	s_subb_u32 s1, 0, s73
	v_mac_f32_e32 v3, 0x4f800000, v4
	v_rcp_f32_e32 v3, v3
	v_mul_f32_e32 v3, 0x5f7ffffc, v3
	v_mul_f32_e32 v4, 0x2f800000, v3
	v_trunc_f32_e32 v4, v4
	v_mac_f32_e32 v3, 0xcf800000, v4
	v_cvt_u32_f32_e32 v4, v4
	v_cvt_u32_f32_e32 v3, v3
	v_mul_lo_u32 v5, s0, v4
	v_mul_hi_u32 v7, s0, v3
	v_mul_lo_u32 v6, s1, v3
	v_add_u32_e32 v5, v7, v5
	v_mul_lo_u32 v12, s0, v3
	v_add_u32_e32 v5, v5, v6
	v_mul_lo_u32 v7, v3, v5
	v_mul_hi_u32 v13, v3, v12
	v_mul_hi_u32 v6, v3, v5
	v_add_co_u32_e32 v7, vcc, v13, v7
	v_addc_co_u32_e32 v6, vcc, 0, v6, vcc
	v_mul_hi_u32 v14, v4, v12
	v_mul_lo_u32 v12, v4, v12
	v_add_co_u32_e32 v7, vcc, v7, v12
	v_mul_hi_u32 v13, v4, v5
	v_addc_co_u32_e32 v6, vcc, v6, v14, vcc
	v_addc_co_u32_e32 v7, vcc, 0, v13, vcc
	v_mul_lo_u32 v5, v4, v5
	v_add_co_u32_e32 v5, vcc, v6, v5
	v_addc_co_u32_e32 v6, vcc, 0, v7, vcc
	v_add_co_u32_e32 v3, vcc, v3, v5
	v_addc_co_u32_e32 v4, vcc, v4, v6, vcc
	v_mul_lo_u32 v5, s0, v4
	v_mul_hi_u32 v6, s0, v3
	v_add_u32_e32 v5, v6, v5
	v_mul_lo_u32 v6, s1, v3
	v_add_u32_e32 v5, v5, v6
	v_mul_lo_u32 v7, s0, v3
	v_mul_hi_u32 v12, v4, v7
	v_mul_lo_u32 v13, v4, v7
	v_mul_lo_u32 v15, v3, v5
	v_mul_hi_u32 v7, v3, v7
	v_mul_hi_u32 v14, v3, v5
	v_add_co_u32_e32 v7, vcc, v7, v15
	v_addc_co_u32_e32 v14, vcc, 0, v14, vcc
	v_add_co_u32_e32 v7, vcc, v7, v13
	v_mul_hi_u32 v6, v4, v5
	v_addc_co_u32_e32 v7, vcc, v14, v12, vcc
	v_addc_co_u32_e32 v6, vcc, 0, v6, vcc
	v_mul_lo_u32 v5, v4, v5
	v_add_co_u32_e32 v5, vcc, v7, v5
	v_addc_co_u32_e32 v6, vcc, 0, v6, vcc
	v_add_co_u32_e32 v3, vcc, v3, v5
	v_addc_co_u32_e32 v6, vcc, v4, v6, vcc
	;; [unrolled: 2-line block ×3, first 2 shown]
	v_xor_b32_e32 v13, v4, v40
	v_xor_b32_e32 v12, v5, v40
	v_mad_u64_u32 v[4:5], s[0:1], v13, v6, 0
	v_mul_hi_u32 v7, v13, v3
	v_add_co_u32_e32 v14, vcc, v7, v4
	v_addc_co_u32_e32 v15, vcc, 0, v5, vcc
	v_mad_u64_u32 v[4:5], s[0:1], v12, v6, 0
	v_mad_u64_u32 v[6:7], s[0:1], v12, v3, 0
	v_add_co_u32_e32 v3, vcc, v14, v6
	v_addc_co_u32_e32 v3, vcc, v15, v7, vcc
	v_addc_co_u32_e32 v5, vcc, 0, v5, vcc
	v_add_co_u32_e32 v3, vcc, v3, v4
	v_addc_co_u32_e32 v6, vcc, 0, v5, vcc
	v_mul_lo_u32 v7, s73, v3
	v_mul_lo_u32 v14, s72, v6
	v_mad_u64_u32 v[4:5], s[0:1], s72, v3, 0
	v_add3_u32 v5, v5, v14, v7
	v_sub_u32_e32 v7, v12, v5
	v_mov_b32_e32 v14, s73
	v_sub_co_u32_e32 v4, vcc, v13, v4
	v_subb_co_u32_e64 v7, s[0:1], v7, v14, vcc
	v_subrev_co_u32_e64 v13, s[0:1], s72, v4
	v_subbrev_co_u32_e64 v7, s[0:1], 0, v7, s[0:1]
	v_cmp_le_u32_e64 s[0:1], s73, v7
	v_cndmask_b32_e64 v14, 0, -1, s[0:1]
	v_cmp_le_u32_e64 s[0:1], s72, v13
	v_cndmask_b32_e64 v13, 0, -1, s[0:1]
	v_cmp_eq_u32_e64 s[0:1], s73, v7
	v_cndmask_b32_e64 v7, v14, v13, s[0:1]
	v_add_co_u32_e64 v13, s[0:1], 2, v3
	v_subb_co_u32_e32 v5, vcc, v12, v5, vcc
	v_addc_co_u32_e64 v14, s[0:1], 0, v6, s[0:1]
	v_cmp_le_u32_e32 vcc, s73, v5
	v_add_co_u32_e64 v15, s[0:1], 1, v3
	v_cndmask_b32_e64 v12, 0, -1, vcc
	v_cmp_le_u32_e32 vcc, s72, v4
	v_addc_co_u32_e64 v16, s[0:1], 0, v6, s[0:1]
	v_cndmask_b32_e64 v4, 0, -1, vcc
	v_cmp_eq_u32_e32 vcc, s73, v5
	v_cmp_ne_u32_e64 s[0:1], 0, v7
	v_cndmask_b32_e32 v4, v12, v4, vcc
	v_cmp_ne_u32_e32 vcc, 0, v4
	v_cndmask_b32_e64 v5, v15, v13, s[0:1]
	v_cndmask_b32_e64 v7, v16, v14, s[0:1]
	v_cndmask_b32_e32 v3, v3, v5, vcc
	v_xor_b32_e32 v5, s60, v40
	v_cndmask_b32_e32 v4, v6, v7, vcc
	v_xor_b32_e32 v3, v3, v5
	v_xor_b32_e32 v4, v4, v5
	v_sub_co_u32_e32 v6, vcc, v3, v5
	v_subb_co_u32_e32 v7, vcc, v4, v5, vcc
.LBB3_9:                                ;   in Loop: Header=BB3_3 Depth=1
	s_or_saveexec_b64 s[0:1], s[56:57]
	v_cvt_f32_u32_e32 v20, s34
	s_xor_b64 exec, exec, s[0:1]
	s_cbranch_execz .LBB3_11
; %bb.10:                               ;   in Loop: Header=BB3_3 Depth=1
	v_rcp_iflag_f32_e32 v3, v20
	s_sub_i32 s56, 0, s34
	v_mov_b32_e32 v7, v2
	v_mul_f32_e32 v3, 0x4f7ffffe, v3
	v_cvt_u32_f32_e32 v3, v3
	v_mul_lo_u32 v4, s56, v3
	v_mul_hi_u32 v4, v3, v4
	v_add_u32_e32 v3, v3, v4
	v_mul_hi_u32 v3, v30, v3
	v_mul_lo_u32 v4, v3, s34
	v_sub_u32_e32 v4, v30, v4
	v_add_u32_e32 v5, 1, v3
	v_subrev_u32_e32 v6, s34, v4
	v_cmp_le_u32_e32 vcc, s34, v4
	v_cndmask_b32_e32 v4, v4, v6, vcc
	v_cndmask_b32_e32 v3, v3, v5, vcc
	v_add_u32_e32 v5, 1, v3
	v_cmp_le_u32_e32 vcc, s34, v4
	v_cndmask_b32_e32 v6, v3, v5, vcc
.LBB3_11:                               ;   in Loop: Header=BB3_3 Depth=1
	s_or_b64 exec, exec, s[0:1]
	v_mad_u64_u32 v[4:5], s[0:1], s68, v8, 0
	v_add3_u32 v5, v5, v11, v10
	v_mul_lo_u32 v3, v7, s34
	v_mul_lo_u32 v12, v6, s35
	v_mad_u64_u32 v[10:11], s[0:1], v6, s34, 0
	v_add3_u32 v3, v11, v12, v3
	v_sub_co_u32_e32 v10, vcc, v4, v10
	v_subb_co_u32_e32 v3, vcc, v5, v3, vcc
	v_add_co_u32_e32 v10, vcc, v0, v10
	v_addc_co_u32_e32 v3, vcc, v1, v3, vcc
	v_mul_lo_u32 v3, v3, s14
	v_mul_lo_u32 v12, v10, s15
	v_mad_u64_u32 v[10:11], s[0:1], v10, s14, 0
	v_add3_u32 v11, v11, v12, v3
	v_mul_lo_u32 v3, v7, s12
	v_mul_lo_u32 v12, v6, s13
	v_mad_u64_u32 v[6:7], s[0:1], v6, s12, 0
	v_add3_u32 v7, v7, v12, v3
	v_lshlrev_b64 v[6:7], 3, v[6:7]
	v_mov_b32_e32 v3, s3
	v_add_co_u32_e32 v12, vcc, s2, v6
	v_addc_co_u32_e32 v3, vcc, v3, v7, vcc
	v_lshlrev_b64 v[6:7], 3, v[10:11]
	v_add_co_u32_e32 v6, vcc, v12, v6
	v_addc_co_u32_e32 v7, vcc, v3, v7, vcc
	global_load_dwordx2 v[6:7], v[6:7], off
	v_lshl_add_u32 v18, v9, 1, v9
	v_mad_u64_u32 v[10:11], s[0:1], v8, 3, 1
	v_add_u32_e32 v3, v18, v11
	v_mul_lo_u32 v11, s9, v10
	v_mul_lo_u32 v16, s8, v3
	v_mad_u64_u32 v[32:33], s[0:1], s8, v10, v[0:1]
	v_add3_u32 v33, v11, v33, v16
	v_or_b32_e32 v3, s35, v33
	v_cmp_ne_u64_e32 vcc, 0, v[2:3]
	v_ashrrev_i32_e32 v41, 31, v33
                                        ; implicit-def: $vgpr14_vgpr15
	s_and_saveexec_b64 s[0:1], vcc
	s_xor_b64 s[56:57], exec, s[0:1]
	s_cbranch_execz .LBB3_13
; %bb.12:                               ;   in Loop: Header=BB3_3 Depth=1
	s_ashr_i32 s60, s35, 31
	s_add_u32 s0, s34, s60
	s_mov_b32 s61, s60
	s_addc_u32 s1, s35, s60
	s_xor_b64 s[72:73], s[0:1], s[60:61]
	v_cvt_f32_u32_e32 v3, s72
	v_cvt_f32_u32_e32 v12, s73
	s_sub_u32 s0, 0, s72
	s_subb_u32 s1, 0, s73
	v_mac_f32_e32 v3, 0x4f800000, v12
	v_rcp_f32_e32 v3, v3
	v_mul_f32_e32 v3, 0x5f7ffffc, v3
	v_mul_f32_e32 v12, 0x2f800000, v3
	v_trunc_f32_e32 v12, v12
	v_mac_f32_e32 v3, 0xcf800000, v12
	v_cvt_u32_f32_e32 v12, v12
	v_cvt_u32_f32_e32 v3, v3
	v_mul_lo_u32 v13, s0, v12
	v_mul_hi_u32 v15, s0, v3
	v_mul_lo_u32 v14, s1, v3
	v_add_u32_e32 v13, v15, v13
	v_mul_lo_u32 v17, s0, v3
	v_add_u32_e32 v13, v13, v14
	v_mul_lo_u32 v15, v3, v13
	v_mul_hi_u32 v19, v3, v17
	v_mul_hi_u32 v14, v3, v13
	v_add_co_u32_e32 v15, vcc, v19, v15
	v_addc_co_u32_e32 v14, vcc, 0, v14, vcc
	v_mul_hi_u32 v21, v12, v17
	v_mul_lo_u32 v17, v12, v17
	v_add_co_u32_e32 v15, vcc, v15, v17
	v_mul_hi_u32 v19, v12, v13
	v_addc_co_u32_e32 v14, vcc, v14, v21, vcc
	v_addc_co_u32_e32 v15, vcc, 0, v19, vcc
	v_mul_lo_u32 v13, v12, v13
	v_add_co_u32_e32 v13, vcc, v14, v13
	v_addc_co_u32_e32 v14, vcc, 0, v15, vcc
	v_add_co_u32_e32 v3, vcc, v3, v13
	v_addc_co_u32_e32 v12, vcc, v12, v14, vcc
	v_mul_lo_u32 v13, s0, v12
	v_mul_hi_u32 v14, s0, v3
	v_add_u32_e32 v13, v14, v13
	v_mul_lo_u32 v14, s1, v3
	v_add_u32_e32 v13, v13, v14
	v_mul_lo_u32 v15, s0, v3
	v_mul_hi_u32 v17, v12, v15
	v_mul_lo_u32 v19, v12, v15
	v_mul_lo_u32 v22, v3, v13
	v_mul_hi_u32 v15, v3, v15
	v_mul_hi_u32 v21, v3, v13
	v_add_co_u32_e32 v15, vcc, v15, v22
	v_addc_co_u32_e32 v21, vcc, 0, v21, vcc
	v_add_co_u32_e32 v15, vcc, v15, v19
	v_mul_hi_u32 v14, v12, v13
	v_addc_co_u32_e32 v15, vcc, v21, v17, vcc
	v_addc_co_u32_e32 v14, vcc, 0, v14, vcc
	v_mul_lo_u32 v13, v12, v13
	v_add_co_u32_e32 v13, vcc, v15, v13
	v_addc_co_u32_e32 v14, vcc, 0, v14, vcc
	v_add_co_u32_e32 v3, vcc, v3, v13
	v_addc_co_u32_e32 v14, vcc, v12, v14, vcc
	;; [unrolled: 2-line block ×3, first 2 shown]
	v_xor_b32_e32 v19, v12, v41
	v_xor_b32_e32 v17, v13, v41
	v_mad_u64_u32 v[12:13], s[0:1], v19, v14, 0
	v_mul_hi_u32 v15, v19, v3
	v_add_co_u32_e32 v21, vcc, v15, v12
	v_addc_co_u32_e32 v22, vcc, 0, v13, vcc
	v_mad_u64_u32 v[12:13], s[0:1], v17, v14, 0
	v_mad_u64_u32 v[14:15], s[0:1], v17, v3, 0
	v_add_co_u32_e32 v3, vcc, v21, v14
	v_addc_co_u32_e32 v3, vcc, v22, v15, vcc
	v_addc_co_u32_e32 v13, vcc, 0, v13, vcc
	v_add_co_u32_e32 v3, vcc, v3, v12
	v_addc_co_u32_e32 v14, vcc, 0, v13, vcc
	v_mul_lo_u32 v15, s73, v3
	v_mul_lo_u32 v21, s72, v14
	v_mad_u64_u32 v[12:13], s[0:1], s72, v3, 0
	v_add3_u32 v13, v13, v21, v15
	v_sub_u32_e32 v15, v17, v13
	v_mov_b32_e32 v21, s73
	v_sub_co_u32_e32 v12, vcc, v19, v12
	v_subb_co_u32_e64 v15, s[0:1], v15, v21, vcc
	v_subrev_co_u32_e64 v19, s[0:1], s72, v12
	v_subbrev_co_u32_e64 v15, s[0:1], 0, v15, s[0:1]
	v_cmp_le_u32_e64 s[0:1], s73, v15
	v_cndmask_b32_e64 v21, 0, -1, s[0:1]
	v_cmp_le_u32_e64 s[0:1], s72, v19
	v_cndmask_b32_e64 v19, 0, -1, s[0:1]
	v_cmp_eq_u32_e64 s[0:1], s73, v15
	v_cndmask_b32_e64 v15, v21, v19, s[0:1]
	v_add_co_u32_e64 v19, s[0:1], 2, v3
	v_subb_co_u32_e32 v13, vcc, v17, v13, vcc
	v_addc_co_u32_e64 v21, s[0:1], 0, v14, s[0:1]
	v_cmp_le_u32_e32 vcc, s73, v13
	v_add_co_u32_e64 v22, s[0:1], 1, v3
	v_cndmask_b32_e64 v17, 0, -1, vcc
	v_cmp_le_u32_e32 vcc, s72, v12
	v_addc_co_u32_e64 v23, s[0:1], 0, v14, s[0:1]
	v_cndmask_b32_e64 v12, 0, -1, vcc
	v_cmp_eq_u32_e32 vcc, s73, v13
	v_cmp_ne_u32_e64 s[0:1], 0, v15
	v_cndmask_b32_e32 v12, v17, v12, vcc
	v_cmp_ne_u32_e32 vcc, 0, v12
	v_cndmask_b32_e64 v13, v22, v19, s[0:1]
	v_cndmask_b32_e64 v15, v23, v21, s[0:1]
	v_cndmask_b32_e32 v3, v3, v13, vcc
	v_xor_b32_e32 v13, s60, v41
	v_cndmask_b32_e32 v12, v14, v15, vcc
	v_xor_b32_e32 v3, v3, v13
	v_xor_b32_e32 v12, v12, v13
	v_sub_co_u32_e32 v14, vcc, v3, v13
	v_subb_co_u32_e32 v15, vcc, v12, v13, vcc
.LBB3_13:                               ;   in Loop: Header=BB3_3 Depth=1
	s_andn2_saveexec_b64 s[0:1], s[56:57]
	s_cbranch_execz .LBB3_15
; %bb.14:                               ;   in Loop: Header=BB3_3 Depth=1
	v_rcp_iflag_f32_e32 v3, v20
	s_sub_i32 s56, 0, s34
	v_mov_b32_e32 v15, v2
	v_mul_f32_e32 v3, 0x4f7ffffe, v3
	v_cvt_u32_f32_e32 v3, v3
	v_mul_lo_u32 v12, s56, v3
	v_mul_hi_u32 v12, v3, v12
	v_add_u32_e32 v3, v3, v12
	v_mul_hi_u32 v3, v32, v3
	v_mul_lo_u32 v12, v3, s34
	v_sub_u32_e32 v12, v32, v12
	v_add_u32_e32 v13, 1, v3
	v_subrev_u32_e32 v14, s34, v12
	v_cmp_le_u32_e32 vcc, s34, v12
	v_cndmask_b32_e32 v12, v12, v14, vcc
	v_cndmask_b32_e32 v3, v3, v13, vcc
	v_add_u32_e32 v13, 1, v3
	v_cmp_le_u32_e32 vcc, s34, v12
	v_cndmask_b32_e32 v14, v3, v13, vcc
.LBB3_15:                               ;   in Loop: Header=BB3_3 Depth=1
	s_or_b64 exec, exec, s[0:1]
	v_mad_u64_u32 v[12:13], s[0:1], s8, v10, 0
	v_add3_u32 v13, v13, v16, v11
	v_mul_lo_u32 v3, v15, s34
	v_mul_lo_u32 v16, v14, s35
	v_mad_u64_u32 v[10:11], s[0:1], v14, s34, 0
	v_add3_u32 v3, v11, v16, v3
	v_sub_co_u32_e32 v10, vcc, v12, v10
	v_subb_co_u32_e32 v3, vcc, v13, v3, vcc
	v_add_co_u32_e32 v10, vcc, v0, v10
	v_addc_co_u32_e32 v3, vcc, v1, v3, vcc
	v_mul_lo_u32 v3, v3, s14
	v_mul_lo_u32 v16, v10, s15
	v_mad_u64_u32 v[10:11], s[0:1], v10, s14, 0
	v_add3_u32 v11, v11, v16, v3
	v_mul_lo_u32 v3, v15, s12
	v_mul_lo_u32 v16, v14, s13
	v_mad_u64_u32 v[14:15], s[0:1], v14, s12, 0
	v_add3_u32 v15, v15, v16, v3
	v_lshlrev_b64 v[14:15], 3, v[14:15]
	v_mov_b32_e32 v3, s3
	v_add_co_u32_e32 v14, vcc, s2, v14
	v_addc_co_u32_e32 v3, vcc, v3, v15, vcc
	v_lshlrev_b64 v[10:11], 3, v[10:11]
	v_add_co_u32_e32 v10, vcc, v14, v10
	v_addc_co_u32_e32 v11, vcc, v3, v11, vcc
	global_load_dwordx2 v[10:11], v[10:11], off
	v_mad_u64_u32 v[16:17], s[0:1], v8, 3, 0
	v_add_u32_e32 v17, v17, v18
	v_add_co_u32_e32 v18, vcc, 2, v16
	v_addc_co_u32_e32 v3, vcc, 0, v17, vcc
	v_mul_lo_u32 v21, s9, v18
	v_mul_lo_u32 v22, s8, v3
	v_mad_u64_u32 v[34:35], s[0:1], s8, v18, v[0:1]
	v_add3_u32 v35, v21, v35, v22
	v_or_b32_e32 v3, s35, v35
	v_cmp_ne_u64_e32 vcc, 0, v[2:3]
	v_ashrrev_i32_e32 v43, 31, v35
                                        ; implicit-def: $vgpr14_vgpr15
	s_and_saveexec_b64 s[0:1], vcc
	s_xor_b64 s[56:57], exec, s[0:1]
	s_cbranch_execz .LBB3_17
; %bb.16:                               ;   in Loop: Header=BB3_3 Depth=1
	s_ashr_i32 s60, s35, 31
	s_add_u32 s0, s34, s60
	s_mov_b32 s61, s60
	s_addc_u32 s1, s35, s60
	s_xor_b64 s[72:73], s[0:1], s[60:61]
	v_cvt_f32_u32_e32 v3, s72
	v_cvt_f32_u32_e32 v14, s73
	s_sub_u32 s0, 0, s72
	s_subb_u32 s1, 0, s73
	v_mac_f32_e32 v3, 0x4f800000, v14
	v_rcp_f32_e32 v3, v3
	v_mul_f32_e32 v3, 0x5f7ffffc, v3
	v_mul_f32_e32 v14, 0x2f800000, v3
	v_trunc_f32_e32 v14, v14
	v_mac_f32_e32 v3, 0xcf800000, v14
	v_cvt_u32_f32_e32 v14, v14
	v_cvt_u32_f32_e32 v3, v3
	v_mul_lo_u32 v15, s0, v14
	v_mul_hi_u32 v23, s0, v3
	v_mul_lo_u32 v19, s1, v3
	v_add_u32_e32 v15, v23, v15
	v_mul_lo_u32 v24, s0, v3
	v_add_u32_e32 v15, v15, v19
	v_mul_lo_u32 v23, v3, v15
	v_mul_hi_u32 v25, v3, v24
	v_mul_hi_u32 v19, v3, v15
	v_add_co_u32_e32 v23, vcc, v25, v23
	v_addc_co_u32_e32 v19, vcc, 0, v19, vcc
	v_mul_hi_u32 v26, v14, v24
	v_mul_lo_u32 v24, v14, v24
	v_add_co_u32_e32 v23, vcc, v23, v24
	v_mul_hi_u32 v25, v14, v15
	v_addc_co_u32_e32 v19, vcc, v19, v26, vcc
	v_addc_co_u32_e32 v23, vcc, 0, v25, vcc
	v_mul_lo_u32 v15, v14, v15
	v_add_co_u32_e32 v15, vcc, v19, v15
	v_addc_co_u32_e32 v19, vcc, 0, v23, vcc
	v_add_co_u32_e32 v3, vcc, v3, v15
	v_addc_co_u32_e32 v14, vcc, v14, v19, vcc
	v_mul_lo_u32 v15, s0, v14
	v_mul_hi_u32 v19, s0, v3
	v_add_u32_e32 v15, v19, v15
	v_mul_lo_u32 v19, s1, v3
	v_add_u32_e32 v15, v15, v19
	v_mul_lo_u32 v23, s0, v3
	v_mul_hi_u32 v24, v14, v23
	v_mul_lo_u32 v25, v14, v23
	v_mul_lo_u32 v27, v3, v15
	v_mul_hi_u32 v23, v3, v23
	v_mul_hi_u32 v26, v3, v15
	v_add_co_u32_e32 v23, vcc, v23, v27
	v_addc_co_u32_e32 v26, vcc, 0, v26, vcc
	v_add_co_u32_e32 v23, vcc, v23, v25
	v_mul_hi_u32 v19, v14, v15
	v_addc_co_u32_e32 v23, vcc, v26, v24, vcc
	v_addc_co_u32_e32 v19, vcc, 0, v19, vcc
	v_mul_lo_u32 v15, v14, v15
	v_add_co_u32_e32 v15, vcc, v23, v15
	v_addc_co_u32_e32 v19, vcc, 0, v19, vcc
	v_add_co_u32_e32 v3, vcc, v3, v15
	v_addc_co_u32_e32 v19, vcc, v14, v19, vcc
	v_add_co_u32_e32 v14, vcc, v34, v43
	v_addc_co_u32_e32 v15, vcc, v35, v43, vcc
	v_xor_b32_e32 v26, v14, v43
	v_xor_b32_e32 v23, v15, v43
	v_mad_u64_u32 v[14:15], s[0:1], v26, v19, 0
	v_mul_hi_u32 v24, v26, v3
	v_add_co_u32_e32 v27, vcc, v24, v14
	v_addc_co_u32_e32 v28, vcc, 0, v15, vcc
	v_mad_u64_u32 v[24:25], s[0:1], v23, v3, 0
	v_add_co_u32_e32 v3, vcc, v27, v24
	v_mad_u64_u32 v[14:15], s[0:1], v23, v19, 0
	v_addc_co_u32_e32 v3, vcc, v28, v25, vcc
	v_addc_co_u32_e32 v15, vcc, 0, v15, vcc
	v_add_co_u32_e32 v3, vcc, v3, v14
	v_addc_co_u32_e32 v19, vcc, 0, v15, vcc
	v_mul_lo_u32 v24, s73, v3
	v_mul_lo_u32 v25, s72, v19
	v_mad_u64_u32 v[14:15], s[0:1], s72, v3, 0
	v_add3_u32 v15, v15, v25, v24
	v_sub_u32_e32 v24, v23, v15
	v_mov_b32_e32 v25, s73
	v_sub_co_u32_e32 v14, vcc, v26, v14
	v_subb_co_u32_e64 v24, s[0:1], v24, v25, vcc
	v_subrev_co_u32_e64 v25, s[0:1], s72, v14
	v_subbrev_co_u32_e64 v24, s[0:1], 0, v24, s[0:1]
	v_cmp_le_u32_e64 s[0:1], s73, v24
	v_cndmask_b32_e64 v26, 0, -1, s[0:1]
	v_cmp_le_u32_e64 s[0:1], s72, v25
	v_cndmask_b32_e64 v25, 0, -1, s[0:1]
	v_cmp_eq_u32_e64 s[0:1], s73, v24
	v_cndmask_b32_e64 v24, v26, v25, s[0:1]
	v_add_co_u32_e64 v25, s[0:1], 2, v3
	v_subb_co_u32_e32 v15, vcc, v23, v15, vcc
	v_addc_co_u32_e64 v26, s[0:1], 0, v19, s[0:1]
	v_cmp_le_u32_e32 vcc, s73, v15
	v_add_co_u32_e64 v27, s[0:1], 1, v3
	v_cndmask_b32_e64 v23, 0, -1, vcc
	v_cmp_le_u32_e32 vcc, s72, v14
	v_addc_co_u32_e64 v28, s[0:1], 0, v19, s[0:1]
	v_cndmask_b32_e64 v14, 0, -1, vcc
	v_cmp_eq_u32_e32 vcc, s73, v15
	v_cmp_ne_u32_e64 s[0:1], 0, v24
	v_cndmask_b32_e32 v14, v23, v14, vcc
	v_cmp_ne_u32_e32 vcc, 0, v14
	v_cndmask_b32_e64 v15, v27, v25, s[0:1]
	v_cndmask_b32_e64 v24, v28, v26, s[0:1]
	v_cndmask_b32_e32 v3, v3, v15, vcc
	v_xor_b32_e32 v15, s60, v43
	v_cndmask_b32_e32 v14, v19, v24, vcc
	v_xor_b32_e32 v3, v3, v15
	v_xor_b32_e32 v19, v14, v15
	v_sub_co_u32_e32 v14, vcc, v3, v15
	v_subb_co_u32_e32 v15, vcc, v19, v15, vcc
.LBB3_17:                               ;   in Loop: Header=BB3_3 Depth=1
	s_andn2_saveexec_b64 s[0:1], s[56:57]
	s_cbranch_execz .LBB3_19
; %bb.18:                               ;   in Loop: Header=BB3_3 Depth=1
	v_rcp_iflag_f32_e32 v3, v20
	s_sub_i32 s56, 0, s34
	v_mul_f32_e32 v3, 0x4f7ffffe, v3
	v_cvt_u32_f32_e32 v3, v3
	v_mul_lo_u32 v14, s56, v3
	v_mul_hi_u32 v14, v3, v14
	v_add_u32_e32 v3, v3, v14
	v_mul_hi_u32 v3, v34, v3
	v_mul_lo_u32 v14, v3, s34
	v_sub_u32_e32 v14, v34, v14
	v_add_u32_e32 v15, 1, v3
	v_subrev_u32_e32 v19, s34, v14
	v_cmp_le_u32_e32 vcc, s34, v14
	v_cndmask_b32_e32 v14, v14, v19, vcc
	v_cndmask_b32_e32 v3, v3, v15, vcc
	v_add_u32_e32 v15, 1, v3
	v_cmp_le_u32_e32 vcc, s34, v14
	v_cndmask_b32_e32 v14, v3, v15, vcc
	v_mov_b32_e32 v15, v2
.LBB3_19:                               ;   in Loop: Header=BB3_3 Depth=1
	s_or_b64 exec, exec, s[0:1]
	v_mad_u64_u32 v[18:19], s[0:1], s8, v18, 0
	v_add3_u32 v19, v19, v22, v21
	v_mul_lo_u32 v3, v15, s34
	v_mul_lo_u32 v21, v14, s35
	v_mad_u64_u32 v[22:23], s[0:1], v14, s34, 0
	v_add3_u32 v3, v23, v21, v3
	v_sub_co_u32_e32 v21, vcc, v18, v22
	v_subb_co_u32_e32 v3, vcc, v19, v3, vcc
	v_add_co_u32_e32 v21, vcc, v0, v21
	v_addc_co_u32_e32 v3, vcc, v1, v3, vcc
	v_mul_lo_u32 v3, v3, s14
	v_mul_lo_u32 v24, v21, s15
	v_mad_u64_u32 v[22:23], s[0:1], v21, s14, 0
	v_add3_u32 v23, v23, v24, v3
	v_mul_lo_u32 v3, v15, s12
	v_mul_lo_u32 v21, v14, s13
	v_mad_u64_u32 v[14:15], s[0:1], v14, s12, 0
	v_add3_u32 v15, v15, v21, v3
	v_lshlrev_b64 v[14:15], 3, v[14:15]
	v_mov_b32_e32 v3, s3
	v_add_co_u32_e32 v21, vcc, s2, v14
	v_addc_co_u32_e32 v3, vcc, v3, v15, vcc
	v_lshlrev_b64 v[14:15], 3, v[22:23]
	v_add_co_u32_e32 v14, vcc, v21, v14
	v_addc_co_u32_e32 v15, vcc, v3, v15, vcc
	global_load_dwordx2 v[14:15], v[14:15], off
	v_add_co_u32_e32 v21, vcc, 3, v16
	v_addc_co_u32_e32 v3, vcc, 0, v17, vcc
	v_mul_lo_u32 v22, s9, v21
	v_mul_lo_u32 v23, s8, v3
	v_mad_u64_u32 v[36:37], s[0:1], s8, v21, v[0:1]
	v_add3_u32 v37, v22, v37, v23
	v_or_b32_e32 v3, s35, v37
	v_cmp_ne_u64_e32 vcc, 0, v[2:3]
	v_ashrrev_i32_e32 v44, 31, v37
                                        ; implicit-def: $vgpr16_vgpr17
	s_and_saveexec_b64 s[0:1], vcc
	s_xor_b64 s[56:57], exec, s[0:1]
	s_cbranch_execz .LBB3_21
; %bb.20:                               ;   in Loop: Header=BB3_3 Depth=1
	s_ashr_i32 s60, s35, 31
	s_add_u32 s0, s34, s60
	s_mov_b32 s61, s60
	s_addc_u32 s1, s35, s60
	s_xor_b64 s[72:73], s[0:1], s[60:61]
	v_cvt_f32_u32_e32 v3, s72
	v_cvt_f32_u32_e32 v16, s73
	s_sub_u32 s0, 0, s72
	s_subb_u32 s1, 0, s73
	v_mac_f32_e32 v3, 0x4f800000, v16
	v_rcp_f32_e32 v3, v3
	v_mul_f32_e32 v3, 0x5f7ffffc, v3
	v_mul_f32_e32 v16, 0x2f800000, v3
	v_trunc_f32_e32 v16, v16
	v_mac_f32_e32 v3, 0xcf800000, v16
	v_cvt_u32_f32_e32 v16, v16
	v_cvt_u32_f32_e32 v3, v3
	v_mul_lo_u32 v17, s0, v16
	v_mul_hi_u32 v24, s0, v3
	v_mul_lo_u32 v20, s1, v3
	v_add_u32_e32 v17, v24, v17
	v_mul_lo_u32 v25, s0, v3
	v_add_u32_e32 v17, v17, v20
	v_mul_lo_u32 v24, v3, v17
	v_mul_hi_u32 v26, v3, v25
	v_mul_hi_u32 v20, v3, v17
	v_add_co_u32_e32 v24, vcc, v26, v24
	v_addc_co_u32_e32 v20, vcc, 0, v20, vcc
	v_mul_hi_u32 v27, v16, v25
	v_mul_lo_u32 v25, v16, v25
	v_add_co_u32_e32 v24, vcc, v24, v25
	v_mul_hi_u32 v26, v16, v17
	v_addc_co_u32_e32 v20, vcc, v20, v27, vcc
	v_addc_co_u32_e32 v24, vcc, 0, v26, vcc
	v_mul_lo_u32 v17, v16, v17
	v_add_co_u32_e32 v17, vcc, v20, v17
	v_addc_co_u32_e32 v20, vcc, 0, v24, vcc
	v_add_co_u32_e32 v3, vcc, v3, v17
	v_addc_co_u32_e32 v16, vcc, v16, v20, vcc
	v_mul_lo_u32 v17, s0, v16
	v_mul_hi_u32 v20, s0, v3
	v_add_u32_e32 v17, v20, v17
	v_mul_lo_u32 v20, s1, v3
	v_add_u32_e32 v17, v17, v20
	v_mul_lo_u32 v24, s0, v3
	v_mul_hi_u32 v25, v16, v24
	v_mul_lo_u32 v26, v16, v24
	v_mul_lo_u32 v28, v3, v17
	v_mul_hi_u32 v24, v3, v24
	v_mul_hi_u32 v27, v3, v17
	v_add_co_u32_e32 v24, vcc, v24, v28
	v_addc_co_u32_e32 v27, vcc, 0, v27, vcc
	v_add_co_u32_e32 v24, vcc, v24, v26
	v_mul_hi_u32 v20, v16, v17
	v_addc_co_u32_e32 v24, vcc, v27, v25, vcc
	v_addc_co_u32_e32 v20, vcc, 0, v20, vcc
	v_mul_lo_u32 v17, v16, v17
	v_add_co_u32_e32 v17, vcc, v24, v17
	v_addc_co_u32_e32 v20, vcc, 0, v20, vcc
	v_add_co_u32_e32 v3, vcc, v3, v17
	v_addc_co_u32_e32 v20, vcc, v16, v20, vcc
	;; [unrolled: 2-line block ×3, first 2 shown]
	v_xor_b32_e32 v27, v16, v44
	v_xor_b32_e32 v26, v17, v44
	v_mad_u64_u32 v[16:17], s[0:1], v27, v20, 0
	v_mul_hi_u32 v24, v27, v3
	v_add_co_u32_e32 v28, vcc, v24, v16
	v_addc_co_u32_e32 v29, vcc, 0, v17, vcc
	v_mad_u64_u32 v[24:25], s[0:1], v26, v3, 0
	v_add_co_u32_e32 v3, vcc, v28, v24
	v_mad_u64_u32 v[16:17], s[0:1], v26, v20, 0
	v_addc_co_u32_e32 v3, vcc, v29, v25, vcc
	v_addc_co_u32_e32 v17, vcc, 0, v17, vcc
	v_add_co_u32_e32 v3, vcc, v3, v16
	v_addc_co_u32_e32 v20, vcc, 0, v17, vcc
	v_mul_lo_u32 v24, s73, v3
	v_mul_lo_u32 v25, s72, v20
	v_mad_u64_u32 v[16:17], s[0:1], s72, v3, 0
	v_add3_u32 v17, v17, v25, v24
	v_sub_u32_e32 v24, v26, v17
	v_mov_b32_e32 v25, s73
	v_sub_co_u32_e32 v16, vcc, v27, v16
	v_subb_co_u32_e64 v24, s[0:1], v24, v25, vcc
	v_subrev_co_u32_e64 v25, s[0:1], s72, v16
	v_subbrev_co_u32_e64 v24, s[0:1], 0, v24, s[0:1]
	v_cmp_le_u32_e64 s[0:1], s73, v24
	v_cndmask_b32_e64 v27, 0, -1, s[0:1]
	v_cmp_le_u32_e64 s[0:1], s72, v25
	v_cndmask_b32_e64 v25, 0, -1, s[0:1]
	v_cmp_eq_u32_e64 s[0:1], s73, v24
	v_cndmask_b32_e64 v24, v27, v25, s[0:1]
	v_add_co_u32_e64 v25, s[0:1], 2, v3
	v_subb_co_u32_e32 v17, vcc, v26, v17, vcc
	v_addc_co_u32_e64 v27, s[0:1], 0, v20, s[0:1]
	v_cmp_le_u32_e32 vcc, s73, v17
	v_add_co_u32_e64 v28, s[0:1], 1, v3
	v_cndmask_b32_e64 v26, 0, -1, vcc
	v_cmp_le_u32_e32 vcc, s72, v16
	v_addc_co_u32_e64 v29, s[0:1], 0, v20, s[0:1]
	v_cndmask_b32_e64 v16, 0, -1, vcc
	v_cmp_eq_u32_e32 vcc, s73, v17
	v_cmp_ne_u32_e64 s[0:1], 0, v24
	v_cndmask_b32_e32 v16, v26, v16, vcc
	v_cmp_ne_u32_e32 vcc, 0, v16
	v_cndmask_b32_e64 v17, v28, v25, s[0:1]
	v_cndmask_b32_e64 v24, v29, v27, s[0:1]
	v_cndmask_b32_e32 v3, v3, v17, vcc
	v_xor_b32_e32 v17, s60, v44
	v_cndmask_b32_e32 v16, v20, v24, vcc
	v_xor_b32_e32 v3, v3, v17
	v_xor_b32_e32 v20, v16, v17
	v_sub_co_u32_e32 v16, vcc, v3, v17
	v_subb_co_u32_e32 v17, vcc, v20, v17, vcc
                                        ; implicit-def: $vgpr20
.LBB3_21:                               ;   in Loop: Header=BB3_3 Depth=1
	s_andn2_saveexec_b64 s[0:1], s[56:57]
	s_cbranch_execz .LBB3_23
; %bb.22:                               ;   in Loop: Header=BB3_3 Depth=1
	v_rcp_iflag_f32_e32 v3, v20
	s_sub_i32 s56, 0, s34
	v_mul_f32_e32 v3, 0x4f7ffffe, v3
	v_cvt_u32_f32_e32 v3, v3
	v_mul_lo_u32 v16, s56, v3
	v_mul_hi_u32 v16, v3, v16
	v_add_u32_e32 v3, v3, v16
	v_mul_hi_u32 v3, v36, v3
	v_mul_lo_u32 v16, v3, s34
	v_sub_u32_e32 v16, v36, v16
	v_add_u32_e32 v17, 1, v3
	v_subrev_u32_e32 v20, s34, v16
	v_cmp_le_u32_e32 vcc, s34, v16
	v_cndmask_b32_e32 v16, v16, v20, vcc
	v_cndmask_b32_e32 v3, v3, v17, vcc
	v_add_u32_e32 v17, 1, v3
	v_cmp_le_u32_e32 vcc, s34, v16
	v_cndmask_b32_e32 v16, v3, v17, vcc
	v_mov_b32_e32 v17, v2
.LBB3_23:                               ;   in Loop: Header=BB3_3 Depth=1
	s_or_b64 exec, exec, s[0:1]
	v_mad_u64_u32 v[20:21], s[0:1], s8, v21, 0
	v_add3_u32 v21, v21, v23, v22
	v_mul_lo_u32 v3, v17, s34
	v_mul_lo_u32 v24, v16, s35
	v_mad_u64_u32 v[22:23], s[0:1], v16, s34, 0
	v_add3_u32 v3, v23, v24, v3
	v_sub_co_u32_e32 v22, vcc, v20, v22
	v_subb_co_u32_e32 v3, vcc, v21, v3, vcc
	v_add_co_u32_e32 v22, vcc, v0, v22
	v_addc_co_u32_e32 v3, vcc, v1, v3, vcc
	v_mul_lo_u32 v3, v3, s14
	v_mul_lo_u32 v24, v22, s15
	v_mad_u64_u32 v[22:23], s[0:1], v22, s14, 0
	v_add3_u32 v23, v23, v24, v3
	v_mul_lo_u32 v3, v17, s12
	v_mul_lo_u32 v24, v16, s13
	v_mad_u64_u32 v[16:17], s[0:1], v16, s12, 0
	v_add3_u32 v17, v17, v24, v3
	v_lshlrev_b64 v[16:17], 3, v[16:17]
	v_mov_b32_e32 v3, s3
	v_add_co_u32_e32 v24, vcc, s2, v16
	v_addc_co_u32_e32 v3, vcc, v3, v17, vcc
	v_lshlrev_b64 v[16:17], 3, v[22:23]
	v_add_co_u32_e32 v16, vcc, v24, v16
	v_addc_co_u32_e32 v17, vcc, v3, v17, vcc
	global_load_dwordx2 v[16:17], v[16:17], off
	v_or_b32_e32 v3, s39, v31
	v_cmp_ne_u64_e32 vcc, 0, v[2:3]
                                        ; implicit-def: $vgpr22_vgpr23
	s_and_saveexec_b64 s[0:1], vcc
	s_xor_b64 s[56:57], exec, s[0:1]
	s_cbranch_execz .LBB3_25
; %bb.24:                               ;   in Loop: Header=BB3_3 Depth=1
	s_ashr_i32 s60, s39, 31
	s_add_u32 s0, s38, s60
	s_mov_b32 s61, s60
	s_addc_u32 s1, s39, s60
	s_xor_b64 s[72:73], s[0:1], s[60:61]
	v_cvt_f32_u32_e32 v3, s72
	v_cvt_f32_u32_e32 v22, s73
	s_sub_u32 s0, 0, s72
	s_subb_u32 s1, 0, s73
	v_mac_f32_e32 v3, 0x4f800000, v22
	v_rcp_f32_e32 v3, v3
	v_mul_f32_e32 v3, 0x5f7ffffc, v3
	v_mul_f32_e32 v22, 0x2f800000, v3
	v_trunc_f32_e32 v22, v22
	v_mac_f32_e32 v3, 0xcf800000, v22
	v_cvt_u32_f32_e32 v22, v22
	v_cvt_u32_f32_e32 v3, v3
	v_mul_lo_u32 v23, s0, v22
	v_mul_hi_u32 v25, s0, v3
	v_mul_lo_u32 v24, s1, v3
	v_add_u32_e32 v23, v25, v23
	v_mul_lo_u32 v26, s0, v3
	v_add_u32_e32 v23, v23, v24
	v_mul_lo_u32 v25, v3, v23
	v_mul_hi_u32 v27, v3, v26
	v_mul_hi_u32 v24, v3, v23
	v_add_co_u32_e32 v25, vcc, v27, v25
	v_addc_co_u32_e32 v24, vcc, 0, v24, vcc
	v_mul_hi_u32 v28, v22, v26
	v_mul_lo_u32 v26, v22, v26
	v_add_co_u32_e32 v25, vcc, v25, v26
	v_mul_hi_u32 v27, v22, v23
	v_addc_co_u32_e32 v24, vcc, v24, v28, vcc
	v_addc_co_u32_e32 v25, vcc, 0, v27, vcc
	v_mul_lo_u32 v23, v22, v23
	v_add_co_u32_e32 v23, vcc, v24, v23
	v_addc_co_u32_e32 v24, vcc, 0, v25, vcc
	v_add_co_u32_e32 v3, vcc, v3, v23
	v_addc_co_u32_e32 v22, vcc, v22, v24, vcc
	v_mul_lo_u32 v23, s0, v22
	v_mul_hi_u32 v24, s0, v3
	v_add_u32_e32 v23, v24, v23
	v_mul_lo_u32 v24, s1, v3
	v_add_u32_e32 v23, v23, v24
	v_mul_lo_u32 v25, s0, v3
	v_mul_hi_u32 v26, v22, v25
	v_mul_lo_u32 v27, v22, v25
	v_mul_lo_u32 v29, v3, v23
	v_mul_hi_u32 v25, v3, v25
	v_mul_hi_u32 v28, v3, v23
	v_add_co_u32_e32 v25, vcc, v25, v29
	v_addc_co_u32_e32 v28, vcc, 0, v28, vcc
	v_add_co_u32_e32 v25, vcc, v25, v27
	v_mul_hi_u32 v24, v22, v23
	v_addc_co_u32_e32 v25, vcc, v28, v26, vcc
	v_addc_co_u32_e32 v24, vcc, 0, v24, vcc
	v_mul_lo_u32 v23, v22, v23
	v_add_co_u32_e32 v23, vcc, v25, v23
	v_addc_co_u32_e32 v24, vcc, 0, v24, vcc
	v_add_co_u32_e32 v3, vcc, v3, v23
	v_addc_co_u32_e32 v24, vcc, v22, v24, vcc
	;; [unrolled: 2-line block ×3, first 2 shown]
	v_xor_b32_e32 v27, v22, v40
	v_xor_b32_e32 v26, v23, v40
	v_mad_u64_u32 v[22:23], s[0:1], v27, v24, 0
	v_mul_hi_u32 v25, v27, v3
	v_add_co_u32_e32 v28, vcc, v25, v22
	v_addc_co_u32_e32 v29, vcc, 0, v23, vcc
	v_mad_u64_u32 v[22:23], s[0:1], v26, v24, 0
	v_mad_u64_u32 v[24:25], s[0:1], v26, v3, 0
	v_add_co_u32_e32 v3, vcc, v28, v24
	v_addc_co_u32_e32 v3, vcc, v29, v25, vcc
	v_addc_co_u32_e32 v23, vcc, 0, v23, vcc
	v_add_co_u32_e32 v3, vcc, v3, v22
	v_addc_co_u32_e32 v24, vcc, 0, v23, vcc
	v_mul_lo_u32 v25, s73, v3
	v_mul_lo_u32 v28, s72, v24
	v_mad_u64_u32 v[22:23], s[0:1], s72, v3, 0
	v_add3_u32 v23, v23, v28, v25
	v_sub_u32_e32 v25, v26, v23
	v_mov_b32_e32 v28, s73
	v_sub_co_u32_e32 v22, vcc, v27, v22
	v_subb_co_u32_e64 v25, s[0:1], v25, v28, vcc
	v_subrev_co_u32_e64 v27, s[0:1], s72, v22
	v_subbrev_co_u32_e64 v25, s[0:1], 0, v25, s[0:1]
	v_cmp_le_u32_e64 s[0:1], s73, v25
	v_cndmask_b32_e64 v28, 0, -1, s[0:1]
	v_cmp_le_u32_e64 s[0:1], s72, v27
	v_cndmask_b32_e64 v27, 0, -1, s[0:1]
	v_cmp_eq_u32_e64 s[0:1], s73, v25
	v_cndmask_b32_e64 v25, v28, v27, s[0:1]
	v_add_co_u32_e64 v27, s[0:1], 2, v3
	v_subb_co_u32_e32 v23, vcc, v26, v23, vcc
	v_addc_co_u32_e64 v28, s[0:1], 0, v24, s[0:1]
	v_cmp_le_u32_e32 vcc, s73, v23
	v_add_co_u32_e64 v29, s[0:1], 1, v3
	v_cndmask_b32_e64 v26, 0, -1, vcc
	v_cmp_le_u32_e32 vcc, s72, v22
	v_addc_co_u32_e64 v38, s[0:1], 0, v24, s[0:1]
	v_cndmask_b32_e64 v22, 0, -1, vcc
	v_cmp_eq_u32_e32 vcc, s73, v23
	v_cmp_ne_u32_e64 s[0:1], 0, v25
	v_cndmask_b32_e32 v22, v26, v22, vcc
	v_cmp_ne_u32_e32 vcc, 0, v22
	v_cndmask_b32_e64 v23, v29, v27, s[0:1]
	v_cndmask_b32_e64 v25, v38, v28, s[0:1]
	v_cndmask_b32_e32 v3, v3, v23, vcc
	v_xor_b32_e32 v23, s60, v40
	v_cndmask_b32_e32 v22, v24, v25, vcc
	v_xor_b32_e32 v3, v3, v23
	v_xor_b32_e32 v24, v22, v23
	v_sub_co_u32_e32 v22, vcc, v3, v23
	v_subb_co_u32_e32 v23, vcc, v24, v23, vcc
.LBB3_25:                               ;   in Loop: Header=BB3_3 Depth=1
	s_or_saveexec_b64 s[0:1], s[56:57]
	v_cvt_f32_u32_e32 v38, s38
	s_xor_b64 exec, exec, s[0:1]
	s_cbranch_execz .LBB3_27
; %bb.26:                               ;   in Loop: Header=BB3_3 Depth=1
	v_rcp_iflag_f32_e32 v3, v38
	s_sub_i32 s56, 0, s38
	v_mul_f32_e32 v3, 0x4f7ffffe, v3
	v_cvt_u32_f32_e32 v3, v3
	v_mul_lo_u32 v22, s56, v3
	v_mul_hi_u32 v22, v3, v22
	v_add_u32_e32 v3, v3, v22
	v_mul_hi_u32 v3, v30, v3
	v_mul_lo_u32 v22, v3, s38
	v_sub_u32_e32 v22, v30, v22
	v_add_u32_e32 v23, 1, v3
	v_subrev_u32_e32 v24, s38, v22
	v_cmp_le_u32_e32 vcc, s38, v22
	v_cndmask_b32_e32 v22, v22, v24, vcc
	v_cndmask_b32_e32 v3, v3, v23, vcc
	v_add_u32_e32 v23, 1, v3
	v_cmp_le_u32_e32 vcc, s38, v22
	v_cndmask_b32_e32 v22, v3, v23, vcc
	v_mov_b32_e32 v23, v2
.LBB3_27:                               ;   in Loop: Header=BB3_3 Depth=1
	s_or_b64 exec, exec, s[0:1]
	v_mul_lo_u32 v3, v23, s38
	v_mul_lo_u32 v26, v22, s39
	v_mad_u64_u32 v[24:25], s[0:1], v22, s38, 0
	v_add3_u32 v3, v25, v26, v3
	v_sub_co_u32_e32 v24, vcc, v4, v24
	v_subb_co_u32_e32 v3, vcc, v5, v3, vcc
	v_add_co_u32_e32 v24, vcc, v0, v24
	v_addc_co_u32_e32 v3, vcc, v1, v3, vcc
	v_mul_lo_u32 v3, v3, s18
	v_mul_lo_u32 v26, v24, s19
	v_mad_u64_u32 v[24:25], s[0:1], v24, s18, 0
	v_add3_u32 v25, v25, v26, v3
	v_mul_lo_u32 v3, v23, s16
	v_mul_lo_u32 v26, v22, s17
	v_mad_u64_u32 v[22:23], s[0:1], v22, s16, 0
	v_add3_u32 v23, v23, v26, v3
	v_lshlrev_b64 v[22:23], 3, v[22:23]
	v_mov_b32_e32 v3, s37
	v_add_co_u32_e32 v26, vcc, s36, v22
	v_addc_co_u32_e32 v3, vcc, v3, v23, vcc
	v_lshlrev_b64 v[22:23], 3, v[24:25]
	v_add_co_u32_e32 v22, vcc, v26, v22
	v_addc_co_u32_e32 v23, vcc, v3, v23, vcc
	global_load_dwordx2 v[22:23], v[22:23], off
	v_or_b32_e32 v3, s39, v33
	v_cmp_ne_u64_e32 vcc, 0, v[2:3]
                                        ; implicit-def: $vgpr24_vgpr25
	s_and_saveexec_b64 s[0:1], vcc
	s_xor_b64 s[56:57], exec, s[0:1]
	s_cbranch_execz .LBB3_29
; %bb.28:                               ;   in Loop: Header=BB3_3 Depth=1
	s_ashr_i32 s60, s39, 31
	s_add_u32 s0, s38, s60
	s_mov_b32 s61, s60
	s_addc_u32 s1, s39, s60
	s_xor_b64 s[72:73], s[0:1], s[60:61]
	v_cvt_f32_u32_e32 v3, s72
	v_cvt_f32_u32_e32 v24, s73
	s_sub_u32 s0, 0, s72
	s_subb_u32 s1, 0, s73
	v_mac_f32_e32 v3, 0x4f800000, v24
	v_rcp_f32_e32 v3, v3
	v_mul_f32_e32 v3, 0x5f7ffffc, v3
	v_mul_f32_e32 v24, 0x2f800000, v3
	v_trunc_f32_e32 v24, v24
	v_mac_f32_e32 v3, 0xcf800000, v24
	v_cvt_u32_f32_e32 v24, v24
	v_cvt_u32_f32_e32 v3, v3
	v_mul_lo_u32 v25, s0, v24
	v_mul_hi_u32 v27, s0, v3
	v_mul_lo_u32 v26, s1, v3
	v_add_u32_e32 v25, v27, v25
	v_mul_lo_u32 v28, s0, v3
	v_add_u32_e32 v25, v25, v26
	v_mul_lo_u32 v27, v3, v25
	v_mul_hi_u32 v29, v3, v28
	v_mul_hi_u32 v26, v3, v25
	v_add_co_u32_e32 v27, vcc, v29, v27
	v_addc_co_u32_e32 v26, vcc, 0, v26, vcc
	v_mul_hi_u32 v39, v24, v28
	v_mul_lo_u32 v28, v24, v28
	v_add_co_u32_e32 v27, vcc, v27, v28
	v_mul_hi_u32 v29, v24, v25
	v_addc_co_u32_e32 v26, vcc, v26, v39, vcc
	v_addc_co_u32_e32 v27, vcc, 0, v29, vcc
	v_mul_lo_u32 v25, v24, v25
	v_add_co_u32_e32 v25, vcc, v26, v25
	v_addc_co_u32_e32 v26, vcc, 0, v27, vcc
	v_add_co_u32_e32 v3, vcc, v3, v25
	v_addc_co_u32_e32 v24, vcc, v24, v26, vcc
	v_mul_lo_u32 v25, s0, v24
	v_mul_hi_u32 v26, s0, v3
	v_add_u32_e32 v25, v26, v25
	v_mul_lo_u32 v26, s1, v3
	v_add_u32_e32 v25, v25, v26
	v_mul_lo_u32 v27, s0, v3
	v_mul_hi_u32 v28, v24, v27
	v_mul_lo_u32 v29, v24, v27
	v_mul_lo_u32 v45, v3, v25
	v_mul_hi_u32 v27, v3, v27
	v_mul_hi_u32 v39, v3, v25
	v_add_co_u32_e32 v27, vcc, v27, v45
	v_addc_co_u32_e32 v39, vcc, 0, v39, vcc
	v_add_co_u32_e32 v27, vcc, v27, v29
	v_mul_hi_u32 v26, v24, v25
	v_addc_co_u32_e32 v27, vcc, v39, v28, vcc
	v_addc_co_u32_e32 v26, vcc, 0, v26, vcc
	v_mul_lo_u32 v25, v24, v25
	v_add_co_u32_e32 v25, vcc, v27, v25
	v_addc_co_u32_e32 v26, vcc, 0, v26, vcc
	v_add_co_u32_e32 v3, vcc, v3, v25
	v_addc_co_u32_e32 v26, vcc, v24, v26, vcc
	v_add_co_u32_e32 v24, vcc, v32, v41
	v_addc_co_u32_e32 v25, vcc, v33, v41, vcc
	v_xor_b32_e32 v29, v24, v41
	v_xor_b32_e32 v28, v25, v41
	v_mad_u64_u32 v[24:25], s[0:1], v29, v26, 0
	v_mul_hi_u32 v27, v29, v3
	v_add_co_u32_e32 v39, vcc, v27, v24
	v_addc_co_u32_e32 v45, vcc, 0, v25, vcc
	v_mad_u64_u32 v[24:25], s[0:1], v28, v26, 0
	v_mad_u64_u32 v[26:27], s[0:1], v28, v3, 0
	v_add_co_u32_e32 v3, vcc, v39, v26
	v_addc_co_u32_e32 v3, vcc, v45, v27, vcc
	v_addc_co_u32_e32 v25, vcc, 0, v25, vcc
	v_add_co_u32_e32 v3, vcc, v3, v24
	v_addc_co_u32_e32 v26, vcc, 0, v25, vcc
	v_mul_lo_u32 v27, s73, v3
	v_mul_lo_u32 v39, s72, v26
	v_mad_u64_u32 v[24:25], s[0:1], s72, v3, 0
	v_add3_u32 v25, v25, v39, v27
	v_sub_u32_e32 v27, v28, v25
	v_mov_b32_e32 v39, s73
	v_sub_co_u32_e32 v24, vcc, v29, v24
	v_subb_co_u32_e64 v27, s[0:1], v27, v39, vcc
	v_subrev_co_u32_e64 v29, s[0:1], s72, v24
	v_subbrev_co_u32_e64 v27, s[0:1], 0, v27, s[0:1]
	v_cmp_le_u32_e64 s[0:1], s73, v27
	v_cndmask_b32_e64 v39, 0, -1, s[0:1]
	v_cmp_le_u32_e64 s[0:1], s72, v29
	v_cndmask_b32_e64 v29, 0, -1, s[0:1]
	v_cmp_eq_u32_e64 s[0:1], s73, v27
	v_cndmask_b32_e64 v27, v39, v29, s[0:1]
	v_add_co_u32_e64 v29, s[0:1], 2, v3
	v_subb_co_u32_e32 v25, vcc, v28, v25, vcc
	v_addc_co_u32_e64 v39, s[0:1], 0, v26, s[0:1]
	v_cmp_le_u32_e32 vcc, s73, v25
	v_add_co_u32_e64 v45, s[0:1], 1, v3
	v_cndmask_b32_e64 v28, 0, -1, vcc
	v_cmp_le_u32_e32 vcc, s72, v24
	v_addc_co_u32_e64 v46, s[0:1], 0, v26, s[0:1]
	v_cndmask_b32_e64 v24, 0, -1, vcc
	v_cmp_eq_u32_e32 vcc, s73, v25
	v_cmp_ne_u32_e64 s[0:1], 0, v27
	v_cndmask_b32_e32 v24, v28, v24, vcc
	v_cmp_ne_u32_e32 vcc, 0, v24
	v_cndmask_b32_e64 v25, v45, v29, s[0:1]
	v_cndmask_b32_e64 v27, v46, v39, s[0:1]
	v_cndmask_b32_e32 v3, v3, v25, vcc
	v_xor_b32_e32 v25, s60, v41
	v_cndmask_b32_e32 v24, v26, v27, vcc
	v_xor_b32_e32 v3, v3, v25
	v_xor_b32_e32 v26, v24, v25
	v_sub_co_u32_e32 v24, vcc, v3, v25
	v_subb_co_u32_e32 v25, vcc, v26, v25, vcc
.LBB3_29:                               ;   in Loop: Header=BB3_3 Depth=1
	s_andn2_saveexec_b64 s[0:1], s[56:57]
	s_cbranch_execz .LBB3_31
; %bb.30:                               ;   in Loop: Header=BB3_3 Depth=1
	v_rcp_iflag_f32_e32 v3, v38
	s_sub_i32 s56, 0, s38
	v_mul_f32_e32 v3, 0x4f7ffffe, v3
	v_cvt_u32_f32_e32 v3, v3
	v_mul_lo_u32 v24, s56, v3
	v_mul_hi_u32 v24, v3, v24
	v_add_u32_e32 v3, v3, v24
	v_mul_hi_u32 v3, v32, v3
	v_mul_lo_u32 v24, v3, s38
	v_sub_u32_e32 v24, v32, v24
	v_add_u32_e32 v25, 1, v3
	v_subrev_u32_e32 v26, s38, v24
	v_cmp_le_u32_e32 vcc, s38, v24
	v_cndmask_b32_e32 v24, v24, v26, vcc
	v_cndmask_b32_e32 v3, v3, v25, vcc
	v_add_u32_e32 v25, 1, v3
	v_cmp_le_u32_e32 vcc, s38, v24
	v_cndmask_b32_e32 v24, v3, v25, vcc
	v_mov_b32_e32 v25, v2
.LBB3_31:                               ;   in Loop: Header=BB3_3 Depth=1
	s_or_b64 exec, exec, s[0:1]
	v_mul_lo_u32 v3, v25, s38
	v_mul_lo_u32 v28, v24, s39
	v_mad_u64_u32 v[26:27], s[0:1], v24, s38, 0
	v_add3_u32 v3, v27, v28, v3
	v_sub_co_u32_e32 v26, vcc, v12, v26
	v_subb_co_u32_e32 v3, vcc, v13, v3, vcc
	v_add_co_u32_e32 v26, vcc, v0, v26
	v_addc_co_u32_e32 v3, vcc, v1, v3, vcc
	v_mul_lo_u32 v3, v3, s18
	v_mul_lo_u32 v28, v26, s19
	v_mad_u64_u32 v[26:27], s[0:1], v26, s18, 0
	v_add3_u32 v27, v27, v28, v3
	v_mul_lo_u32 v3, v25, s16
	v_mul_lo_u32 v28, v24, s17
	v_mad_u64_u32 v[24:25], s[0:1], v24, s16, 0
	v_add3_u32 v25, v25, v28, v3
	v_lshlrev_b64 v[24:25], 3, v[24:25]
	v_mov_b32_e32 v3, s37
	v_add_co_u32_e32 v28, vcc, s36, v24
	v_addc_co_u32_e32 v3, vcc, v3, v25, vcc
	v_lshlrev_b64 v[24:25], 3, v[26:27]
	v_add_co_u32_e32 v24, vcc, v28, v24
	v_addc_co_u32_e32 v25, vcc, v3, v25, vcc
	global_load_dwordx2 v[24:25], v[24:25], off
	v_or_b32_e32 v3, s39, v35
	v_cmp_ne_u64_e32 vcc, 0, v[2:3]
                                        ; implicit-def: $vgpr26_vgpr27
	s_and_saveexec_b64 s[0:1], vcc
	s_xor_b64 s[56:57], exec, s[0:1]
	s_cbranch_execz .LBB3_33
; %bb.32:                               ;   in Loop: Header=BB3_3 Depth=1
	s_ashr_i32 s60, s39, 31
	s_add_u32 s0, s38, s60
	s_mov_b32 s61, s60
	s_addc_u32 s1, s39, s60
	s_xor_b64 s[72:73], s[0:1], s[60:61]
	v_cvt_f32_u32_e32 v3, s72
	v_cvt_f32_u32_e32 v26, s73
	s_sub_u32 s0, 0, s72
	s_subb_u32 s1, 0, s73
	v_mac_f32_e32 v3, 0x4f800000, v26
	v_rcp_f32_e32 v3, v3
	v_mul_f32_e32 v3, 0x5f7ffffc, v3
	v_mul_f32_e32 v26, 0x2f800000, v3
	v_trunc_f32_e32 v26, v26
	v_mac_f32_e32 v3, 0xcf800000, v26
	v_cvt_u32_f32_e32 v26, v26
	v_cvt_u32_f32_e32 v3, v3
	v_mul_lo_u32 v27, s0, v26
	v_mul_hi_u32 v29, s0, v3
	v_mul_lo_u32 v28, s1, v3
	v_add_u32_e32 v27, v29, v27
	v_mul_lo_u32 v39, s0, v3
	v_add_u32_e32 v27, v27, v28
	v_mul_lo_u32 v29, v3, v27
	v_mul_hi_u32 v45, v3, v39
	v_mul_hi_u32 v28, v3, v27
	v_add_co_u32_e32 v29, vcc, v45, v29
	v_addc_co_u32_e32 v28, vcc, 0, v28, vcc
	v_mul_hi_u32 v46, v26, v39
	v_mul_lo_u32 v39, v26, v39
	v_add_co_u32_e32 v29, vcc, v29, v39
	v_mul_hi_u32 v45, v26, v27
	v_addc_co_u32_e32 v28, vcc, v28, v46, vcc
	v_addc_co_u32_e32 v29, vcc, 0, v45, vcc
	v_mul_lo_u32 v27, v26, v27
	v_add_co_u32_e32 v27, vcc, v28, v27
	v_addc_co_u32_e32 v28, vcc, 0, v29, vcc
	v_add_co_u32_e32 v3, vcc, v3, v27
	v_addc_co_u32_e32 v26, vcc, v26, v28, vcc
	v_mul_lo_u32 v27, s0, v26
	v_mul_hi_u32 v28, s0, v3
	v_add_u32_e32 v27, v28, v27
	v_mul_lo_u32 v28, s1, v3
	v_add_u32_e32 v27, v27, v28
	v_mul_lo_u32 v29, s0, v3
	v_mul_hi_u32 v39, v26, v29
	v_mul_lo_u32 v45, v26, v29
	v_mul_lo_u32 v47, v3, v27
	v_mul_hi_u32 v29, v3, v29
	v_mul_hi_u32 v46, v3, v27
	v_add_co_u32_e32 v29, vcc, v29, v47
	v_addc_co_u32_e32 v46, vcc, 0, v46, vcc
	v_add_co_u32_e32 v29, vcc, v29, v45
	v_mul_hi_u32 v28, v26, v27
	v_addc_co_u32_e32 v29, vcc, v46, v39, vcc
	v_addc_co_u32_e32 v28, vcc, 0, v28, vcc
	v_mul_lo_u32 v27, v26, v27
	v_add_co_u32_e32 v27, vcc, v29, v27
	v_addc_co_u32_e32 v28, vcc, 0, v28, vcc
	v_add_co_u32_e32 v3, vcc, v3, v27
	v_addc_co_u32_e32 v28, vcc, v26, v28, vcc
	;; [unrolled: 2-line block ×3, first 2 shown]
	v_xor_b32_e32 v45, v26, v43
	v_xor_b32_e32 v39, v27, v43
	v_mad_u64_u32 v[26:27], s[0:1], v45, v28, 0
	v_mul_hi_u32 v29, v45, v3
	v_add_co_u32_e32 v46, vcc, v29, v26
	v_addc_co_u32_e32 v47, vcc, 0, v27, vcc
	v_mad_u64_u32 v[26:27], s[0:1], v39, v28, 0
	v_mad_u64_u32 v[28:29], s[0:1], v39, v3, 0
	v_add_co_u32_e32 v3, vcc, v46, v28
	v_addc_co_u32_e32 v3, vcc, v47, v29, vcc
	v_addc_co_u32_e32 v27, vcc, 0, v27, vcc
	v_add_co_u32_e32 v3, vcc, v3, v26
	v_addc_co_u32_e32 v28, vcc, 0, v27, vcc
	v_mul_lo_u32 v29, s73, v3
	v_mul_lo_u32 v46, s72, v28
	v_mad_u64_u32 v[26:27], s[0:1], s72, v3, 0
	v_add3_u32 v27, v27, v46, v29
	v_sub_u32_e32 v29, v39, v27
	v_mov_b32_e32 v46, s73
	v_sub_co_u32_e32 v26, vcc, v45, v26
	v_subb_co_u32_e64 v29, s[0:1], v29, v46, vcc
	v_subrev_co_u32_e64 v45, s[0:1], s72, v26
	v_subbrev_co_u32_e64 v29, s[0:1], 0, v29, s[0:1]
	v_cmp_le_u32_e64 s[0:1], s73, v29
	v_cndmask_b32_e64 v46, 0, -1, s[0:1]
	v_cmp_le_u32_e64 s[0:1], s72, v45
	v_cndmask_b32_e64 v45, 0, -1, s[0:1]
	v_cmp_eq_u32_e64 s[0:1], s73, v29
	v_cndmask_b32_e64 v29, v46, v45, s[0:1]
	v_add_co_u32_e64 v45, s[0:1], 2, v3
	v_subb_co_u32_e32 v27, vcc, v39, v27, vcc
	v_addc_co_u32_e64 v46, s[0:1], 0, v28, s[0:1]
	v_cmp_le_u32_e32 vcc, s73, v27
	v_add_co_u32_e64 v47, s[0:1], 1, v3
	v_cndmask_b32_e64 v39, 0, -1, vcc
	v_cmp_le_u32_e32 vcc, s72, v26
	v_addc_co_u32_e64 v48, s[0:1], 0, v28, s[0:1]
	v_cndmask_b32_e64 v26, 0, -1, vcc
	v_cmp_eq_u32_e32 vcc, s73, v27
	v_cmp_ne_u32_e64 s[0:1], 0, v29
	v_cndmask_b32_e32 v26, v39, v26, vcc
	v_cmp_ne_u32_e32 vcc, 0, v26
	v_cndmask_b32_e64 v27, v47, v45, s[0:1]
	v_cndmask_b32_e64 v29, v48, v46, s[0:1]
	v_cndmask_b32_e32 v3, v3, v27, vcc
	v_xor_b32_e32 v27, s60, v43
	v_cndmask_b32_e32 v26, v28, v29, vcc
	v_xor_b32_e32 v3, v3, v27
	v_xor_b32_e32 v28, v26, v27
	v_sub_co_u32_e32 v26, vcc, v3, v27
	v_subb_co_u32_e32 v27, vcc, v28, v27, vcc
.LBB3_33:                               ;   in Loop: Header=BB3_3 Depth=1
	s_andn2_saveexec_b64 s[0:1], s[56:57]
	s_cbranch_execz .LBB3_35
; %bb.34:                               ;   in Loop: Header=BB3_3 Depth=1
	v_rcp_iflag_f32_e32 v3, v38
	s_sub_i32 s56, 0, s38
	v_mul_f32_e32 v3, 0x4f7ffffe, v3
	v_cvt_u32_f32_e32 v3, v3
	v_mul_lo_u32 v26, s56, v3
	v_mul_hi_u32 v26, v3, v26
	v_add_u32_e32 v3, v3, v26
	v_mul_hi_u32 v3, v34, v3
	v_mul_lo_u32 v26, v3, s38
	v_sub_u32_e32 v26, v34, v26
	v_add_u32_e32 v27, 1, v3
	v_subrev_u32_e32 v28, s38, v26
	v_cmp_le_u32_e32 vcc, s38, v26
	v_cndmask_b32_e32 v26, v26, v28, vcc
	v_cndmask_b32_e32 v3, v3, v27, vcc
	v_add_u32_e32 v27, 1, v3
	v_cmp_le_u32_e32 vcc, s38, v26
	v_cndmask_b32_e32 v26, v3, v27, vcc
	v_mov_b32_e32 v27, v2
.LBB3_35:                               ;   in Loop: Header=BB3_3 Depth=1
	s_or_b64 exec, exec, s[0:1]
	v_mul_lo_u32 v3, v27, s38
	v_mul_lo_u32 v39, v26, s39
	v_mad_u64_u32 v[28:29], s[0:1], v26, s38, 0
	v_add3_u32 v3, v29, v39, v3
	v_sub_co_u32_e32 v28, vcc, v18, v28
	v_subb_co_u32_e32 v3, vcc, v19, v3, vcc
	v_add_co_u32_e32 v28, vcc, v0, v28
	v_addc_co_u32_e32 v3, vcc, v1, v3, vcc
	v_mul_lo_u32 v3, v3, s18
	v_mul_lo_u32 v39, v28, s19
	v_mad_u64_u32 v[28:29], s[0:1], v28, s18, 0
	v_add3_u32 v29, v29, v39, v3
	v_mul_lo_u32 v3, v27, s16
	v_mul_lo_u32 v39, v26, s17
	v_mad_u64_u32 v[26:27], s[0:1], v26, s16, 0
	v_add3_u32 v27, v27, v39, v3
	v_lshlrev_b64 v[26:27], 3, v[26:27]
	v_mov_b32_e32 v3, s37
	v_add_co_u32_e32 v39, vcc, s36, v26
	v_addc_co_u32_e32 v3, vcc, v3, v27, vcc
	v_lshlrev_b64 v[26:27], 3, v[28:29]
	v_add_co_u32_e32 v26, vcc, v39, v26
	v_addc_co_u32_e32 v27, vcc, v3, v27, vcc
	global_load_dwordx2 v[26:27], v[26:27], off
	v_or_b32_e32 v3, s39, v37
	v_cmp_ne_u64_e32 vcc, 0, v[2:3]
                                        ; implicit-def: $vgpr28_vgpr29
	s_and_saveexec_b64 s[0:1], vcc
	s_xor_b64 s[56:57], exec, s[0:1]
	s_cbranch_execz .LBB3_37
; %bb.36:                               ;   in Loop: Header=BB3_3 Depth=1
	s_ashr_i32 s60, s39, 31
	s_add_u32 s0, s38, s60
	s_mov_b32 s61, s60
	s_addc_u32 s1, s39, s60
	s_xor_b64 s[72:73], s[0:1], s[60:61]
	v_cvt_f32_u32_e32 v3, s72
	v_cvt_f32_u32_e32 v28, s73
	s_sub_u32 s0, 0, s72
	s_subb_u32 s1, 0, s73
	v_mac_f32_e32 v3, 0x4f800000, v28
	v_rcp_f32_e32 v3, v3
	v_mul_f32_e32 v3, 0x5f7ffffc, v3
	v_mul_f32_e32 v28, 0x2f800000, v3
	v_trunc_f32_e32 v28, v28
	v_mac_f32_e32 v3, 0xcf800000, v28
	v_cvt_u32_f32_e32 v28, v28
	v_cvt_u32_f32_e32 v3, v3
	v_mul_lo_u32 v29, s0, v28
	v_mul_hi_u32 v39, s0, v3
	v_mul_lo_u32 v38, s1, v3
	v_add_u32_e32 v29, v39, v29
	v_mul_lo_u32 v45, s0, v3
	v_add_u32_e32 v29, v29, v38
	v_mul_lo_u32 v39, v3, v29
	v_mul_hi_u32 v46, v3, v45
	v_mul_hi_u32 v38, v3, v29
	v_add_co_u32_e32 v39, vcc, v46, v39
	v_addc_co_u32_e32 v38, vcc, 0, v38, vcc
	v_mul_hi_u32 v47, v28, v45
	v_mul_lo_u32 v45, v28, v45
	v_add_co_u32_e32 v39, vcc, v39, v45
	v_mul_hi_u32 v46, v28, v29
	v_addc_co_u32_e32 v38, vcc, v38, v47, vcc
	v_addc_co_u32_e32 v39, vcc, 0, v46, vcc
	v_mul_lo_u32 v29, v28, v29
	v_add_co_u32_e32 v29, vcc, v38, v29
	v_addc_co_u32_e32 v38, vcc, 0, v39, vcc
	v_add_co_u32_e32 v3, vcc, v3, v29
	v_addc_co_u32_e32 v28, vcc, v28, v38, vcc
	v_mul_lo_u32 v29, s0, v28
	v_mul_hi_u32 v38, s0, v3
	v_add_u32_e32 v29, v38, v29
	v_mul_lo_u32 v38, s1, v3
	v_add_u32_e32 v29, v29, v38
	v_mul_lo_u32 v39, s0, v3
	v_mul_hi_u32 v45, v28, v39
	v_mul_lo_u32 v46, v28, v39
	v_mul_lo_u32 v48, v3, v29
	v_mul_hi_u32 v39, v3, v39
	v_mul_hi_u32 v47, v3, v29
	v_add_co_u32_e32 v39, vcc, v39, v48
	v_addc_co_u32_e32 v47, vcc, 0, v47, vcc
	v_add_co_u32_e32 v39, vcc, v39, v46
	v_mul_hi_u32 v38, v28, v29
	v_addc_co_u32_e32 v39, vcc, v47, v45, vcc
	v_addc_co_u32_e32 v38, vcc, 0, v38, vcc
	v_mul_lo_u32 v29, v28, v29
	v_add_co_u32_e32 v29, vcc, v39, v29
	v_addc_co_u32_e32 v38, vcc, 0, v38, vcc
	v_add_co_u32_e32 v3, vcc, v3, v29
	v_addc_co_u32_e32 v38, vcc, v28, v38, vcc
	;; [unrolled: 2-line block ×3, first 2 shown]
	v_xor_b32_e32 v46, v28, v44
	v_xor_b32_e32 v45, v29, v44
	v_mad_u64_u32 v[28:29], s[0:1], v46, v38, 0
	v_mul_hi_u32 v39, v46, v3
	v_add_co_u32_e32 v47, vcc, v39, v28
	v_addc_co_u32_e32 v48, vcc, 0, v29, vcc
	v_mad_u64_u32 v[28:29], s[0:1], v45, v38, 0
	v_mad_u64_u32 v[38:39], s[0:1], v45, v3, 0
	v_add_co_u32_e32 v3, vcc, v47, v38
	v_addc_co_u32_e32 v3, vcc, v48, v39, vcc
	v_addc_co_u32_e32 v29, vcc, 0, v29, vcc
	v_add_co_u32_e32 v3, vcc, v3, v28
	v_addc_co_u32_e32 v38, vcc, 0, v29, vcc
	v_mul_lo_u32 v39, s73, v3
	v_mul_lo_u32 v47, s72, v38
	v_mad_u64_u32 v[28:29], s[0:1], s72, v3, 0
	v_add3_u32 v29, v29, v47, v39
	v_sub_u32_e32 v39, v45, v29
	v_mov_b32_e32 v47, s73
	v_sub_co_u32_e32 v28, vcc, v46, v28
	v_subb_co_u32_e64 v39, s[0:1], v39, v47, vcc
	v_subrev_co_u32_e64 v46, s[0:1], s72, v28
	v_subbrev_co_u32_e64 v39, s[0:1], 0, v39, s[0:1]
	v_cmp_le_u32_e64 s[0:1], s73, v39
	v_cndmask_b32_e64 v47, 0, -1, s[0:1]
	v_cmp_le_u32_e64 s[0:1], s72, v46
	v_cndmask_b32_e64 v46, 0, -1, s[0:1]
	v_cmp_eq_u32_e64 s[0:1], s73, v39
	v_cndmask_b32_e64 v39, v47, v46, s[0:1]
	v_add_co_u32_e64 v46, s[0:1], 2, v3
	v_subb_co_u32_e32 v29, vcc, v45, v29, vcc
	v_addc_co_u32_e64 v47, s[0:1], 0, v38, s[0:1]
	v_cmp_le_u32_e32 vcc, s73, v29
	v_add_co_u32_e64 v48, s[0:1], 1, v3
	v_cndmask_b32_e64 v45, 0, -1, vcc
	v_cmp_le_u32_e32 vcc, s72, v28
	v_addc_co_u32_e64 v49, s[0:1], 0, v38, s[0:1]
	v_cndmask_b32_e64 v28, 0, -1, vcc
	v_cmp_eq_u32_e32 vcc, s73, v29
	v_cmp_ne_u32_e64 s[0:1], 0, v39
	v_cndmask_b32_e32 v28, v45, v28, vcc
	v_cmp_ne_u32_e32 vcc, 0, v28
	v_cndmask_b32_e64 v29, v48, v46, s[0:1]
	v_cndmask_b32_e64 v39, v49, v47, s[0:1]
	v_cndmask_b32_e32 v3, v3, v29, vcc
	v_xor_b32_e32 v29, s60, v44
	v_cndmask_b32_e32 v28, v38, v39, vcc
	v_xor_b32_e32 v3, v3, v29
	v_xor_b32_e32 v38, v28, v29
	v_sub_co_u32_e32 v28, vcc, v3, v29
	v_subb_co_u32_e32 v29, vcc, v38, v29, vcc
                                        ; implicit-def: $vgpr38
.LBB3_37:                               ;   in Loop: Header=BB3_3 Depth=1
	s_andn2_saveexec_b64 s[0:1], s[56:57]
	s_cbranch_execz .LBB3_39
; %bb.38:                               ;   in Loop: Header=BB3_3 Depth=1
	v_rcp_iflag_f32_e32 v3, v38
	s_sub_i32 s56, 0, s38
	v_mul_f32_e32 v3, 0x4f7ffffe, v3
	v_cvt_u32_f32_e32 v3, v3
	v_mul_lo_u32 v28, s56, v3
	v_mul_hi_u32 v28, v3, v28
	v_add_u32_e32 v3, v3, v28
	v_mul_hi_u32 v3, v36, v3
	v_mul_lo_u32 v28, v3, s38
	v_sub_u32_e32 v28, v36, v28
	v_add_u32_e32 v29, 1, v3
	v_subrev_u32_e32 v38, s38, v28
	v_cmp_le_u32_e32 vcc, s38, v28
	v_cndmask_b32_e32 v28, v28, v38, vcc
	v_cndmask_b32_e32 v3, v3, v29, vcc
	v_add_u32_e32 v29, 1, v3
	v_cmp_le_u32_e32 vcc, s38, v28
	v_cndmask_b32_e32 v28, v3, v29, vcc
	v_mov_b32_e32 v29, v2
.LBB3_39:                               ;   in Loop: Header=BB3_3 Depth=1
	s_or_b64 exec, exec, s[0:1]
	v_mul_lo_u32 v3, v29, s38
	v_mul_lo_u32 v45, v28, s39
	v_mad_u64_u32 v[38:39], s[0:1], v28, s38, 0
	v_add3_u32 v3, v39, v45, v3
	v_sub_co_u32_e32 v38, vcc, v20, v38
	v_subb_co_u32_e32 v3, vcc, v21, v3, vcc
	v_add_co_u32_e32 v38, vcc, v0, v38
	v_addc_co_u32_e32 v3, vcc, v1, v3, vcc
	v_mul_lo_u32 v3, v3, s18
	v_mul_lo_u32 v45, v38, s19
	v_mad_u64_u32 v[38:39], s[0:1], v38, s18, 0
	v_add3_u32 v39, v39, v45, v3
	v_mul_lo_u32 v3, v29, s16
	v_mul_lo_u32 v45, v28, s17
	v_mad_u64_u32 v[28:29], s[0:1], v28, s16, 0
	v_add3_u32 v29, v29, v45, v3
	v_lshlrev_b64 v[28:29], 3, v[28:29]
	v_mov_b32_e32 v3, s37
	v_add_co_u32_e32 v45, vcc, s36, v28
	v_addc_co_u32_e32 v3, vcc, v3, v29, vcc
	v_lshlrev_b64 v[28:29], 3, v[38:39]
	v_add_co_u32_e32 v28, vcc, v45, v28
	v_addc_co_u32_e32 v29, vcc, v3, v29, vcc
	global_load_dwordx2 v[28:29], v[28:29], off
	s_waitcnt lgkmcnt(0)
	v_or_b32_e32 v3, s65, v31
	v_cmp_ne_u64_e32 vcc, 0, v[2:3]
                                        ; implicit-def: $vgpr38_vgpr39
	s_and_saveexec_b64 s[0:1], vcc
	s_xor_b64 s[56:57], exec, s[0:1]
	s_cbranch_execz .LBB3_41
; %bb.40:                               ;   in Loop: Header=BB3_3 Depth=1
	s_ashr_i32 s60, s65, 31
	s_add_u32 s0, s64, s60
	s_mov_b32 s61, s60
	s_addc_u32 s1, s65, s60
	s_xor_b64 s[72:73], s[0:1], s[60:61]
	v_cvt_f32_u32_e32 v3, s72
	v_cvt_f32_u32_e32 v38, s73
	s_sub_u32 s0, 0, s72
	s_subb_u32 s1, 0, s73
	v_mac_f32_e32 v3, 0x4f800000, v38
	v_rcp_f32_e32 v3, v3
	v_mul_f32_e32 v3, 0x5f7ffffc, v3
	v_mul_f32_e32 v38, 0x2f800000, v3
	v_trunc_f32_e32 v38, v38
	v_mac_f32_e32 v3, 0xcf800000, v38
	v_cvt_u32_f32_e32 v38, v38
	v_cvt_u32_f32_e32 v3, v3
	v_mul_lo_u32 v39, s0, v38
	v_mul_hi_u32 v46, s0, v3
	v_mul_lo_u32 v45, s1, v3
	v_add_u32_e32 v39, v46, v39
	v_mul_lo_u32 v47, s0, v3
	v_add_u32_e32 v39, v39, v45
	v_mul_lo_u32 v46, v3, v39
	v_mul_hi_u32 v48, v3, v47
	v_mul_hi_u32 v45, v3, v39
	v_add_co_u32_e32 v46, vcc, v48, v46
	v_addc_co_u32_e32 v45, vcc, 0, v45, vcc
	v_mul_hi_u32 v49, v38, v47
	v_mul_lo_u32 v47, v38, v47
	v_add_co_u32_e32 v46, vcc, v46, v47
	v_mul_hi_u32 v48, v38, v39
	v_addc_co_u32_e32 v45, vcc, v45, v49, vcc
	v_addc_co_u32_e32 v46, vcc, 0, v48, vcc
	v_mul_lo_u32 v39, v38, v39
	v_add_co_u32_e32 v39, vcc, v45, v39
	v_addc_co_u32_e32 v45, vcc, 0, v46, vcc
	v_add_co_u32_e32 v3, vcc, v3, v39
	v_addc_co_u32_e32 v38, vcc, v38, v45, vcc
	v_mul_lo_u32 v39, s0, v38
	v_mul_hi_u32 v45, s0, v3
	v_add_u32_e32 v39, v45, v39
	v_mul_lo_u32 v45, s1, v3
	v_add_u32_e32 v39, v39, v45
	v_mul_lo_u32 v46, s0, v3
	v_mul_hi_u32 v47, v38, v46
	v_mul_lo_u32 v48, v38, v46
	v_mul_lo_u32 v50, v3, v39
	v_mul_hi_u32 v46, v3, v46
	v_mul_hi_u32 v49, v3, v39
	v_add_co_u32_e32 v46, vcc, v46, v50
	v_addc_co_u32_e32 v49, vcc, 0, v49, vcc
	v_add_co_u32_e32 v46, vcc, v46, v48
	v_mul_hi_u32 v45, v38, v39
	v_addc_co_u32_e32 v46, vcc, v49, v47, vcc
	v_addc_co_u32_e32 v45, vcc, 0, v45, vcc
	v_mul_lo_u32 v39, v38, v39
	v_add_co_u32_e32 v39, vcc, v46, v39
	v_addc_co_u32_e32 v45, vcc, 0, v45, vcc
	v_add_co_u32_e32 v3, vcc, v3, v39
	v_addc_co_u32_e32 v38, vcc, v38, v45, vcc
	v_add_co_u32_e32 v30, vcc, v30, v40
	v_addc_co_u32_e32 v31, vcc, v31, v40, vcc
	v_xor_b32_e32 v46, v30, v40
	v_xor_b32_e32 v45, v31, v40
	v_mad_u64_u32 v[30:31], s[0:1], v46, v38, 0
	v_mul_hi_u32 v39, v46, v3
	v_add_co_u32_e32 v47, vcc, v39, v30
	v_addc_co_u32_e32 v48, vcc, 0, v31, vcc
	v_mad_u64_u32 v[30:31], s[0:1], v45, v38, 0
	v_mad_u64_u32 v[38:39], s[0:1], v45, v3, 0
	v_add_co_u32_e32 v3, vcc, v47, v38
	v_addc_co_u32_e32 v3, vcc, v48, v39, vcc
	v_addc_co_u32_e32 v31, vcc, 0, v31, vcc
	v_add_co_u32_e32 v3, vcc, v3, v30
	v_addc_co_u32_e32 v38, vcc, 0, v31, vcc
	v_mul_lo_u32 v39, s73, v3
	v_mul_lo_u32 v47, s72, v38
	v_mad_u64_u32 v[30:31], s[0:1], s72, v3, 0
	v_add3_u32 v31, v31, v47, v39
	v_sub_u32_e32 v39, v45, v31
	v_mov_b32_e32 v47, s73
	v_sub_co_u32_e32 v30, vcc, v46, v30
	v_subb_co_u32_e64 v39, s[0:1], v39, v47, vcc
	v_subrev_co_u32_e64 v46, s[0:1], s72, v30
	v_subbrev_co_u32_e64 v39, s[0:1], 0, v39, s[0:1]
	v_cmp_le_u32_e64 s[0:1], s73, v39
	v_cndmask_b32_e64 v47, 0, -1, s[0:1]
	v_cmp_le_u32_e64 s[0:1], s72, v46
	v_cndmask_b32_e64 v46, 0, -1, s[0:1]
	v_cmp_eq_u32_e64 s[0:1], s73, v39
	v_cndmask_b32_e64 v39, v47, v46, s[0:1]
	v_add_co_u32_e64 v46, s[0:1], 2, v3
	v_subb_co_u32_e32 v31, vcc, v45, v31, vcc
	v_addc_co_u32_e64 v47, s[0:1], 0, v38, s[0:1]
	v_cmp_le_u32_e32 vcc, s73, v31
	v_add_co_u32_e64 v48, s[0:1], 1, v3
	v_cndmask_b32_e64 v45, 0, -1, vcc
	v_cmp_le_u32_e32 vcc, s72, v30
	v_addc_co_u32_e64 v49, s[0:1], 0, v38, s[0:1]
	v_cndmask_b32_e64 v30, 0, -1, vcc
	v_cmp_eq_u32_e32 vcc, s73, v31
	v_cmp_ne_u32_e64 s[0:1], 0, v39
	v_cndmask_b32_e32 v30, v45, v30, vcc
	v_cmp_ne_u32_e32 vcc, 0, v30
	v_cndmask_b32_e64 v31, v48, v46, s[0:1]
	v_cndmask_b32_e64 v39, v49, v47, s[0:1]
	v_cndmask_b32_e32 v3, v3, v31, vcc
	v_xor_b32_e32 v31, s60, v40
	v_cndmask_b32_e32 v30, v38, v39, vcc
	v_xor_b32_e32 v3, v3, v31
	v_xor_b32_e32 v30, v30, v31
	v_sub_co_u32_e32 v38, vcc, v3, v31
	v_subb_co_u32_e32 v39, vcc, v30, v31, vcc
                                        ; implicit-def: $vgpr30_vgpr31
.LBB3_41:                               ;   in Loop: Header=BB3_3 Depth=1
	s_or_saveexec_b64 s[0:1], s[56:57]
	v_cvt_f32_u32_e32 v45, s64
	s_xor_b64 exec, exec, s[0:1]
	s_cbranch_execz .LBB3_43
; %bb.42:                               ;   in Loop: Header=BB3_3 Depth=1
	v_rcp_iflag_f32_e32 v3, v45
	s_sub_i32 s56, 0, s64
	v_mov_b32_e32 v39, v2
	v_mul_f32_e32 v3, 0x4f7ffffe, v3
	v_cvt_u32_f32_e32 v3, v3
	v_mul_lo_u32 v31, s56, v3
	v_mul_hi_u32 v31, v3, v31
	v_add_u32_e32 v3, v3, v31
	v_mul_hi_u32 v3, v30, v3
	v_mul_lo_u32 v31, v3, s64
	v_sub_u32_e32 v30, v30, v31
	v_add_u32_e32 v38, 1, v3
	v_subrev_u32_e32 v31, s64, v30
	v_cmp_le_u32_e32 vcc, s64, v30
	v_cndmask_b32_e32 v30, v30, v31, vcc
	v_cndmask_b32_e32 v3, v3, v38, vcc
	v_add_u32_e32 v31, 1, v3
	v_cmp_le_u32_e32 vcc, s64, v30
	v_cndmask_b32_e32 v38, v3, v31, vcc
.LBB3_43:                               ;   in Loop: Header=BB3_3 Depth=1
	s_or_b64 exec, exec, s[0:1]
	v_or_b32_e32 v3, s65, v33
	v_cmp_ne_u64_e32 vcc, 0, v[2:3]
                                        ; implicit-def: $vgpr30_vgpr31
	s_and_saveexec_b64 s[0:1], vcc
	s_xor_b64 s[56:57], exec, s[0:1]
	s_cbranch_execz .LBB3_45
; %bb.44:                               ;   in Loop: Header=BB3_3 Depth=1
	s_ashr_i32 s60, s65, 31
	s_add_u32 s0, s64, s60
	s_mov_b32 s61, s60
	s_addc_u32 s1, s65, s60
	s_xor_b64 s[72:73], s[0:1], s[60:61]
	v_cvt_f32_u32_e32 v3, s72
	v_cvt_f32_u32_e32 v30, s73
	s_sub_u32 s0, 0, s72
	s_subb_u32 s1, 0, s73
	v_mac_f32_e32 v3, 0x4f800000, v30
	v_rcp_f32_e32 v3, v3
	v_mul_f32_e32 v3, 0x5f7ffffc, v3
	v_mul_f32_e32 v30, 0x2f800000, v3
	v_trunc_f32_e32 v30, v30
	v_mac_f32_e32 v3, 0xcf800000, v30
	v_cvt_u32_f32_e32 v30, v30
	v_cvt_u32_f32_e32 v3, v3
	v_mul_lo_u32 v31, s0, v30
	v_mul_hi_u32 v46, s0, v3
	v_mul_lo_u32 v40, s1, v3
	v_add_u32_e32 v31, v46, v31
	v_mul_lo_u32 v47, s0, v3
	v_add_u32_e32 v31, v31, v40
	v_mul_lo_u32 v46, v3, v31
	v_mul_hi_u32 v48, v3, v47
	v_mul_hi_u32 v40, v3, v31
	v_add_co_u32_e32 v46, vcc, v48, v46
	v_addc_co_u32_e32 v40, vcc, 0, v40, vcc
	v_mul_hi_u32 v49, v30, v47
	v_mul_lo_u32 v47, v30, v47
	v_add_co_u32_e32 v46, vcc, v46, v47
	v_mul_hi_u32 v48, v30, v31
	v_addc_co_u32_e32 v40, vcc, v40, v49, vcc
	v_addc_co_u32_e32 v46, vcc, 0, v48, vcc
	v_mul_lo_u32 v31, v30, v31
	v_add_co_u32_e32 v31, vcc, v40, v31
	v_addc_co_u32_e32 v40, vcc, 0, v46, vcc
	v_add_co_u32_e32 v3, vcc, v3, v31
	v_addc_co_u32_e32 v30, vcc, v30, v40, vcc
	v_mul_lo_u32 v31, s0, v30
	v_mul_hi_u32 v40, s0, v3
	v_add_u32_e32 v31, v40, v31
	v_mul_lo_u32 v40, s1, v3
	v_add_u32_e32 v31, v31, v40
	v_mul_lo_u32 v46, s0, v3
	v_mul_hi_u32 v47, v30, v46
	v_mul_lo_u32 v48, v30, v46
	v_mul_lo_u32 v50, v3, v31
	v_mul_hi_u32 v46, v3, v46
	v_mul_hi_u32 v49, v3, v31
	v_add_co_u32_e32 v46, vcc, v46, v50
	v_addc_co_u32_e32 v49, vcc, 0, v49, vcc
	v_add_co_u32_e32 v46, vcc, v46, v48
	v_mul_hi_u32 v40, v30, v31
	v_addc_co_u32_e32 v46, vcc, v49, v47, vcc
	v_addc_co_u32_e32 v40, vcc, 0, v40, vcc
	v_mul_lo_u32 v31, v30, v31
	v_add_co_u32_e32 v31, vcc, v46, v31
	v_addc_co_u32_e32 v40, vcc, 0, v40, vcc
	v_add_co_u32_e32 v3, vcc, v3, v31
	v_addc_co_u32_e32 v40, vcc, v30, v40, vcc
	;; [unrolled: 2-line block ×3, first 2 shown]
	v_xor_b32_e32 v47, v30, v41
	v_xor_b32_e32 v46, v31, v41
	v_mad_u64_u32 v[30:31], s[0:1], v47, v40, 0
	v_mul_hi_u32 v32, v47, v3
	v_add_co_u32_e32 v48, vcc, v32, v30
	v_addc_co_u32_e32 v49, vcc, 0, v31, vcc
	v_mad_u64_u32 v[32:33], s[0:1], v46, v3, 0
	v_add_co_u32_e32 v3, vcc, v48, v32
	v_mad_u64_u32 v[30:31], s[0:1], v46, v40, 0
	v_addc_co_u32_e32 v3, vcc, v49, v33, vcc
	v_addc_co_u32_e32 v31, vcc, 0, v31, vcc
	v_add_co_u32_e32 v3, vcc, v3, v30
	v_addc_co_u32_e32 v32, vcc, 0, v31, vcc
	v_mul_lo_u32 v33, s73, v3
	v_mul_lo_u32 v40, s72, v32
	v_mad_u64_u32 v[30:31], s[0:1], s72, v3, 0
	v_add3_u32 v31, v31, v40, v33
	v_sub_u32_e32 v33, v46, v31
	v_mov_b32_e32 v40, s73
	v_sub_co_u32_e32 v30, vcc, v47, v30
	v_subb_co_u32_e64 v33, s[0:1], v33, v40, vcc
	v_subrev_co_u32_e64 v40, s[0:1], s72, v30
	v_subbrev_co_u32_e64 v33, s[0:1], 0, v33, s[0:1]
	v_cmp_le_u32_e64 s[0:1], s73, v33
	v_cndmask_b32_e64 v47, 0, -1, s[0:1]
	v_cmp_le_u32_e64 s[0:1], s72, v40
	v_cndmask_b32_e64 v40, 0, -1, s[0:1]
	v_cmp_eq_u32_e64 s[0:1], s73, v33
	v_cndmask_b32_e64 v33, v47, v40, s[0:1]
	v_add_co_u32_e64 v40, s[0:1], 2, v3
	v_subb_co_u32_e32 v31, vcc, v46, v31, vcc
	v_addc_co_u32_e64 v47, s[0:1], 0, v32, s[0:1]
	v_cmp_le_u32_e32 vcc, s73, v31
	v_add_co_u32_e64 v48, s[0:1], 1, v3
	v_cndmask_b32_e64 v46, 0, -1, vcc
	v_cmp_le_u32_e32 vcc, s72, v30
	v_addc_co_u32_e64 v49, s[0:1], 0, v32, s[0:1]
	v_cndmask_b32_e64 v30, 0, -1, vcc
	v_cmp_eq_u32_e32 vcc, s73, v31
	v_cmp_ne_u32_e64 s[0:1], 0, v33
	v_cndmask_b32_e32 v30, v46, v30, vcc
	v_cmp_ne_u32_e32 vcc, 0, v30
	v_cndmask_b32_e64 v31, v48, v40, s[0:1]
	v_cndmask_b32_e64 v33, v49, v47, s[0:1]
	v_cndmask_b32_e32 v3, v3, v31, vcc
	v_xor_b32_e32 v31, s60, v41
	v_cndmask_b32_e32 v30, v32, v33, vcc
	v_xor_b32_e32 v3, v3, v31
	v_xor_b32_e32 v32, v30, v31
	v_sub_co_u32_e32 v30, vcc, v3, v31
	v_subb_co_u32_e32 v31, vcc, v32, v31, vcc
                                        ; implicit-def: $vgpr32_vgpr33
.LBB3_45:                               ;   in Loop: Header=BB3_3 Depth=1
	s_andn2_saveexec_b64 s[0:1], s[56:57]
	s_cbranch_execz .LBB3_47
; %bb.46:                               ;   in Loop: Header=BB3_3 Depth=1
	v_rcp_iflag_f32_e32 v3, v45
	s_sub_i32 s56, 0, s64
	v_mul_f32_e32 v3, 0x4f7ffffe, v3
	v_cvt_u32_f32_e32 v3, v3
	v_mul_lo_u32 v30, s56, v3
	v_mul_hi_u32 v30, v3, v30
	v_add_u32_e32 v3, v3, v30
	v_mul_hi_u32 v3, v32, v3
	v_mul_lo_u32 v30, v3, s64
	v_sub_u32_e32 v30, v32, v30
	v_add_u32_e32 v31, 1, v3
	v_subrev_u32_e32 v32, s64, v30
	v_cmp_le_u32_e32 vcc, s64, v30
	v_cndmask_b32_e32 v30, v30, v32, vcc
	v_cndmask_b32_e32 v3, v3, v31, vcc
	v_add_u32_e32 v31, 1, v3
	v_cmp_le_u32_e32 vcc, s64, v30
	v_cndmask_b32_e32 v30, v3, v31, vcc
	v_mov_b32_e32 v31, v2
.LBB3_47:                               ;   in Loop: Header=BB3_3 Depth=1
	s_or_b64 exec, exec, s[0:1]
	v_or_b32_e32 v3, s65, v35
	v_cmp_ne_u64_e32 vcc, 0, v[2:3]
                                        ; implicit-def: $vgpr32_vgpr33
	s_and_saveexec_b64 s[0:1], vcc
	s_xor_b64 s[56:57], exec, s[0:1]
	s_cbranch_execz .LBB3_49
; %bb.48:                               ;   in Loop: Header=BB3_3 Depth=1
	s_ashr_i32 s60, s65, 31
	s_add_u32 s0, s64, s60
	s_mov_b32 s61, s60
	s_addc_u32 s1, s65, s60
	s_xor_b64 s[72:73], s[0:1], s[60:61]
	v_cvt_f32_u32_e32 v3, s72
	v_cvt_f32_u32_e32 v32, s73
	s_sub_u32 s0, 0, s72
	s_subb_u32 s1, 0, s73
	v_mac_f32_e32 v3, 0x4f800000, v32
	v_rcp_f32_e32 v3, v3
	v_mul_f32_e32 v3, 0x5f7ffffc, v3
	v_mul_f32_e32 v32, 0x2f800000, v3
	v_trunc_f32_e32 v32, v32
	v_mac_f32_e32 v3, 0xcf800000, v32
	v_cvt_u32_f32_e32 v32, v32
	v_cvt_u32_f32_e32 v3, v3
	v_mul_lo_u32 v33, s0, v32
	v_mul_hi_u32 v41, s0, v3
	v_mul_lo_u32 v40, s1, v3
	v_add_u32_e32 v33, v41, v33
	v_mul_lo_u32 v46, s0, v3
	v_add_u32_e32 v33, v33, v40
	v_mul_lo_u32 v41, v3, v33
	v_mul_hi_u32 v47, v3, v46
	v_mul_hi_u32 v40, v3, v33
	v_add_co_u32_e32 v41, vcc, v47, v41
	v_addc_co_u32_e32 v40, vcc, 0, v40, vcc
	v_mul_hi_u32 v48, v32, v46
	v_mul_lo_u32 v46, v32, v46
	v_add_co_u32_e32 v41, vcc, v41, v46
	v_mul_hi_u32 v47, v32, v33
	v_addc_co_u32_e32 v40, vcc, v40, v48, vcc
	v_addc_co_u32_e32 v41, vcc, 0, v47, vcc
	v_mul_lo_u32 v33, v32, v33
	v_add_co_u32_e32 v33, vcc, v40, v33
	v_addc_co_u32_e32 v40, vcc, 0, v41, vcc
	v_add_co_u32_e32 v3, vcc, v3, v33
	v_addc_co_u32_e32 v32, vcc, v32, v40, vcc
	v_mul_lo_u32 v33, s0, v32
	v_mul_hi_u32 v40, s0, v3
	v_add_u32_e32 v33, v40, v33
	v_mul_lo_u32 v40, s1, v3
	v_add_u32_e32 v33, v33, v40
	v_mul_lo_u32 v41, s0, v3
	v_mul_hi_u32 v46, v32, v41
	v_mul_lo_u32 v47, v32, v41
	v_mul_lo_u32 v49, v3, v33
	v_mul_hi_u32 v41, v3, v41
	v_mul_hi_u32 v48, v3, v33
	v_add_co_u32_e32 v41, vcc, v41, v49
	v_addc_co_u32_e32 v48, vcc, 0, v48, vcc
	v_add_co_u32_e32 v41, vcc, v41, v47
	v_mul_hi_u32 v40, v32, v33
	v_addc_co_u32_e32 v41, vcc, v48, v46, vcc
	v_addc_co_u32_e32 v40, vcc, 0, v40, vcc
	v_mul_lo_u32 v33, v32, v33
	v_add_co_u32_e32 v33, vcc, v41, v33
	v_addc_co_u32_e32 v40, vcc, 0, v40, vcc
	v_add_co_u32_e32 v3, vcc, v3, v33
	v_addc_co_u32_e32 v40, vcc, v32, v40, vcc
	;; [unrolled: 2-line block ×3, first 2 shown]
	v_xor_b32_e32 v46, v32, v43
	v_xor_b32_e32 v41, v33, v43
	v_mad_u64_u32 v[32:33], s[0:1], v46, v40, 0
	v_mul_hi_u32 v34, v46, v3
	v_add_co_u32_e32 v47, vcc, v34, v32
	v_addc_co_u32_e32 v48, vcc, 0, v33, vcc
	v_mad_u64_u32 v[34:35], s[0:1], v41, v3, 0
	v_add_co_u32_e32 v3, vcc, v47, v34
	v_mad_u64_u32 v[32:33], s[0:1], v41, v40, 0
	v_addc_co_u32_e32 v3, vcc, v48, v35, vcc
	v_addc_co_u32_e32 v33, vcc, 0, v33, vcc
	v_add_co_u32_e32 v3, vcc, v3, v32
	v_addc_co_u32_e32 v34, vcc, 0, v33, vcc
	v_mul_lo_u32 v35, s73, v3
	v_mul_lo_u32 v40, s72, v34
	v_mad_u64_u32 v[32:33], s[0:1], s72, v3, 0
	v_add3_u32 v33, v33, v40, v35
	v_sub_u32_e32 v35, v41, v33
	v_mov_b32_e32 v40, s73
	v_sub_co_u32_e32 v32, vcc, v46, v32
	v_subb_co_u32_e64 v35, s[0:1], v35, v40, vcc
	v_subrev_co_u32_e64 v40, s[0:1], s72, v32
	v_subbrev_co_u32_e64 v35, s[0:1], 0, v35, s[0:1]
	v_cmp_le_u32_e64 s[0:1], s73, v35
	v_cndmask_b32_e64 v46, 0, -1, s[0:1]
	v_cmp_le_u32_e64 s[0:1], s72, v40
	v_cndmask_b32_e64 v40, 0, -1, s[0:1]
	v_cmp_eq_u32_e64 s[0:1], s73, v35
	v_cndmask_b32_e64 v35, v46, v40, s[0:1]
	v_add_co_u32_e64 v40, s[0:1], 2, v3
	v_subb_co_u32_e32 v33, vcc, v41, v33, vcc
	v_addc_co_u32_e64 v46, s[0:1], 0, v34, s[0:1]
	v_cmp_le_u32_e32 vcc, s73, v33
	v_add_co_u32_e64 v47, s[0:1], 1, v3
	v_cndmask_b32_e64 v41, 0, -1, vcc
	v_cmp_le_u32_e32 vcc, s72, v32
	v_addc_co_u32_e64 v48, s[0:1], 0, v34, s[0:1]
	v_cndmask_b32_e64 v32, 0, -1, vcc
	v_cmp_eq_u32_e32 vcc, s73, v33
	v_cmp_ne_u32_e64 s[0:1], 0, v35
	v_cndmask_b32_e32 v32, v41, v32, vcc
	v_cmp_ne_u32_e32 vcc, 0, v32
	v_cndmask_b32_e64 v33, v47, v40, s[0:1]
	v_cndmask_b32_e64 v35, v48, v46, s[0:1]
	v_cndmask_b32_e32 v3, v3, v33, vcc
	v_xor_b32_e32 v33, s60, v43
	v_cndmask_b32_e32 v32, v34, v35, vcc
	v_xor_b32_e32 v3, v3, v33
	v_xor_b32_e32 v34, v32, v33
	v_sub_co_u32_e32 v32, vcc, v3, v33
	v_subb_co_u32_e32 v33, vcc, v34, v33, vcc
                                        ; implicit-def: $vgpr34_vgpr35
.LBB3_49:                               ;   in Loop: Header=BB3_3 Depth=1
	s_andn2_saveexec_b64 s[0:1], s[56:57]
	s_cbranch_execz .LBB3_51
; %bb.50:                               ;   in Loop: Header=BB3_3 Depth=1
	v_rcp_iflag_f32_e32 v3, v45
	s_sub_i32 s56, 0, s64
	v_mul_f32_e32 v3, 0x4f7ffffe, v3
	v_cvt_u32_f32_e32 v3, v3
	v_mul_lo_u32 v32, s56, v3
	v_mul_hi_u32 v32, v3, v32
	v_add_u32_e32 v3, v3, v32
	v_mul_hi_u32 v3, v34, v3
	v_mul_lo_u32 v32, v3, s64
	v_sub_u32_e32 v32, v34, v32
	v_add_u32_e32 v33, 1, v3
	v_subrev_u32_e32 v34, s64, v32
	v_cmp_le_u32_e32 vcc, s64, v32
	v_cndmask_b32_e32 v32, v32, v34, vcc
	v_cndmask_b32_e32 v3, v3, v33, vcc
	v_add_u32_e32 v33, 1, v3
	v_cmp_le_u32_e32 vcc, s64, v32
	v_cndmask_b32_e32 v32, v3, v33, vcc
	v_mov_b32_e32 v33, v2
.LBB3_51:                               ;   in Loop: Header=BB3_3 Depth=1
	s_or_b64 exec, exec, s[0:1]
	v_or_b32_e32 v3, s65, v37
	v_cmp_ne_u64_e32 vcc, 0, v[2:3]
                                        ; implicit-def: $vgpr40_vgpr41
	s_and_saveexec_b64 s[0:1], vcc
	s_xor_b64 s[56:57], exec, s[0:1]
	s_cbranch_execz .LBB3_53
; %bb.52:                               ;   in Loop: Header=BB3_3 Depth=1
	s_ashr_i32 s60, s65, 31
	s_add_u32 s0, s64, s60
	s_mov_b32 s61, s60
	s_addc_u32 s1, s65, s60
	s_xor_b64 s[72:73], s[0:1], s[60:61]
	v_cvt_f32_u32_e32 v3, s72
	v_cvt_f32_u32_e32 v34, s73
	s_sub_u32 s0, 0, s72
	s_subb_u32 s1, 0, s73
	v_mac_f32_e32 v3, 0x4f800000, v34
	v_rcp_f32_e32 v3, v3
	v_mul_f32_e32 v3, 0x5f7ffffc, v3
	v_mul_f32_e32 v34, 0x2f800000, v3
	v_trunc_f32_e32 v34, v34
	v_mac_f32_e32 v3, 0xcf800000, v34
	v_cvt_u32_f32_e32 v34, v34
	v_cvt_u32_f32_e32 v3, v3
	v_mul_lo_u32 v35, s0, v34
	v_mul_hi_u32 v41, s0, v3
	v_mul_lo_u32 v40, s1, v3
	v_add_u32_e32 v35, v41, v35
	v_mul_lo_u32 v43, s0, v3
	v_add_u32_e32 v35, v35, v40
	v_mul_lo_u32 v41, v3, v35
	v_mul_hi_u32 v45, v3, v43
	v_mul_hi_u32 v40, v3, v35
	v_add_co_u32_e32 v41, vcc, v45, v41
	v_addc_co_u32_e32 v40, vcc, 0, v40, vcc
	v_mul_hi_u32 v46, v34, v43
	v_mul_lo_u32 v43, v34, v43
	v_add_co_u32_e32 v41, vcc, v41, v43
	v_mul_hi_u32 v45, v34, v35
	v_addc_co_u32_e32 v40, vcc, v40, v46, vcc
	v_addc_co_u32_e32 v41, vcc, 0, v45, vcc
	v_mul_lo_u32 v35, v34, v35
	v_add_co_u32_e32 v35, vcc, v40, v35
	v_addc_co_u32_e32 v40, vcc, 0, v41, vcc
	v_add_co_u32_e32 v3, vcc, v3, v35
	v_addc_co_u32_e32 v34, vcc, v34, v40, vcc
	v_mul_lo_u32 v35, s0, v34
	v_mul_hi_u32 v40, s0, v3
	v_add_u32_e32 v35, v40, v35
	v_mul_lo_u32 v40, s1, v3
	v_add_u32_e32 v35, v35, v40
	v_mul_lo_u32 v41, s0, v3
	v_mul_hi_u32 v43, v34, v41
	v_mul_lo_u32 v45, v34, v41
	v_mul_lo_u32 v47, v3, v35
	v_mul_hi_u32 v41, v3, v41
	v_mul_hi_u32 v46, v3, v35
	v_add_co_u32_e32 v41, vcc, v41, v47
	v_addc_co_u32_e32 v46, vcc, 0, v46, vcc
	v_add_co_u32_e32 v41, vcc, v41, v45
	v_mul_hi_u32 v40, v34, v35
	v_addc_co_u32_e32 v41, vcc, v46, v43, vcc
	v_addc_co_u32_e32 v40, vcc, 0, v40, vcc
	v_mul_lo_u32 v35, v34, v35
	v_add_co_u32_e32 v35, vcc, v41, v35
	v_addc_co_u32_e32 v40, vcc, 0, v40, vcc
	v_add_co_u32_e32 v3, vcc, v3, v35
	v_addc_co_u32_e32 v40, vcc, v34, v40, vcc
	;; [unrolled: 2-line block ×3, first 2 shown]
	v_xor_b32_e32 v43, v34, v44
	v_xor_b32_e32 v41, v35, v44
	v_mad_u64_u32 v[34:35], s[0:1], v43, v40, 0
	v_mul_hi_u32 v36, v43, v3
	v_add_co_u32_e32 v45, vcc, v36, v34
	v_addc_co_u32_e32 v46, vcc, 0, v35, vcc
	v_mad_u64_u32 v[36:37], s[0:1], v41, v3, 0
	v_add_co_u32_e32 v3, vcc, v45, v36
	v_mad_u64_u32 v[34:35], s[0:1], v41, v40, 0
	v_addc_co_u32_e32 v3, vcc, v46, v37, vcc
	v_addc_co_u32_e32 v35, vcc, 0, v35, vcc
	v_add_co_u32_e32 v3, vcc, v3, v34
	v_addc_co_u32_e32 v36, vcc, 0, v35, vcc
	v_mul_lo_u32 v37, s73, v3
	v_mul_lo_u32 v40, s72, v36
	v_mad_u64_u32 v[34:35], s[0:1], s72, v3, 0
	v_add3_u32 v35, v35, v40, v37
	v_sub_u32_e32 v37, v41, v35
	v_mov_b32_e32 v40, s73
	v_sub_co_u32_e32 v34, vcc, v43, v34
	v_subb_co_u32_e64 v37, s[0:1], v37, v40, vcc
	v_subrev_co_u32_e64 v40, s[0:1], s72, v34
	v_subbrev_co_u32_e64 v37, s[0:1], 0, v37, s[0:1]
	v_cmp_le_u32_e64 s[0:1], s73, v37
	v_cndmask_b32_e64 v43, 0, -1, s[0:1]
	v_cmp_le_u32_e64 s[0:1], s72, v40
	v_cndmask_b32_e64 v40, 0, -1, s[0:1]
	v_cmp_eq_u32_e64 s[0:1], s73, v37
	v_cndmask_b32_e64 v37, v43, v40, s[0:1]
	v_add_co_u32_e64 v40, s[0:1], 2, v3
	v_subb_co_u32_e32 v35, vcc, v41, v35, vcc
	v_addc_co_u32_e64 v43, s[0:1], 0, v36, s[0:1]
	v_cmp_le_u32_e32 vcc, s73, v35
	v_add_co_u32_e64 v45, s[0:1], 1, v3
	v_cndmask_b32_e64 v41, 0, -1, vcc
	v_cmp_le_u32_e32 vcc, s72, v34
	v_addc_co_u32_e64 v46, s[0:1], 0, v36, s[0:1]
	v_cndmask_b32_e64 v34, 0, -1, vcc
	v_cmp_eq_u32_e32 vcc, s73, v35
	v_cmp_ne_u32_e64 s[0:1], 0, v37
	v_cndmask_b32_e32 v34, v41, v34, vcc
	v_cmp_ne_u32_e32 vcc, 0, v34
	v_cndmask_b32_e64 v35, v45, v40, s[0:1]
	v_cndmask_b32_e64 v37, v46, v43, s[0:1]
	v_cndmask_b32_e32 v3, v3, v35, vcc
	v_xor_b32_e32 v35, s60, v44
	v_cndmask_b32_e32 v34, v36, v37, vcc
	v_xor_b32_e32 v3, v3, v35
	v_xor_b32_e32 v34, v34, v35
	v_sub_co_u32_e32 v40, vcc, v3, v35
	v_subb_co_u32_e32 v41, vcc, v34, v35, vcc
                                        ; implicit-def: $vgpr45
                                        ; implicit-def: $vgpr36_vgpr37
.LBB3_53:                               ;   in Loop: Header=BB3_3 Depth=1
	s_andn2_saveexec_b64 s[0:1], s[56:57]
	s_cbranch_execz .LBB3_55
; %bb.54:                               ;   in Loop: Header=BB3_3 Depth=1
	v_rcp_iflag_f32_e32 v3, v45
	s_sub_i32 s56, 0, s64
	v_mov_b32_e32 v41, v2
	v_mul_f32_e32 v3, 0x4f7ffffe, v3
	v_cvt_u32_f32_e32 v3, v3
	v_mul_lo_u32 v34, s56, v3
	v_mul_hi_u32 v34, v3, v34
	v_add_u32_e32 v3, v3, v34
	v_mul_hi_u32 v3, v36, v3
	v_mul_lo_u32 v34, v3, s64
	v_sub_u32_e32 v34, v36, v34
	v_add_u32_e32 v35, 1, v3
	v_subrev_u32_e32 v36, s64, v34
	v_cmp_le_u32_e32 vcc, s64, v34
	v_cndmask_b32_e32 v34, v34, v36, vcc
	v_cndmask_b32_e32 v3, v3, v35, vcc
	v_add_u32_e32 v35, 1, v3
	v_cmp_le_u32_e32 vcc, s64, v34
	v_cndmask_b32_e32 v40, v3, v35, vcc
.LBB3_55:                               ;   in Loop: Header=BB3_3 Depth=1
	s_or_b64 exec, exec, s[0:1]
	v_or_b32_e32 v3, s51, v1
	v_cmp_ne_u64_e32 vcc, 0, v[2:3]
                                        ; implicit-def: $vgpr34_vgpr35
	s_and_saveexec_b64 s[0:1], vcc
	s_xor_b64 s[56:57], exec, s[0:1]
	s_cbranch_execz .LBB3_57
; %bb.56:                               ;   in Loop: Header=BB3_3 Depth=1
	s_ashr_i32 s60, s51, 31
	s_add_u32 s0, s50, s60
	s_mov_b32 s61, s60
	s_addc_u32 s1, s51, s60
	s_xor_b64 s[72:73], s[0:1], s[60:61]
	v_cvt_f32_u32_e32 v3, s72
	v_cvt_f32_u32_e32 v34, s73
	s_sub_u32 s0, 0, s72
	s_subb_u32 s1, 0, s73
	v_mac_f32_e32 v3, 0x4f800000, v34
	v_rcp_f32_e32 v3, v3
	v_mul_f32_e32 v3, 0x5f7ffffc, v3
	v_mul_f32_e32 v34, 0x2f800000, v3
	v_trunc_f32_e32 v34, v34
	v_mac_f32_e32 v3, 0xcf800000, v34
	v_cvt_u32_f32_e32 v34, v34
	v_cvt_u32_f32_e32 v3, v3
	v_mul_lo_u32 v35, s0, v34
	v_mul_hi_u32 v37, s0, v3
	v_mul_lo_u32 v36, s1, v3
	v_add_u32_e32 v35, v37, v35
	v_mul_lo_u32 v43, s0, v3
	v_add_u32_e32 v35, v35, v36
	v_mul_lo_u32 v37, v3, v35
	v_mul_hi_u32 v44, v3, v43
	v_mul_hi_u32 v36, v3, v35
	v_add_co_u32_e32 v37, vcc, v44, v37
	v_addc_co_u32_e32 v36, vcc, 0, v36, vcc
	v_mul_hi_u32 v45, v34, v43
	v_mul_lo_u32 v43, v34, v43
	v_add_co_u32_e32 v37, vcc, v37, v43
	v_mul_hi_u32 v44, v34, v35
	v_addc_co_u32_e32 v36, vcc, v36, v45, vcc
	v_addc_co_u32_e32 v37, vcc, 0, v44, vcc
	v_mul_lo_u32 v35, v34, v35
	v_add_co_u32_e32 v35, vcc, v36, v35
	v_addc_co_u32_e32 v36, vcc, 0, v37, vcc
	v_add_co_u32_e32 v3, vcc, v3, v35
	v_addc_co_u32_e32 v34, vcc, v34, v36, vcc
	v_mul_lo_u32 v35, s0, v34
	v_mul_hi_u32 v36, s0, v3
	v_add_u32_e32 v35, v36, v35
	v_mul_lo_u32 v36, s1, v3
	v_add_u32_e32 v35, v35, v36
	v_mul_lo_u32 v37, s0, v3
	v_mul_hi_u32 v43, v34, v37
	v_mul_lo_u32 v44, v34, v37
	v_mul_lo_u32 v46, v3, v35
	v_mul_hi_u32 v37, v3, v37
	v_mul_hi_u32 v45, v3, v35
	v_add_co_u32_e32 v37, vcc, v37, v46
	v_addc_co_u32_e32 v45, vcc, 0, v45, vcc
	v_add_co_u32_e32 v37, vcc, v37, v44
	v_mul_hi_u32 v36, v34, v35
	v_addc_co_u32_e32 v37, vcc, v45, v43, vcc
	v_addc_co_u32_e32 v36, vcc, 0, v36, vcc
	v_mul_lo_u32 v35, v34, v35
	v_add_co_u32_e32 v35, vcc, v37, v35
	v_addc_co_u32_e32 v36, vcc, 0, v36, vcc
	v_add_co_u32_e32 v3, vcc, v3, v35
	v_addc_co_u32_e32 v36, vcc, v34, v36, vcc
	;; [unrolled: 2-line block ×3, first 2 shown]
	v_xor_b32_e32 v44, v34, v42
	v_xor_b32_e32 v43, v35, v42
	v_mad_u64_u32 v[34:35], s[0:1], v44, v36, 0
	v_mul_hi_u32 v37, v44, v3
	v_add_co_u32_e32 v45, vcc, v37, v34
	v_addc_co_u32_e32 v46, vcc, 0, v35, vcc
	v_mad_u64_u32 v[34:35], s[0:1], v43, v36, 0
	v_mad_u64_u32 v[36:37], s[0:1], v43, v3, 0
	v_add_co_u32_e32 v3, vcc, v45, v36
	v_addc_co_u32_e32 v3, vcc, v46, v37, vcc
	v_addc_co_u32_e32 v35, vcc, 0, v35, vcc
	v_add_co_u32_e32 v3, vcc, v3, v34
	v_addc_co_u32_e32 v36, vcc, 0, v35, vcc
	v_mul_lo_u32 v37, s73, v3
	v_mul_lo_u32 v45, s72, v36
	v_mad_u64_u32 v[34:35], s[0:1], s72, v3, 0
	v_add3_u32 v35, v35, v45, v37
	v_sub_u32_e32 v37, v43, v35
	v_mov_b32_e32 v45, s73
	v_sub_co_u32_e32 v34, vcc, v44, v34
	v_subb_co_u32_e64 v37, s[0:1], v37, v45, vcc
	v_subrev_co_u32_e64 v44, s[0:1], s72, v34
	v_subbrev_co_u32_e64 v37, s[0:1], 0, v37, s[0:1]
	v_cmp_le_u32_e64 s[0:1], s73, v37
	v_cndmask_b32_e64 v45, 0, -1, s[0:1]
	v_cmp_le_u32_e64 s[0:1], s72, v44
	v_cndmask_b32_e64 v44, 0, -1, s[0:1]
	v_cmp_eq_u32_e64 s[0:1], s73, v37
	v_cndmask_b32_e64 v37, v45, v44, s[0:1]
	v_add_co_u32_e64 v44, s[0:1], 2, v3
	v_subb_co_u32_e32 v35, vcc, v43, v35, vcc
	v_addc_co_u32_e64 v45, s[0:1], 0, v36, s[0:1]
	v_cmp_le_u32_e32 vcc, s73, v35
	v_add_co_u32_e64 v46, s[0:1], 1, v3
	v_cndmask_b32_e64 v43, 0, -1, vcc
	v_cmp_le_u32_e32 vcc, s72, v34
	v_addc_co_u32_e64 v47, s[0:1], 0, v36, s[0:1]
	v_cndmask_b32_e64 v34, 0, -1, vcc
	v_cmp_eq_u32_e32 vcc, s73, v35
	v_cmp_ne_u32_e64 s[0:1], 0, v37
	v_cndmask_b32_e32 v34, v43, v34, vcc
	v_cmp_ne_u32_e32 vcc, 0, v34
	v_cndmask_b32_e64 v35, v46, v44, s[0:1]
	v_cndmask_b32_e64 v37, v47, v45, s[0:1]
	v_cndmask_b32_e32 v3, v3, v35, vcc
	v_xor_b32_e32 v35, s60, v42
	v_cndmask_b32_e32 v34, v36, v37, vcc
	v_xor_b32_e32 v3, v3, v35
	v_xor_b32_e32 v36, v34, v35
	v_sub_co_u32_e32 v34, vcc, v3, v35
	v_subb_co_u32_e32 v35, vcc, v36, v35, vcc
.LBB3_57:                               ;   in Loop: Header=BB3_3 Depth=1
	s_andn2_saveexec_b64 s[0:1], s[56:57]
	s_cbranch_execz .LBB3_59
; %bb.58:                               ;   in Loop: Header=BB3_3 Depth=1
	v_cvt_f32_u32_e32 v3, s50
	s_sub_i32 s56, 0, s50
	v_rcp_iflag_f32_e32 v3, v3
	v_mul_f32_e32 v3, 0x4f7ffffe, v3
	v_cvt_u32_f32_e32 v3, v3
	v_mul_lo_u32 v34, s56, v3
	v_mul_hi_u32 v34, v3, v34
	v_add_u32_e32 v3, v3, v34
	v_mul_hi_u32 v3, v0, v3
	v_mul_lo_u32 v34, v3, s50
	v_sub_u32_e32 v34, v0, v34
	v_add_u32_e32 v35, 1, v3
	v_subrev_u32_e32 v36, s50, v34
	v_cmp_le_u32_e32 vcc, s50, v34
	v_cndmask_b32_e32 v34, v34, v36, vcc
	v_cndmask_b32_e32 v3, v3, v35, vcc
	v_add_u32_e32 v35, 1, v3
	v_cmp_le_u32_e32 vcc, s50, v34
	v_cndmask_b32_e32 v34, v3, v35, vcc
	v_mov_b32_e32 v35, v2
.LBB3_59:                               ;   in Loop: Header=BB3_3 Depth=1
	s_or_b64 exec, exec, s[0:1]
	v_readlane_b32 s40, v64, 16
	v_mad_u64_u32 v[36:37], s[0:1], s40, v34, v[0:1]
	v_readlane_b32 s0, v64, 17
	v_mul_lo_u32 v3, s40, v35
	v_mul_lo_u32 v43, s0, v34
	v_add3_u32 v3, v43, v37, v3
	v_mul_lo_u32 v43, v36, s23
	v_mul_lo_u32 v3, v3, s22
	v_mad_u64_u32 v[36:37], s[0:1], v36, s22, 0
	v_add3_u32 v37, v37, v43, v3
	v_mul_lo_u32 v3, v35, s20
	v_mul_lo_u32 v43, v34, s21
	v_mad_u64_u32 v[34:35], s[0:1], v34, s20, 0
	v_add3_u32 v35, v35, v43, v3
	v_readlane_b32 s0, v64, 2
	v_lshlrev_b64 v[34:35], 3, v[34:35]
	v_readlane_b32 s1, v64, 3
	v_mov_b32_e32 v3, s1
	v_add_co_u32_e32 v43, vcc, s0, v34
	v_addc_co_u32_e32 v3, vcc, v3, v35, vcc
	v_lshlrev_b64 v[34:35], 3, v[36:37]
	v_add_co_u32_e32 v34, vcc, v43, v34
	v_addc_co_u32_e32 v35, vcc, v3, v35, vcc
	global_load_dwordx2 v[34:35], v[34:35], off
	v_or_b32_e32 v3, s55, v1
	v_cmp_ne_u64_e32 vcc, 0, v[2:3]
                                        ; implicit-def: $vgpr36_vgpr37
	s_and_saveexec_b64 s[0:1], vcc
	s_xor_b64 s[56:57], exec, s[0:1]
	s_cbranch_execz .LBB3_61
; %bb.60:                               ;   in Loop: Header=BB3_3 Depth=1
	s_ashr_i32 s60, s55, 31
	s_add_u32 s0, s54, s60
	s_mov_b32 s61, s60
	s_addc_u32 s1, s55, s60
	s_xor_b64 s[72:73], s[0:1], s[60:61]
	v_cvt_f32_u32_e32 v3, s72
	v_cvt_f32_u32_e32 v36, s73
	s_sub_u32 s0, 0, s72
	s_subb_u32 s1, 0, s73
	v_mac_f32_e32 v3, 0x4f800000, v36
	v_rcp_f32_e32 v3, v3
	v_mul_f32_e32 v3, 0x5f7ffffc, v3
	v_mul_f32_e32 v36, 0x2f800000, v3
	v_trunc_f32_e32 v36, v36
	v_mac_f32_e32 v3, 0xcf800000, v36
	v_cvt_u32_f32_e32 v36, v36
	v_cvt_u32_f32_e32 v3, v3
	v_mul_lo_u32 v37, s0, v36
	v_mul_hi_u32 v44, s0, v3
	v_mul_lo_u32 v43, s1, v3
	v_add_u32_e32 v37, v44, v37
	v_mul_lo_u32 v45, s0, v3
	v_add_u32_e32 v37, v37, v43
	v_mul_lo_u32 v44, v3, v37
	v_mul_hi_u32 v46, v3, v45
	v_mul_hi_u32 v43, v3, v37
	v_add_co_u32_e32 v44, vcc, v46, v44
	v_addc_co_u32_e32 v43, vcc, 0, v43, vcc
	v_mul_hi_u32 v47, v36, v45
	v_mul_lo_u32 v45, v36, v45
	v_add_co_u32_e32 v44, vcc, v44, v45
	v_mul_hi_u32 v46, v36, v37
	v_addc_co_u32_e32 v43, vcc, v43, v47, vcc
	v_addc_co_u32_e32 v44, vcc, 0, v46, vcc
	v_mul_lo_u32 v37, v36, v37
	v_add_co_u32_e32 v37, vcc, v43, v37
	v_addc_co_u32_e32 v43, vcc, 0, v44, vcc
	v_add_co_u32_e32 v3, vcc, v3, v37
	v_addc_co_u32_e32 v36, vcc, v36, v43, vcc
	v_mul_lo_u32 v37, s0, v36
	v_mul_hi_u32 v43, s0, v3
	v_add_u32_e32 v37, v43, v37
	v_mul_lo_u32 v43, s1, v3
	v_add_u32_e32 v37, v37, v43
	v_mul_lo_u32 v44, s0, v3
	v_mul_hi_u32 v45, v36, v44
	v_mul_lo_u32 v46, v36, v44
	v_mul_lo_u32 v48, v3, v37
	v_mul_hi_u32 v44, v3, v44
	v_mul_hi_u32 v47, v3, v37
	v_add_co_u32_e32 v44, vcc, v44, v48
	v_addc_co_u32_e32 v47, vcc, 0, v47, vcc
	v_add_co_u32_e32 v44, vcc, v44, v46
	v_mul_hi_u32 v43, v36, v37
	v_addc_co_u32_e32 v44, vcc, v47, v45, vcc
	v_addc_co_u32_e32 v43, vcc, 0, v43, vcc
	v_mul_lo_u32 v37, v36, v37
	v_add_co_u32_e32 v37, vcc, v44, v37
	v_addc_co_u32_e32 v43, vcc, 0, v43, vcc
	v_add_co_u32_e32 v3, vcc, v3, v37
	v_addc_co_u32_e32 v43, vcc, v36, v43, vcc
	;; [unrolled: 2-line block ×3, first 2 shown]
	v_xor_b32_e32 v47, v36, v42
	v_xor_b32_e32 v46, v37, v42
	v_mad_u64_u32 v[36:37], s[0:1], v47, v43, 0
	v_mul_hi_u32 v44, v47, v3
	v_add_co_u32_e32 v48, vcc, v44, v36
	v_addc_co_u32_e32 v49, vcc, 0, v37, vcc
	v_mad_u64_u32 v[44:45], s[0:1], v46, v3, 0
	v_add_co_u32_e32 v3, vcc, v48, v44
	v_mad_u64_u32 v[36:37], s[0:1], v46, v43, 0
	v_addc_co_u32_e32 v3, vcc, v49, v45, vcc
	v_addc_co_u32_e32 v37, vcc, 0, v37, vcc
	v_add_co_u32_e32 v3, vcc, v3, v36
	v_addc_co_u32_e32 v43, vcc, 0, v37, vcc
	v_mul_lo_u32 v44, s73, v3
	v_mul_lo_u32 v45, s72, v43
	v_mad_u64_u32 v[36:37], s[0:1], s72, v3, 0
	v_add3_u32 v37, v37, v45, v44
	v_sub_u32_e32 v44, v46, v37
	v_mov_b32_e32 v45, s73
	v_sub_co_u32_e32 v36, vcc, v47, v36
	v_subb_co_u32_e64 v44, s[0:1], v44, v45, vcc
	v_subrev_co_u32_e64 v45, s[0:1], s72, v36
	v_subbrev_co_u32_e64 v44, s[0:1], 0, v44, s[0:1]
	v_cmp_le_u32_e64 s[0:1], s73, v44
	v_cndmask_b32_e64 v47, 0, -1, s[0:1]
	v_cmp_le_u32_e64 s[0:1], s72, v45
	v_cndmask_b32_e64 v45, 0, -1, s[0:1]
	v_cmp_eq_u32_e64 s[0:1], s73, v44
	v_cndmask_b32_e64 v44, v47, v45, s[0:1]
	v_add_co_u32_e64 v45, s[0:1], 2, v3
	v_subb_co_u32_e32 v37, vcc, v46, v37, vcc
	v_addc_co_u32_e64 v47, s[0:1], 0, v43, s[0:1]
	v_cmp_le_u32_e32 vcc, s73, v37
	v_add_co_u32_e64 v48, s[0:1], 1, v3
	v_cndmask_b32_e64 v46, 0, -1, vcc
	v_cmp_le_u32_e32 vcc, s72, v36
	v_addc_co_u32_e64 v49, s[0:1], 0, v43, s[0:1]
	v_cndmask_b32_e64 v36, 0, -1, vcc
	v_cmp_eq_u32_e32 vcc, s73, v37
	v_cmp_ne_u32_e64 s[0:1], 0, v44
	v_cndmask_b32_e32 v36, v46, v36, vcc
	v_cmp_ne_u32_e32 vcc, 0, v36
	v_cndmask_b32_e64 v37, v48, v45, s[0:1]
	v_cndmask_b32_e64 v44, v49, v47, s[0:1]
	v_cndmask_b32_e32 v3, v3, v37, vcc
	v_xor_b32_e32 v37, s60, v42
	v_cndmask_b32_e32 v36, v43, v44, vcc
	v_xor_b32_e32 v3, v3, v37
	v_xor_b32_e32 v43, v36, v37
	v_sub_co_u32_e32 v36, vcc, v3, v37
	v_subb_co_u32_e32 v37, vcc, v43, v37, vcc
.LBB3_61:                               ;   in Loop: Header=BB3_3 Depth=1
	s_andn2_saveexec_b64 s[0:1], s[56:57]
	s_cbranch_execz .LBB3_63
; %bb.62:                               ;   in Loop: Header=BB3_3 Depth=1
	v_cvt_f32_u32_e32 v3, s54
	s_sub_i32 s56, 0, s54
	v_rcp_iflag_f32_e32 v3, v3
	v_mul_f32_e32 v3, 0x4f7ffffe, v3
	v_cvt_u32_f32_e32 v3, v3
	v_mul_lo_u32 v36, s56, v3
	v_mul_hi_u32 v36, v3, v36
	v_add_u32_e32 v3, v3, v36
	v_mul_hi_u32 v3, v0, v3
	v_mul_lo_u32 v36, v3, s54
	v_sub_u32_e32 v36, v0, v36
	v_add_u32_e32 v37, 1, v3
	v_subrev_u32_e32 v43, s54, v36
	v_cmp_le_u32_e32 vcc, s54, v36
	v_cndmask_b32_e32 v36, v36, v43, vcc
	v_cndmask_b32_e32 v3, v3, v37, vcc
	v_add_u32_e32 v37, 1, v3
	v_cmp_le_u32_e32 vcc, s54, v36
	v_cndmask_b32_e32 v36, v3, v37, vcc
	v_mov_b32_e32 v37, v2
.LBB3_63:                               ;   in Loop: Header=BB3_3 Depth=1
	s_or_b64 exec, exec, s[0:1]
	v_or_b32_e32 v3, s59, v1
	v_cmp_ne_u64_e32 vcc, 0, v[2:3]
                                        ; implicit-def: $vgpr56_vgpr57
	s_and_saveexec_b64 s[0:1], vcc
	s_xor_b64 s[56:57], exec, s[0:1]
	s_cbranch_execz .LBB3_65
; %bb.64:                               ;   in Loop: Header=BB3_3 Depth=1
	s_ashr_i32 s60, s59, 31
	s_add_u32 s0, s58, s60
	s_mov_b32 s61, s60
	s_addc_u32 s1, s59, s60
	s_xor_b64 s[72:73], s[0:1], s[60:61]
	v_cvt_f32_u32_e32 v3, s72
	v_cvt_f32_u32_e32 v43, s73
	s_sub_u32 s0, 0, s72
	s_subb_u32 s1, 0, s73
	v_mac_f32_e32 v3, 0x4f800000, v43
	v_rcp_f32_e32 v3, v3
	v_mul_f32_e32 v3, 0x5f7ffffc, v3
	v_mul_f32_e32 v43, 0x2f800000, v3
	v_trunc_f32_e32 v43, v43
	v_mac_f32_e32 v3, 0xcf800000, v43
	v_cvt_u32_f32_e32 v43, v43
	v_cvt_u32_f32_e32 v3, v3
	v_mul_lo_u32 v44, s0, v43
	v_mul_hi_u32 v46, s0, v3
	v_mul_lo_u32 v45, s1, v3
	v_add_u32_e32 v44, v46, v44
	v_mul_lo_u32 v47, s0, v3
	v_add_u32_e32 v44, v44, v45
	v_mul_lo_u32 v46, v3, v44
	v_mul_hi_u32 v48, v3, v47
	v_mul_hi_u32 v45, v3, v44
	v_add_co_u32_e32 v46, vcc, v48, v46
	v_addc_co_u32_e32 v45, vcc, 0, v45, vcc
	v_mul_hi_u32 v49, v43, v47
	v_mul_lo_u32 v47, v43, v47
	v_add_co_u32_e32 v46, vcc, v46, v47
	v_mul_hi_u32 v48, v43, v44
	v_addc_co_u32_e32 v45, vcc, v45, v49, vcc
	v_addc_co_u32_e32 v46, vcc, 0, v48, vcc
	v_mul_lo_u32 v44, v43, v44
	v_add_co_u32_e32 v44, vcc, v45, v44
	v_addc_co_u32_e32 v45, vcc, 0, v46, vcc
	v_add_co_u32_e32 v3, vcc, v3, v44
	v_addc_co_u32_e32 v43, vcc, v43, v45, vcc
	v_mul_lo_u32 v44, s0, v43
	v_mul_hi_u32 v45, s0, v3
	v_add_u32_e32 v44, v45, v44
	v_mul_lo_u32 v45, s1, v3
	v_add_u32_e32 v44, v44, v45
	v_mul_lo_u32 v46, s0, v3
	v_mul_hi_u32 v47, v43, v46
	v_mul_lo_u32 v48, v43, v46
	v_mul_lo_u32 v50, v3, v44
	v_mul_hi_u32 v46, v3, v46
	v_mul_hi_u32 v49, v3, v44
	v_add_co_u32_e32 v46, vcc, v46, v50
	v_addc_co_u32_e32 v49, vcc, 0, v49, vcc
	v_add_co_u32_e32 v46, vcc, v46, v48
	v_mul_hi_u32 v45, v43, v44
	v_addc_co_u32_e32 v46, vcc, v49, v47, vcc
	v_addc_co_u32_e32 v45, vcc, 0, v45, vcc
	v_mul_lo_u32 v44, v43, v44
	v_add_co_u32_e32 v44, vcc, v46, v44
	v_addc_co_u32_e32 v45, vcc, 0, v45, vcc
	v_add_co_u32_e32 v3, vcc, v3, v44
	v_addc_co_u32_e32 v43, vcc, v43, v45, vcc
	;; [unrolled: 2-line block ×3, first 2 shown]
	v_xor_b32_e32 v49, v44, v42
	v_xor_b32_e32 v48, v45, v42
	v_mad_u64_u32 v[44:45], s[0:1], v49, v43, 0
	v_mul_hi_u32 v46, v49, v3
	v_add_co_u32_e32 v50, vcc, v46, v44
	v_addc_co_u32_e32 v51, vcc, 0, v45, vcc
	v_mad_u64_u32 v[46:47], s[0:1], v48, v3, 0
	v_add_co_u32_e32 v3, vcc, v50, v46
	v_mad_u64_u32 v[44:45], s[0:1], v48, v43, 0
	v_addc_co_u32_e32 v3, vcc, v51, v47, vcc
	v_addc_co_u32_e32 v43, vcc, 0, v45, vcc
	v_add_co_u32_e32 v3, vcc, v3, v44
	v_addc_co_u32_e32 v43, vcc, 0, v43, vcc
	v_mul_lo_u32 v46, s73, v3
	v_mul_lo_u32 v47, s72, v43
	v_mad_u64_u32 v[44:45], s[0:1], s72, v3, 0
	v_add3_u32 v45, v45, v47, v46
	v_sub_u32_e32 v46, v48, v45
	v_mov_b32_e32 v47, s73
	v_sub_co_u32_e32 v44, vcc, v49, v44
	v_subb_co_u32_e64 v46, s[0:1], v46, v47, vcc
	v_subrev_co_u32_e64 v47, s[0:1], s72, v44
	v_subbrev_co_u32_e64 v46, s[0:1], 0, v46, s[0:1]
	v_cmp_le_u32_e64 s[0:1], s73, v46
	v_cndmask_b32_e64 v49, 0, -1, s[0:1]
	v_cmp_le_u32_e64 s[0:1], s72, v47
	v_cndmask_b32_e64 v47, 0, -1, s[0:1]
	v_cmp_eq_u32_e64 s[0:1], s73, v46
	v_cndmask_b32_e64 v46, v49, v47, s[0:1]
	v_add_co_u32_e64 v47, s[0:1], 2, v3
	v_subb_co_u32_e32 v45, vcc, v48, v45, vcc
	v_addc_co_u32_e64 v49, s[0:1], 0, v43, s[0:1]
	v_cmp_le_u32_e32 vcc, s73, v45
	v_add_co_u32_e64 v50, s[0:1], 1, v3
	v_cndmask_b32_e64 v48, 0, -1, vcc
	v_cmp_le_u32_e32 vcc, s72, v44
	v_addc_co_u32_e64 v51, s[0:1], 0, v43, s[0:1]
	v_cndmask_b32_e64 v44, 0, -1, vcc
	v_cmp_eq_u32_e32 vcc, s73, v45
	v_cmp_ne_u32_e64 s[0:1], 0, v46
	v_cndmask_b32_e32 v44, v48, v44, vcc
	v_cmp_ne_u32_e32 vcc, 0, v44
	v_cndmask_b32_e64 v44, v50, v47, s[0:1]
	v_cndmask_b32_e64 v46, v51, v49, s[0:1]
	v_cndmask_b32_e32 v3, v3, v44, vcc
	v_xor_b32_e32 v42, s60, v42
	v_cndmask_b32_e32 v43, v43, v46, vcc
	v_xor_b32_e32 v3, v3, v42
	v_xor_b32_e32 v43, v43, v42
	v_sub_co_u32_e32 v56, vcc, v3, v42
	v_subb_co_u32_e32 v57, vcc, v43, v42, vcc
.LBB3_65:                               ;   in Loop: Header=BB3_3 Depth=1
	s_andn2_saveexec_b64 s[0:1], s[56:57]
	s_cbranch_execz .LBB3_67
; %bb.66:                               ;   in Loop: Header=BB3_3 Depth=1
	v_cvt_f32_u32_e32 v3, s58
	s_sub_i32 s56, 0, s58
	v_mov_b32_e32 v57, v2
	v_rcp_iflag_f32_e32 v3, v3
	v_mul_f32_e32 v3, 0x4f7ffffe, v3
	v_cvt_u32_f32_e32 v3, v3
	v_mul_lo_u32 v42, s56, v3
	v_mul_hi_u32 v42, v3, v42
	v_add_u32_e32 v3, v3, v42
	v_mul_hi_u32 v3, v0, v3
	v_mul_lo_u32 v42, v3, s58
	v_sub_u32_e32 v42, v0, v42
	v_add_u32_e32 v43, 1, v3
	v_subrev_u32_e32 v44, s58, v42
	v_cmp_le_u32_e32 vcc, s58, v42
	v_cndmask_b32_e32 v42, v42, v44, vcc
	v_cndmask_b32_e32 v3, v3, v43, vcc
	v_add_u32_e32 v43, 1, v3
	v_cmp_le_u32_e32 vcc, s58, v42
	v_cndmask_b32_e32 v56, v3, v43, vcc
.LBB3_67:                               ;   in Loop: Header=BB3_3 Depth=1
	s_mov_b32 s60, s68
	s_or_b64 exec, exec, s[0:1]
	v_readlane_b32 s0, v64, 10
	v_readlane_b32 s1, v64, 11
	v_pk_mov_b32 v[52:53], 0, 0
	s_andn2_b64 vcc, exec, s[0:1]
	v_pk_mov_b32 v[48:49], v[52:53], v[52:53] op_sel:[0,1]
	v_pk_mov_b32 v[44:45], v[52:53], v[52:53] op_sel:[0,1]
	;; [unrolled: 1-line block ×7, first 2 shown]
	s_cbranch_vccnz .LBB3_2
; %bb.68:                               ;   in Loop: Header=BB3_3 Depth=1
	v_readlane_b32 s56, v64, 14
	v_mad_u64_u32 v[44:45], s[0:1], s56, v8, v[0:1]
	v_readlane_b32 s0, v64, 15
	v_mul_lo_u32 v3, s56, v9
	v_mul_lo_u32 v42, s0, v8
	v_add3_u32 v3, v42, v45, v3
	v_mul_lo_u32 v45, v44, s43
	v_mul_lo_u32 v46, v3, s42
	v_mad_u64_u32 v[42:43], s[0:1], v44, s42, 0
	v_add3_u32 v43, v43, v45, v46
	v_readlane_b32 s40, v64, 8
	v_lshlrev_b64 v[42:43], 3, v[42:43]
	v_readlane_b32 s41, v64, 9
	v_mov_b32_e32 v45, s41
	v_add_co_u32_e32 v42, vcc, s40, v42
	v_addc_co_u32_e32 v43, vcc, v45, v43, vcc
	v_sub_co_u32_e32 v46, vcc, 1, v8
	v_subb_co_u32_e32 v47, vcc, 0, v9, vcc
	v_mul_lo_u32 v47, s8, v47
	v_mul_lo_u32 v50, s9, v46
	v_mad_u64_u32 v[48:49], s[0:1], s8, v46, v[0:1]
	v_add3_u32 v49, v50, v49, v47
	v_mul_lo_u32 v50, v49, s42
	v_mul_lo_u32 v51, v48, s43
	v_mad_u64_u32 v[46:47], s[0:1], v48, s42, 0
	v_add3_u32 v47, v47, v51, v50
	v_lshlrev_b64 v[46:47], 3, v[46:47]
	v_add_co_u32_e32 v46, vcc, s40, v46
	v_addc_co_u32_e32 v47, vcc, v45, v47, vcc
	v_sub_co_u32_e32 v50, vcc, 2, v8
	v_subb_co_u32_e32 v51, vcc, 0, v9, vcc
	v_mul_lo_u32 v51, s8, v51
	v_mul_lo_u32 v54, s9, v50
	v_mad_u64_u32 v[52:53], s[0:1], s8, v50, v[0:1]
	v_add3_u32 v53, v54, v53, v51
	v_mul_lo_u32 v54, v53, s42
	v_mul_lo_u32 v55, v52, s43
	v_mad_u64_u32 v[50:51], s[0:1], v52, s42, 0
	v_add3_u32 v51, v51, v55, v54
	v_lshlrev_b64 v[50:51], 3, v[50:51]
	v_add_co_u32_e32 v58, vcc, s40, v50
	v_addc_co_u32_e32 v59, vcc, v45, v51, vcc
	v_sub_co_u32_e32 v8, vcc, 3, v8
	v_subb_co_u32_e32 v9, vcc, 0, v9, vcc
	v_mul_lo_u32 v50, s8, v9
	v_mul_lo_u32 v51, s9, v8
	v_mad_u64_u32 v[8:9], s[0:1], s8, v8, v[0:1]
	v_add3_u32 v9, v51, v9, v50
	v_mul_lo_u32 v54, v9, s42
	v_mul_lo_u32 v55, v8, s43
	v_mad_u64_u32 v[50:51], s[0:1], v8, s42, 0
	v_add3_u32 v51, v51, v55, v54
	v_lshlrev_b64 v[50:51], 3, v[50:51]
	v_add_co_u32_e32 v62, vcc, s40, v50
	v_addc_co_u32_e32 v63, vcc, v45, v51, vcc
	global_load_dwordx2 v[54:55], v[42:43], off
	global_load_dwordx2 v[50:51], v[46:47], off
	s_nop 0
	global_load_dwordx2 v[46:47], v[58:59], off
	global_load_dwordx2 v[42:43], v[62:63], off
	v_mul_lo_u32 v58, v44, s47
	v_mul_lo_u32 v3, v3, s46
	v_mad_u64_u32 v[44:45], s[0:1], v44, s46, 0
	v_add3_u32 v45, v45, v58, v3
	v_readlane_b32 s56, v64, 0
	v_lshlrev_b64 v[44:45], 3, v[44:45]
	v_readlane_b32 s57, v64, 1
	v_mul_lo_u32 v58, v49, s46
	v_mul_lo_u32 v59, v48, s47
	v_mad_u64_u32 v[48:49], s[0:1], v48, s46, 0
	v_mov_b32_e32 v3, s57
	v_add_co_u32_e32 v44, vcc, s56, v44
	v_add3_u32 v49, v49, v59, v58
	v_addc_co_u32_e32 v45, vcc, v3, v45, vcc
	v_lshlrev_b64 v[48:49], 3, v[48:49]
	v_mul_lo_u32 v58, v53, s46
	v_mul_lo_u32 v59, v52, s47
	v_mad_u64_u32 v[52:53], s[0:1], v52, s46, 0
	v_add_co_u32_e32 v48, vcc, s56, v48
	v_add3_u32 v53, v53, v59, v58
	v_addc_co_u32_e32 v49, vcc, v3, v49, vcc
	v_lshlrev_b64 v[52:53], 3, v[52:53]
	v_add_co_u32_e32 v62, vcc, s56, v52
	v_addc_co_u32_e32 v63, vcc, v3, v53, vcc
	v_mul_lo_u32 v52, v9, s46
	v_mul_lo_u32 v53, v8, s47
	v_mad_u64_u32 v[8:9], s[0:1], v8, s46, 0
	v_add3_u32 v9, v9, v53, v52
	v_lshlrev_b64 v[8:9], 3, v[8:9]
	v_add_co_u32_e32 v8, vcc, s56, v8
	v_addc_co_u32_e32 v9, vcc, v3, v9, vcc
	global_load_dwordx2 v[58:59], v[44:45], off
	global_load_dwordx2 v[52:53], v[48:49], off
	s_nop 0
	global_load_dwordx2 v[48:49], v[62:63], off
	global_load_dwordx2 v[44:45], v[8:9], off
	s_branch .LBB3_2
.LBB3_69:
	s_endpgm
	.section	.rodata,"a",@progbits
	.p2align	6, 0x0
	.amdhsa_kernel _ZN2at6native12_GLOBAL__N_16kernel17lstm_cell_forwardIddlLi2EEEvNS_4cuda6detail10TensorInfoIT_T1_EES9_S9_S9_S9_S9_S9_S9_S8_S8_
		.amdhsa_group_segment_fixed_size 0
		.amdhsa_private_segment_fixed_size 0
		.amdhsa_kernarg_size 3600
		.amdhsa_user_sgpr_count 6
		.amdhsa_user_sgpr_private_segment_buffer 1
		.amdhsa_user_sgpr_dispatch_ptr 0
		.amdhsa_user_sgpr_queue_ptr 0
		.amdhsa_user_sgpr_kernarg_segment_ptr 1
		.amdhsa_user_sgpr_dispatch_id 0
		.amdhsa_user_sgpr_flat_scratch_init 0
		.amdhsa_user_sgpr_kernarg_preload_length 0
		.amdhsa_user_sgpr_kernarg_preload_offset 0
		.amdhsa_user_sgpr_private_segment_size 0
		.amdhsa_uses_dynamic_stack 0
		.amdhsa_system_sgpr_private_segment_wavefront_offset 0
		.amdhsa_system_sgpr_workgroup_id_x 1
		.amdhsa_system_sgpr_workgroup_id_y 0
		.amdhsa_system_sgpr_workgroup_id_z 0
		.amdhsa_system_sgpr_workgroup_info 0
		.amdhsa_system_vgpr_workitem_id 0
		.amdhsa_next_free_vgpr 65
		.amdhsa_next_free_sgpr 96
		.amdhsa_accum_offset 68
		.amdhsa_reserve_vcc 1
		.amdhsa_reserve_flat_scratch 0
		.amdhsa_float_round_mode_32 0
		.amdhsa_float_round_mode_16_64 0
		.amdhsa_float_denorm_mode_32 3
		.amdhsa_float_denorm_mode_16_64 3
		.amdhsa_dx10_clamp 1
		.amdhsa_ieee_mode 1
		.amdhsa_fp16_overflow 0
		.amdhsa_tg_split 0
		.amdhsa_exception_fp_ieee_invalid_op 0
		.amdhsa_exception_fp_denorm_src 0
		.amdhsa_exception_fp_ieee_div_zero 0
		.amdhsa_exception_fp_ieee_overflow 0
		.amdhsa_exception_fp_ieee_underflow 0
		.amdhsa_exception_fp_ieee_inexact 0
		.amdhsa_exception_int_div_zero 0
	.end_amdhsa_kernel
	.section	.text._ZN2at6native12_GLOBAL__N_16kernel17lstm_cell_forwardIddlLi2EEEvNS_4cuda6detail10TensorInfoIT_T1_EES9_S9_S9_S9_S9_S9_S9_S8_S8_,"axG",@progbits,_ZN2at6native12_GLOBAL__N_16kernel17lstm_cell_forwardIddlLi2EEEvNS_4cuda6detail10TensorInfoIT_T1_EES9_S9_S9_S9_S9_S9_S9_S8_S8_,comdat
.Lfunc_end3:
	.size	_ZN2at6native12_GLOBAL__N_16kernel17lstm_cell_forwardIddlLi2EEEvNS_4cuda6detail10TensorInfoIT_T1_EES9_S9_S9_S9_S9_S9_S9_S8_S8_, .Lfunc_end3-_ZN2at6native12_GLOBAL__N_16kernel17lstm_cell_forwardIddlLi2EEEvNS_4cuda6detail10TensorInfoIT_T1_EES9_S9_S9_S9_S9_S9_S9_S8_S8_
                                        ; -- End function
	.section	.AMDGPU.csdata,"",@progbits
; Kernel info:
; codeLenInByte = 20052
; NumSgprs: 100
; NumVgprs: 65
; NumAgprs: 0
; TotalNumVgprs: 65
; ScratchSize: 0
; MemoryBound: 0
; FloatMode: 240
; IeeeMode: 1
; LDSByteSize: 0 bytes/workgroup (compile time only)
; SGPRBlocks: 12
; VGPRBlocks: 8
; NumSGPRsForWavesPerEU: 100
; NumVGPRsForWavesPerEU: 65
; AccumOffset: 68
; Occupancy: 7
; WaveLimiterHint : 1
; COMPUTE_PGM_RSRC2:SCRATCH_EN: 0
; COMPUTE_PGM_RSRC2:USER_SGPR: 6
; COMPUTE_PGM_RSRC2:TRAP_HANDLER: 0
; COMPUTE_PGM_RSRC2:TGID_X_EN: 1
; COMPUTE_PGM_RSRC2:TGID_Y_EN: 0
; COMPUTE_PGM_RSRC2:TGID_Z_EN: 0
; COMPUTE_PGM_RSRC2:TIDIG_COMP_CNT: 0
; COMPUTE_PGM_RSRC3_GFX90A:ACCUM_OFFSET: 16
; COMPUTE_PGM_RSRC3_GFX90A:TG_SPLIT: 0
	.section	.text._ZN2at6native12_GLOBAL__N_16kernel17lstm_cell_forwardIffiLi1EEEvNS_4cuda6detail10TensorInfoIT_T1_EES9_S9_S9_S9_S9_S9_S9_S8_S8_,"axG",@progbits,_ZN2at6native12_GLOBAL__N_16kernel17lstm_cell_forwardIffiLi1EEEvNS_4cuda6detail10TensorInfoIT_T1_EES9_S9_S9_S9_S9_S9_S9_S8_S8_,comdat
	.globl	_ZN2at6native12_GLOBAL__N_16kernel17lstm_cell_forwardIffiLi1EEEvNS_4cuda6detail10TensorInfoIT_T1_EES9_S9_S9_S9_S9_S9_S9_S8_S8_ ; -- Begin function _ZN2at6native12_GLOBAL__N_16kernel17lstm_cell_forwardIffiLi1EEEvNS_4cuda6detail10TensorInfoIT_T1_EES9_S9_S9_S9_S9_S9_S9_S8_S8_
	.p2align	8
	.type	_ZN2at6native12_GLOBAL__N_16kernel17lstm_cell_forwardIffiLi1EEEvNS_4cuda6detail10TensorInfoIT_T1_EES9_S9_S9_S9_S9_S9_S9_S8_S8_,@function
_ZN2at6native12_GLOBAL__N_16kernel17lstm_cell_forwardIffiLi1EEEvNS_4cuda6detail10TensorInfoIT_T1_EES9_S9_S9_S9_S9_S9_S9_S8_S8_: ; @_ZN2at6native12_GLOBAL__N_16kernel17lstm_cell_forwardIffiLi1EEEvNS_4cuda6detail10TensorInfoIT_T1_EES9_S9_S9_S9_S9_S9_S9_S8_S8_
; %bb.0:
	s_load_dword s7, s[4:5], 0x6d4
	s_load_dwordx2 s[2:3], s[4:5], 0x6c0
	s_add_u32 s0, s4, 0x6c8
	s_addc_u32 s1, s5, 0
	s_waitcnt lgkmcnt(0)
	s_and_b32 s22, s7, 0xffff
	s_mul_i32 s6, s6, s22
	v_add_u32_e32 v0, s6, v0
	v_cmp_gt_i32_e32 vcc, s3, v0
	s_and_saveexec_b64 s[6:7], vcc
	s_cbranch_execz .LBB4_13
; %bb.1:
	s_load_dwordx2 s[6:7], s[4:5], 0x1b0
	s_load_dwordx2 s[8:9], s[4:5], 0x0
	s_load_dword s24, s[4:5], 0x6c
	s_load_dwordx2 s[10:11], s[4:5], 0xd8
	s_load_dword s25, s[4:5], 0x144
	s_load_dword s26, s[4:5], 0x21c
	s_load_dwordx2 s[12:13], s[4:5], 0x288
	s_load_dword s27, s[4:5], 0x2f4
	s_waitcnt lgkmcnt(0)
	s_cmp_lg_u64 s[6:7], 0
	s_cselect_b64 s[38:39], -1, 0
	s_abs_i32 s28, s2
	v_cvt_f32_u32_e32 v1, s28
	s_load_dwordx2 s[14:15], s[4:5], 0x360
	s_load_dword s23, s[4:5], 0x3cc
	s_load_dwordx2 s[16:17], s[4:5], 0x438
	s_load_dword s36, s[4:5], 0x4a4
	s_load_dword s30, s[0:1], 0x0
	s_load_dwordx2 s[18:19], s[4:5], 0x510
	s_nop 0
	s_load_dword s0, s[4:5], 0x57c
	s_load_dwordx2 s[20:21], s[4:5], 0x5e8
	s_load_dword s29, s[4:5], 0x654
	s_sub_i32 s1, 0, s28
	v_rcp_iflag_f32_e32 v1, v1
	v_cndmask_b32_e64 v3, 0, 1, s[38:39]
	s_waitcnt lgkmcnt(0)
	s_mul_i32 s30, s30, s22
	s_mov_b64 s[4:5], 0
	v_mul_f32_e32 v1, 0x4f7ffffe, v1
	v_cvt_u32_f32_e32 v1, v1
	s_ashr_i32 s31, s2, 31
	s_mul_i32 s33, s2, 3
	s_sub_i32 s34, 0, s2
	v_mul_lo_u32 v2, s1, v1
	v_mul_hi_u32 v2, v1, v2
	v_add_u32_e32 v1, v1, v2
	v_mul_lo_u32 v2, v0, s23
	s_mul_i32 s35, s30, s23
	v_mul_lo_u32 v4, v0, s36
	s_mul_i32 s36, s30, s36
	v_mul_lo_u32 v6, v0, s0
	s_mul_i32 s37, s30, s0
	v_mov_b32_e32 v24, s9
	v_mov_b32_e32 v25, s11
	;; [unrolled: 1-line block ×3, first 2 shown]
	v_cmp_ne_u32_e64 s[0:1], 1, v3
	s_mov_b32 s9, 0x3f200000
	s_mov_b32 s11, 0x3fb8aa3b
	;; [unrolled: 1-line block ×4, first 2 shown]
	v_mov_b32_e32 v27, 0xbd5c1c4e
	v_mov_b32_e32 v28, 0x3e088382
	;; [unrolled: 1-line block ×3, first 2 shown]
	s_mov_b32 s39, 0xbfb8aa3b
	s_mov_b32 s40, 0x42ce8ed0
	;; [unrolled: 1-line block ×3, first 2 shown]
	s_brev_b32 s42, -2
	v_mov_b32_e32 v30, 0x7f800000
	s_branch .LBB4_3
.LBB4_2:                                ;   in Loop: Header=BB4_3 Depth=1
	s_or_b64 exec, exec, s[22:23]
	v_add_f32_e32 v7, v7, v9
	v_add_f32_e32 v3, v7, v3
	;; [unrolled: 1-line block ×3, first 2 shown]
	v_mul_f32_e32 v7, 0xbfb8aa3b, v3
	v_fma_f32 v9, v3, s39, -v7
	v_rndne_f32_e32 v11, v7
	v_fmac_f32_e32 v9, 0xb2a5705f, v3
	v_sub_f32_e32 v7, v7, v11
	v_add_f32_e32 v7, v7, v9
	v_cvt_i32_f32_e32 v9, v11
	v_exp_f32_e32 v7, v7
	v_cmp_nlt_f32_e32 vcc, s40, v3
	v_mul_lo_u32 v8, v8, s29
	v_mul_lo_u32 v20, v5, s29
	v_ldexp_f32 v7, v7, v9
	v_cndmask_b32_e32 v7, 0, v7, vcc
	v_cmp_ngt_f32_e32 vcc, s41, v3
	v_cndmask_b32_e32 v3, v30, v7, vcc
	v_add_f32_e32 v3, 1.0, v3
	v_div_scale_f32 v7, s[22:23], v3, v3, 1.0
	v_rcp_f32_e32 v9, v7
	v_ashrrev_i32_e32 v21, 31, v20
	v_lshlrev_b64 v[20:21], 2, v[20:21]
	v_mul_lo_u32 v10, v10, s29
	v_fma_f32 v11, -v7, v9, 1.0
	v_fmac_f32_e32 v9, v11, v9
	v_div_scale_f32 v11, vcc, 1.0, v3, 1.0
	v_mul_f32_e32 v14, v11, v9
	v_fma_f32 v19, -v7, v14, v11
	v_fmac_f32_e32 v14, v19, v9
	v_fma_f32 v7, -v7, v14, v11
	v_div_fmas_f32 v7, v7, v9, v14
	v_ashrrev_i32_e32 v9, 31, v8
	v_lshlrev_b64 v[8:9], 2, v[8:9]
	v_div_fixup_f32 v3, v7, v3, 1.0
	v_mov_b32_e32 v7, s21
	v_add_co_u32_e32 v8, vcc, s20, v8
	v_addc_co_u32_e32 v9, vcc, v7, v9, vcc
	v_add_co_u32_e32 v20, vcc, s20, v20
	v_ashrrev_i32_e32 v11, 31, v10
	v_addc_co_u32_e32 v21, vcc, v7, v21, vcc
	v_lshlrev_b64 v[10:11], 2, v[10:11]
	v_mul_lo_u32 v22, v12, s29
	v_add_co_u32_e32 v10, vcc, s20, v10
	v_ashrrev_i32_e32 v23, 31, v22
	v_addc_co_u32_e32 v11, vcc, v7, v11, vcc
	v_lshlrev_b64 v[22:23], 2, v[22:23]
	v_add_co_u32_e32 v22, vcc, s20, v22
	v_ashrrev_i32_e32 v5, 31, v4
	v_addc_co_u32_e32 v23, vcc, v7, v23, vcc
	v_lshlrev_b64 v[32:33], 2, v[4:5]
	v_mov_b32_e32 v5, s17
	v_add_co_u32_e32 v32, vcc, s16, v32
	v_ashrrev_i32_e32 v7, 31, v6
	v_addc_co_u32_e32 v33, vcc, v5, v33, vcc
	v_lshlrev_b64 v[34:35], 2, v[6:7]
	v_mov_b32_e32 v5, s19
	v_add_co_u32_e32 v34, vcc, s18, v34
	v_addc_co_u32_e32 v35, vcc, v5, v35, vcc
	v_add_u32_e32 v0, s30, v0
	v_bfi_b32 v5, s42, v13, v18
	v_cmp_le_i32_e32 vcc, s3, v0
	v_mul_f32_e32 v5, v3, v5
	v_add_u32_e32 v2, s35, v2
	v_add_u32_e32 v4, s36, v4
	s_or_b64 s[4:5], vcc, s[4:5]
	v_add_u32_e32 v6, s37, v6
	global_store_dword v[32:33], v5, off
	global_store_dword v[34:35], v18, off
	;; [unrolled: 1-line block ×6, first 2 shown]
	s_andn2_b64 exec, exec, s[4:5]
	s_cbranch_execz .LBB4_13
.LBB4_3:                                ; =>This Inner Loop Header: Depth=1
	v_ashrrev_i32_e32 v3, 31, v0
	v_xor_b32_e32 v15, s31, v3
	v_sub_u32_e32 v3, 0, v0
	v_max_i32_e32 v3, v0, v3
	v_mul_hi_u32 v5, v3, v1
	v_mul_lo_u32 v7, v5, s28
	v_sub_u32_e32 v3, v3, v7
	v_add_u32_e32 v7, 1, v5
	v_cmp_le_u32_e32 vcc, s28, v3
	v_cndmask_b32_e32 v5, v5, v7, vcc
	v_subrev_u32_e32 v7, s28, v3
	v_cndmask_b32_e32 v3, v3, v7, vcc
	v_add_u32_e32 v7, 1, v5
	v_cmp_le_u32_e32 vcc, s28, v3
	v_cndmask_b32_e32 v3, v5, v7, vcc
	v_xor_b32_e32 v32, v3, v15
	v_sub_u32_e32 v33, v32, v15
	v_mad_u64_u32 v[8:9], s[22:23], s33, v33, v[0:1]
	v_lshl_add_u32 v3, v32, 1, v32
	v_mul_i32_i24_e32 v5, 3, v15
	v_mul_lo_u32 v10, v8, s24
	v_sub_u32_e32 v3, v3, v5
	v_ashrrev_i32_e32 v11, 31, v10
	v_mul_lo_u32 v5, s2, v3
	v_lshlrev_b64 v[10:11], 2, v[10:11]
	v_add3_u32 v5, v5, s2, v0
	v_add_co_u32_e32 v18, vcc, s8, v10
	v_mul_lo_u32 v10, v5, s24
	v_addc_co_u32_e32 v19, vcc, v24, v11, vcc
	v_ashrrev_i32_e32 v11, 31, v10
	v_lshlrev_b64 v[10:11], 2, v[10:11]
	v_add_co_u32_e32 v20, vcc, s8, v10
	v_add_u32_e32 v7, 2, v3
	v_addc_co_u32_e32 v21, vcc, v24, v11, vcc
	v_mad_u64_u32 v[10:11], s[22:23], s2, v7, v[0:1]
	v_mul_lo_u32 v12, v10, s24
	v_ashrrev_i32_e32 v13, 31, v12
	v_lshlrev_b64 v[12:13], 2, v[12:13]
	v_add_co_u32_e32 v22, vcc, s8, v12
	v_add_u32_e32 v3, 3, v3
	v_addc_co_u32_e32 v23, vcc, v24, v13, vcc
	v_mad_u64_u32 v[12:13], s[22:23], s2, v3, v[0:1]
	v_mul_lo_u32 v16, v12, s24
	v_ashrrev_i32_e32 v17, 31, v16
	v_lshlrev_b64 v[16:17], 2, v[16:17]
	v_add_co_u32_e32 v34, vcc, s8, v16
	v_addc_co_u32_e32 v35, vcc, v24, v17, vcc
	global_load_dword v17, v[18:19], off
	global_load_dword v16, v[20:21], off
	;; [unrolled: 1-line block ×4, first 2 shown]
	v_mul_lo_u32 v18, v8, s25
	v_ashrrev_i32_e32 v19, 31, v18
	v_lshlrev_b64 v[18:19], 2, v[18:19]
	v_add_co_u32_e32 v20, vcc, s10, v18
	v_mul_lo_u32 v18, v5, s25
	v_addc_co_u32_e32 v21, vcc, v25, v19, vcc
	v_ashrrev_i32_e32 v19, 31, v18
	v_lshlrev_b64 v[18:19], 2, v[18:19]
	v_add_co_u32_e32 v22, vcc, s10, v18
	v_mul_lo_u32 v18, v10, s25
	v_addc_co_u32_e32 v23, vcc, v25, v19, vcc
	v_ashrrev_i32_e32 v19, 31, v18
	v_lshlrev_b64 v[18:19], 2, v[18:19]
	v_add_co_u32_e32 v34, vcc, s10, v18
	v_mul_lo_u32 v18, v12, s25
	v_addc_co_u32_e32 v35, vcc, v25, v19, vcc
	v_ashrrev_i32_e32 v19, 31, v18
	v_lshlrev_b64 v[18:19], 2, v[18:19]
	v_add_co_u32_e32 v36, vcc, s10, v18
	v_ashrrev_i32_e32 v3, 31, v2
	v_addc_co_u32_e32 v37, vcc, v25, v19, vcc
	global_load_dword v19, v[20:21], off
	global_load_dword v18, v[22:23], off
	;; [unrolled: 1-line block ×4, first 2 shown]
	v_lshlrev_b64 v[20:21], 2, v[2:3]
	v_add_co_u32_e32 v20, vcc, s14, v20
	v_addc_co_u32_e32 v21, vcc, v26, v21, vcc
	global_load_dword v14, v[20:21], off
	s_and_b64 vcc, exec, s[0:1]
	v_mov_b32_e32 v35, 0
	v_mov_b32_e32 v11, 0
	;; [unrolled: 1-line block ×8, first 2 shown]
	s_cbranch_vccnz .LBB4_5
; %bb.4:                                ;   in Loop: Header=BB4_3 Depth=1
	v_mad_u64_u32 v[22:23], s[22:23], s34, v33, v[0:1]
	v_mul_lo_u32 v20, v22, s26
	v_sub_u32_e32 v11, v15, v32
	v_ashrrev_i32_e32 v21, 31, v20
	v_mul_lo_u32 v15, s2, v11
	v_lshlrev_b64 v[20:21], 2, v[20:21]
	v_add3_u32 v15, v15, s2, v0
	v_mov_b32_e32 v3, s7
	v_add_co_u32_e32 v36, vcc, s6, v20
	v_mul_lo_u32 v20, v15, s26
	v_addc_co_u32_e32 v37, vcc, v3, v21, vcc
	v_ashrrev_i32_e32 v21, 31, v20
	v_lshlrev_b64 v[20:21], 2, v[20:21]
	v_add_co_u32_e32 v32, vcc, s6, v20
	v_add_u32_e32 v20, 2, v11
	v_mad_u64_u32 v[38:39], s[22:23], s2, v20, v[0:1]
	v_mul_lo_u32 v20, v38, s26
	v_addc_co_u32_e32 v33, vcc, v3, v21, vcc
	v_ashrrev_i32_e32 v21, 31, v20
	v_add_u32_e32 v11, 3, v11
	v_lshlrev_b64 v[20:21], 2, v[20:21]
	v_mad_u64_u32 v[42:43], s[22:23], s2, v11, v[0:1]
	v_add_co_u32_e32 v40, vcc, s6, v20
	v_mul_lo_u32 v20, v42, s26
	v_addc_co_u32_e32 v41, vcc, v3, v21, vcc
	v_ashrrev_i32_e32 v21, 31, v20
	v_lshlrev_b64 v[20:21], 2, v[20:21]
	v_mul_lo_u32 v22, v22, s27
	v_add_co_u32_e32 v44, vcc, s6, v20
	v_ashrrev_i32_e32 v23, 31, v22
	v_addc_co_u32_e32 v45, vcc, v3, v21, vcc
	v_lshlrev_b64 v[22:23], 2, v[22:23]
	global_load_dword v21, v[36:37], off
	global_load_dword v20, v[32:33], off
	;; [unrolled: 1-line block ×4, first 2 shown]
	v_mov_b32_e32 v11, s13
	v_add_co_u32_e32 v32, vcc, s12, v22
	v_mul_lo_u32 v22, v15, s27
	v_addc_co_u32_e32 v33, vcc, v11, v23, vcc
	v_ashrrev_i32_e32 v23, 31, v22
	v_lshlrev_b64 v[22:23], 2, v[22:23]
	v_add_co_u32_e32 v36, vcc, s12, v22
	v_mul_lo_u32 v22, v38, s27
	v_addc_co_u32_e32 v37, vcc, v11, v23, vcc
	v_ashrrev_i32_e32 v23, 31, v22
	v_lshlrev_b64 v[22:23], 2, v[22:23]
	;; [unrolled: 5-line block ×3, first 2 shown]
	v_add_co_u32_e32 v40, vcc, s12, v22
	v_addc_co_u32_e32 v41, vcc, v11, v23, vcc
	global_load_dword v23, v[32:33], off
	global_load_dword v22, v[36:37], off
	;; [unrolled: 1-line block ×4, first 2 shown]
.LBB4_5:                                ;   in Loop: Header=BB4_3 Depth=1
	s_waitcnt vmcnt(2)
	v_add_f32_e32 v13, v13, v31
	v_add_f32_e32 v13, v13, v34
	s_waitcnt vmcnt(1)
	v_add_f32_e32 v13, v35, v13
	v_cmp_nlt_f32_e64 s[22:23], |v13|, s9
                                        ; implicit-def: $vgpr15
	s_and_saveexec_b64 s[44:45], s[22:23]
	s_xor_b64 s[22:23], exec, s[44:45]
	s_cbranch_execz .LBB4_7
; %bb.6:                                ;   in Loop: Header=BB4_3 Depth=1
	v_add_f32_e64 v15, |v13|, |v13|
	v_mul_f32_e32 v31, 0x3fb8aa3b, v15
	v_rndne_f32_e32 v32, v31
	v_sub_f32_e32 v33, v31, v32
	v_fma_f32 v31, v15, s11, -v31
	v_fmac_f32_e32 v31, 0x32a5705f, v15
	v_add_f32_e32 v31, v33, v31
	v_cvt_i32_f32_e32 v32, v32
	v_exp_f32_e32 v31, v31
	v_cmp_ngt_f32_e32 vcc, s15, v15
	v_ldexp_f32 v31, v31, v32
	v_cndmask_b32_e32 v31, 0, v31, vcc
	v_cmp_nlt_f32_e32 vcc, s38, v15
	v_cndmask_b32_e32 v15, v30, v31, vcc
	v_add_f32_e32 v15, 1.0, v15
	v_rcp_f32_e32 v15, v15
	v_fma_f32 v15, v15, -2.0, 1.0
.LBB4_7:                                ;   in Loop: Header=BB4_3 Depth=1
	s_andn2_saveexec_b64 s[22:23], s[22:23]
; %bb.8:                                ;   in Loop: Header=BB4_3 Depth=1
	v_mul_f32_e32 v15, v13, v13
	v_mov_b32_e32 v31, 0x3ca908c9
	v_fmac_f32_e32 v31, 0xbbbac73d, v15
	v_fma_f32 v31, v15, v31, v27
	v_fma_f32 v31, v15, v31, v28
	;; [unrolled: 1-line block ×3, first 2 shown]
	v_mul_f32_e64 v31, |v13|, v31
	v_fma_f32 v15, v15, v31, |v13|
; %bb.9:                                ;   in Loop: Header=BB4_3 Depth=1
	s_or_b64 exec, exec, s[22:23]
	v_pk_add_f32 v[16:17], v[16:17], v[18:19]
	v_pk_add_f32 v[16:17], v[16:17], v[20:21]
	;; [unrolled: 1-line block ×3, first 2 shown]
	v_mul_f32_e32 v18, 0xbfb8aa3b, v17
	v_fma_f32 v19, v17, s39, -v18
	v_rndne_f32_e32 v20, v18
	v_fmac_f32_e32 v19, 0xb2a5705f, v17
	v_sub_f32_e32 v18, v18, v20
	v_add_f32_e32 v18, v18, v19
	v_cvt_i32_f32_e32 v19, v20
	v_exp_f32_e32 v18, v18
	v_cmp_nlt_f32_e32 vcc, s40, v17
	v_bfi_b32 v15, s42, v15, v13
                                        ; implicit-def: $vgpr13
	v_ldexp_f32 v18, v18, v19
	v_mul_f32_e32 v19, 0xbfb8aa3b, v16
	v_fma_f32 v20, v16, s39, -v19
	v_rndne_f32_e32 v21, v19
	v_fmac_f32_e32 v20, 0xb2a5705f, v16
	v_sub_f32_e32 v19, v19, v21
	v_add_f32_e32 v19, v19, v20
	v_exp_f32_e32 v19, v19
	v_cvt_i32_f32_e32 v20, v21
	v_cndmask_b32_e32 v18, 0, v18, vcc
	v_cmp_ngt_f32_e32 vcc, s41, v17
	v_cndmask_b32_e32 v17, v30, v18, vcc
	v_ldexp_f32 v18, v19, v20
	v_cmp_nlt_f32_e32 vcc, s40, v16
	v_cndmask_b32_e32 v18, 0, v18, vcc
	v_cmp_ngt_f32_e32 vcc, s41, v16
	v_cndmask_b32_e32 v16, v30, v18, vcc
	v_pk_add_f32 v[16:17], v[16:17], 1.0 op_sel_hi:[1,0]
	v_div_scale_f32 v18, s[22:23], v17, v17, 1.0
	v_rcp_f32_e32 v19, v18
	v_fma_f32 v20, -v18, v19, 1.0
	v_fmac_f32_e32 v19, v20, v19
	v_div_scale_f32 v20, vcc, 1.0, v17, 1.0
	v_mul_f32_e32 v21, v20, v19
	v_fma_f32 v22, -v18, v21, v20
	v_fmac_f32_e32 v21, v22, v19
	v_fma_f32 v18, -v18, v21, v20
	v_div_scale_f32 v20, s[22:23], v16, v16, 1.0
	v_rcp_f32_e32 v22, v20
	v_div_fmas_f32 v18, v18, v19, v21
	v_div_fixup_f32 v17, v18, v17, 1.0
	v_fma_f32 v18, -v20, v22, 1.0
	v_fmac_f32_e32 v22, v18, v22
	v_div_scale_f32 v18, vcc, 1.0, v16, 1.0
	v_mul_f32_e32 v19, v18, v22
	v_fma_f32 v21, -v20, v19, v18
	v_fmac_f32_e32 v19, v21, v22
	v_fma_f32 v18, -v20, v19, v18
	v_div_fmas_f32 v18, v18, v22, v19
	v_div_fixup_f32 v16, v18, v16, 1.0
	s_waitcnt vmcnt(0)
	v_pk_mul_f32 v[18:19], v[14:15], v[16:17]
	v_mov_b32_e32 v18, v19
	v_pk_fma_f32 v[18:19], v[14:15], v[16:17], v[18:19]
	v_cmp_nlt_f32_e64 s[22:23], |v18|, s9
	s_and_saveexec_b64 s[44:45], s[22:23]
	s_xor_b64 s[22:23], exec, s[44:45]
	s_cbranch_execz .LBB4_11
; %bb.10:                               ;   in Loop: Header=BB4_3 Depth=1
	v_add_f32_e64 v13, |v18|, |v18|
	v_mul_f32_e32 v14, 0x3fb8aa3b, v13
	v_rndne_f32_e32 v19, v14
	v_sub_f32_e32 v20, v14, v19
	v_fma_f32 v14, v13, s11, -v14
	v_fmac_f32_e32 v14, 0x32a5705f, v13
	v_add_f32_e32 v14, v20, v14
	v_cvt_i32_f32_e32 v19, v19
	v_exp_f32_e32 v14, v14
	v_cmp_ngt_f32_e32 vcc, s15, v13
	v_ldexp_f32 v14, v14, v19
	v_cndmask_b32_e32 v14, 0, v14, vcc
	v_cmp_nlt_f32_e32 vcc, s38, v13
	v_cndmask_b32_e32 v13, v30, v14, vcc
	v_add_f32_e32 v13, 1.0, v13
	v_rcp_f32_e32 v13, v13
	v_fma_f32 v13, v13, -2.0, 1.0
.LBB4_11:                               ;   in Loop: Header=BB4_3 Depth=1
	s_andn2_saveexec_b64 s[22:23], s[22:23]
	s_cbranch_execz .LBB4_2
; %bb.12:                               ;   in Loop: Header=BB4_3 Depth=1
	v_mul_f32_e32 v13, v18, v18
	v_mov_b32_e32 v14, 0x3ca908c9
	v_fmac_f32_e32 v14, 0xbbbac73d, v13
	v_fma_f32 v14, v13, v14, v27
	v_fma_f32 v14, v13, v14, v28
	;; [unrolled: 1-line block ×3, first 2 shown]
	v_mul_f32_e64 v14, |v18|, v14
	v_fma_f32 v13, v13, v14, |v18|
	s_branch .LBB4_2
.LBB4_13:
	s_endpgm
	.section	.rodata,"a",@progbits
	.p2align	6, 0x0
	.amdhsa_kernel _ZN2at6native12_GLOBAL__N_16kernel17lstm_cell_forwardIffiLi1EEEvNS_4cuda6detail10TensorInfoIT_T1_EES9_S9_S9_S9_S9_S9_S9_S8_S8_
		.amdhsa_group_segment_fixed_size 0
		.amdhsa_private_segment_fixed_size 0
		.amdhsa_kernarg_size 1992
		.amdhsa_user_sgpr_count 6
		.amdhsa_user_sgpr_private_segment_buffer 1
		.amdhsa_user_sgpr_dispatch_ptr 0
		.amdhsa_user_sgpr_queue_ptr 0
		.amdhsa_user_sgpr_kernarg_segment_ptr 1
		.amdhsa_user_sgpr_dispatch_id 0
		.amdhsa_user_sgpr_flat_scratch_init 0
		.amdhsa_user_sgpr_kernarg_preload_length 0
		.amdhsa_user_sgpr_kernarg_preload_offset 0
		.amdhsa_user_sgpr_private_segment_size 0
		.amdhsa_uses_dynamic_stack 0
		.amdhsa_system_sgpr_private_segment_wavefront_offset 0
		.amdhsa_system_sgpr_workgroup_id_x 1
		.amdhsa_system_sgpr_workgroup_id_y 0
		.amdhsa_system_sgpr_workgroup_id_z 0
		.amdhsa_system_sgpr_workgroup_info 0
		.amdhsa_system_vgpr_workitem_id 0
		.amdhsa_next_free_vgpr 46
		.amdhsa_next_free_sgpr 46
		.amdhsa_accum_offset 48
		.amdhsa_reserve_vcc 1
		.amdhsa_reserve_flat_scratch 0
		.amdhsa_float_round_mode_32 0
		.amdhsa_float_round_mode_16_64 0
		.amdhsa_float_denorm_mode_32 3
		.amdhsa_float_denorm_mode_16_64 3
		.amdhsa_dx10_clamp 1
		.amdhsa_ieee_mode 1
		.amdhsa_fp16_overflow 0
		.amdhsa_tg_split 0
		.amdhsa_exception_fp_ieee_invalid_op 0
		.amdhsa_exception_fp_denorm_src 0
		.amdhsa_exception_fp_ieee_div_zero 0
		.amdhsa_exception_fp_ieee_overflow 0
		.amdhsa_exception_fp_ieee_underflow 0
		.amdhsa_exception_fp_ieee_inexact 0
		.amdhsa_exception_int_div_zero 0
	.end_amdhsa_kernel
	.section	.text._ZN2at6native12_GLOBAL__N_16kernel17lstm_cell_forwardIffiLi1EEEvNS_4cuda6detail10TensorInfoIT_T1_EES9_S9_S9_S9_S9_S9_S9_S8_S8_,"axG",@progbits,_ZN2at6native12_GLOBAL__N_16kernel17lstm_cell_forwardIffiLi1EEEvNS_4cuda6detail10TensorInfoIT_T1_EES9_S9_S9_S9_S9_S9_S9_S8_S8_,comdat
.Lfunc_end4:
	.size	_ZN2at6native12_GLOBAL__N_16kernel17lstm_cell_forwardIffiLi1EEEvNS_4cuda6detail10TensorInfoIT_T1_EES9_S9_S9_S9_S9_S9_S9_S8_S8_, .Lfunc_end4-_ZN2at6native12_GLOBAL__N_16kernel17lstm_cell_forwardIffiLi1EEEvNS_4cuda6detail10TensorInfoIT_T1_EES9_S9_S9_S9_S9_S9_S9_S8_S8_
                                        ; -- End function
	.section	.AMDGPU.csdata,"",@progbits
; Kernel info:
; codeLenInByte = 2436
; NumSgprs: 50
; NumVgprs: 46
; NumAgprs: 0
; TotalNumVgprs: 46
; ScratchSize: 0
; MemoryBound: 0
; FloatMode: 240
; IeeeMode: 1
; LDSByteSize: 0 bytes/workgroup (compile time only)
; SGPRBlocks: 6
; VGPRBlocks: 5
; NumSGPRsForWavesPerEU: 50
; NumVGPRsForWavesPerEU: 46
; AccumOffset: 48
; Occupancy: 8
; WaveLimiterHint : 1
; COMPUTE_PGM_RSRC2:SCRATCH_EN: 0
; COMPUTE_PGM_RSRC2:USER_SGPR: 6
; COMPUTE_PGM_RSRC2:TRAP_HANDLER: 0
; COMPUTE_PGM_RSRC2:TGID_X_EN: 1
; COMPUTE_PGM_RSRC2:TGID_Y_EN: 0
; COMPUTE_PGM_RSRC2:TGID_Z_EN: 0
; COMPUTE_PGM_RSRC2:TIDIG_COMP_CNT: 0
; COMPUTE_PGM_RSRC3_GFX90A:ACCUM_OFFSET: 11
; COMPUTE_PGM_RSRC3_GFX90A:TG_SPLIT: 0
	.section	.text._ZN2at6native12_GLOBAL__N_16kernel17lstm_cell_forwardIffiLi2EEEvNS_4cuda6detail10TensorInfoIT_T1_EES9_S9_S9_S9_S9_S9_S9_S8_S8_,"axG",@progbits,_ZN2at6native12_GLOBAL__N_16kernel17lstm_cell_forwardIffiLi2EEEvNS_4cuda6detail10TensorInfoIT_T1_EES9_S9_S9_S9_S9_S9_S9_S8_S8_,comdat
	.globl	_ZN2at6native12_GLOBAL__N_16kernel17lstm_cell_forwardIffiLi2EEEvNS_4cuda6detail10TensorInfoIT_T1_EES9_S9_S9_S9_S9_S9_S9_S8_S8_ ; -- Begin function _ZN2at6native12_GLOBAL__N_16kernel17lstm_cell_forwardIffiLi2EEEvNS_4cuda6detail10TensorInfoIT_T1_EES9_S9_S9_S9_S9_S9_S9_S8_S8_
	.p2align	8
	.type	_ZN2at6native12_GLOBAL__N_16kernel17lstm_cell_forwardIffiLi2EEEvNS_4cuda6detail10TensorInfoIT_T1_EES9_S9_S9_S9_S9_S9_S9_S8_S8_,@function
_ZN2at6native12_GLOBAL__N_16kernel17lstm_cell_forwardIffiLi2EEEvNS_4cuda6detail10TensorInfoIT_T1_EES9_S9_S9_S9_S9_S9_S9_S8_S8_: ; @_ZN2at6native12_GLOBAL__N_16kernel17lstm_cell_forwardIffiLi2EEEvNS_4cuda6detail10TensorInfoIT_T1_EES9_S9_S9_S9_S9_S9_S9_S8_S8_
; %bb.0:
	s_load_dword s2, s[4:5], 0x6d4
	s_load_dwordx2 s[0:1], s[4:5], 0x6c0
	s_add_u32 s34, s4, 0x6c8
	s_addc_u32 s35, s5, 0
	s_waitcnt lgkmcnt(0)
	s_and_b32 s36, s2, 0xffff
	s_mul_i32 s6, s6, s36
	v_add_u32_e32 v0, s6, v0
	v_cmp_gt_i32_e32 vcc, s1, v0
	s_and_saveexec_b64 s[2:3], vcc
	s_cbranch_execz .LBB5_13
; %bb.1:
	s_load_dwordx2 s[2:3], s[4:5], 0x0
	s_load_dword s33, s[4:5], 0xc
	s_load_dwordx2 s[6:7], s[4:5], 0x6c
	s_load_dwordx2 s[8:9], s[4:5], 0xd8
	s_load_dword s38, s[4:5], 0xe4
	s_load_dwordx2 s[10:11], s[4:5], 0x144
	;; [unrolled: 3-line block ×3, first 2 shown]
	s_load_dword s40, s[4:5], 0x2f4
	s_load_dwordx2 s[16:17], s[4:5], 0x360
	s_load_dword s37, s[4:5], 0x36c
	s_load_dwordx2 s[18:19], s[4:5], 0x3cc
	s_load_dwordx2 s[20:21], s[4:5], 0x438
	s_load_dword s60, s[4:5], 0x444
	s_load_dwordx2 s[22:23], s[4:5], 0x4a4
	s_waitcnt lgkmcnt(0)
	s_cmp_lg_u64 s[12:13], 0
	s_cselect_b64 s[24:25], -1, 0
	s_abs_i32 s41, s0
	v_cvt_f32_u32_e32 v1, s41
	s_load_dwordx2 s[26:27], s[4:5], 0x510
	s_load_dword s61, s[4:5], 0x51c
	s_load_dwordx2 s[28:29], s[4:5], 0x57c
	s_load_dwordx2 s[30:31], s[4:5], 0x5e8
	s_load_dword s43, s[34:35], 0x0
	s_abs_i32 s44, s33
	v_cvt_f32_u32_e32 v2, s44
	v_rcp_iflag_f32_e32 v1, v1
	s_abs_i32 s46, s38
	s_waitcnt lgkmcnt(0)
	s_mul_i32 s43, s43, s36
	s_sub_i32 s36, 0, s41
	v_mul_f32_e32 v1, 0x4f7ffffe, v1
	v_cvt_u32_f32_e32 v1, v1
	v_rcp_iflag_f32_e32 v2, v2
	s_load_dword s42, s[4:5], 0x5f4
	s_load_dwordx2 s[34:35], s[4:5], 0x654
	s_abs_i32 s50, s37
	v_mul_lo_u32 v3, s36, v1
	v_mul_hi_u32 v3, v1, v3
	v_add_u32_e32 v1, v1, v3
	v_cvt_f32_u32_e32 v3, s46
	v_mul_f32_e32 v2, 0x4f7ffffe, v2
	v_cvt_u32_f32_e32 v2, v2
	s_sub_i32 s36, 0, s44
	v_rcp_iflag_f32_e32 v3, v3
	s_waitcnt lgkmcnt(0)
	s_abs_i32 s48, s42
	v_mul_lo_u32 v4, s36, v2
	v_mul_hi_u32 v4, v2, v4
	v_add_u32_e32 v12, v2, v4
	v_mul_f32_e32 v2, 0x4f7ffffe, v3
	v_cvt_f32_u32_e32 v3, s48
	v_cvt_u32_f32_e32 v2, v2
	s_sub_i32 s36, 0, s46
	s_abs_i32 s53, s60
	v_rcp_iflag_f32_e32 v3, v3
	v_mul_lo_u32 v4, s36, v2
	v_mul_hi_u32 v4, v2, v4
	v_add_u32_e32 v13, v2, v4
	v_mul_f32_e32 v2, 0x4f7ffffe, v3
	v_cvt_f32_u32_e32 v3, s50
	v_cvt_u32_f32_e32 v2, v2
	s_sub_i32 s36, 0, s48
	s_abs_i32 s54, s61
	v_rcp_iflag_f32_e32 v3, v3
	v_mul_lo_u32 v4, s36, v2
	v_mul_hi_u32 v4, v2, v4
	v_add_u32_e32 v14, v2, v4
	v_mul_f32_e32 v2, 0x4f7ffffe, v3
	v_cvt_u32_f32_e32 v2, v2
	s_sub_i32 s36, 0, s50
	v_cvt_f32_u32_e32 v3, s53
	s_mov_b64 s[4:5], 0
	v_mul_lo_u32 v4, s36, v2
	v_mul_hi_u32 v4, v2, v4
	v_add_u32_e32 v15, v2, v4
	v_cvt_f32_u32_e32 v2, s54
	v_rcp_iflag_f32_e32 v3, v3
	s_sub_i32 s36, 0, s53
	s_ashr_i32 s45, s0, 31
	v_rcp_iflag_f32_e32 v2, v2
	v_mul_f32_e32 v3, 0x4f7ffffe, v3
	v_cvt_u32_f32_e32 v3, v3
	s_ashr_i32 s47, s33, 31
	v_mul_f32_e32 v2, 0x4f7ffffe, v2
	v_cvt_u32_f32_e32 v2, v2
	v_mul_lo_u32 v4, s36, v3
	v_mul_hi_u32 v4, v3, v4
	s_sub_i32 s36, 0, s54
	v_add_u32_e32 v16, v3, v4
	v_mul_lo_u32 v3, s36, v2
	v_mul_hi_u32 v3, v2, v3
	s_ashr_i32 s49, s38, 31
	s_ashr_i32 s51, s42, 31
	;; [unrolled: 1-line block ×5, first 2 shown]
	v_add_u32_e32 v17, v2, v3
	s_mul_i32 s57, s0, 3
	s_sub_i32 s58, 0, s0
	s_sub_i32 s59, 0, s37
	;; [unrolled: 1-line block ×4, first 2 shown]
	v_mov_b32_e32 v18, s3
	v_mov_b32_e32 v19, s9
	v_mov_b32_e32 v20, s17
	s_mov_b32 s3, 0x3f200000
	s_mov_b32 s9, 0x3fb8aa3b
	;; [unrolled: 1-line block ×4, first 2 shown]
	v_mov_b32_e32 v21, 0xbd5c1c4e
	v_mov_b32_e32 v22, 0x3e088382
	;; [unrolled: 1-line block ×3, first 2 shown]
	s_mov_b32 s63, 0xbfb8aa3b
	s_mov_b32 s64, 0x42ce8ed0
	;; [unrolled: 1-line block ×3, first 2 shown]
	s_brev_b32 s66, -2
	v_mov_b32_e32 v24, 0x7f800000
	s_branch .LBB5_3
.LBB5_2:                                ;   in Loop: Header=BB5_3 Depth=1
	s_or_b64 exec, exec, s[36:37]
	v_add_f32_e32 v7, v39, v40
	v_add_f32_e32 v7, v7, v44
	;; [unrolled: 1-line block ×3, first 2 shown]
	v_mul_f32_e32 v8, 0xbfb8aa3b, v7
	v_fma_f32 v9, v7, s63, -v8
	v_rndne_f32_e32 v10, v8
	v_fmac_f32_e32 v9, 0xb2a5705f, v7
	v_sub_f32_e32 v8, v8, v10
	v_add_f32_e32 v8, v8, v9
	v_cvt_i32_f32_e32 v9, v10
	v_exp_f32_e32 v8, v8
	v_cmp_nlt_f32_e32 vcc, s64, v7
	v_bfi_b32 v2, s66, v2, v6
	v_ldexp_f32 v8, v8, v9
	v_cndmask_b32_e32 v8, 0, v8, vcc
	v_cmp_ngt_f32_e32 vcc, s65, v7
	v_cndmask_b32_e32 v7, v24, v8, vcc
	v_add_f32_e32 v7, 1.0, v7
	v_div_scale_f32 v8, s[36:37], v7, v7, 1.0
	v_rcp_f32_e32 v9, v8
	v_fma_f32 v10, -v8, v9, 1.0
	v_fmac_f32_e32 v9, v10, v9
	v_div_scale_f32 v10, vcc, 1.0, v7, 1.0
	v_mul_f32_e32 v11, v10, v9
	v_fma_f32 v39, -v8, v11, v10
	v_fmac_f32_e32 v11, v39, v9
	v_fma_f32 v8, -v8, v11, v10
	v_div_fmas_f32 v8, v8, v9, v11
	v_mul_hi_u32 v9, v31, v14
	v_mul_lo_u32 v10, v9, s48
	v_sub_u32_e32 v10, v31, v10
	v_add_u32_e32 v11, 1, v9
	v_cmp_le_u32_e32 vcc, s48, v10
	v_cndmask_b32_e32 v9, v9, v11, vcc
	v_subrev_u32_e32 v11, s48, v10
	v_cndmask_b32_e32 v10, v10, v11, vcc
	v_add_u32_e32 v11, 1, v9
	v_cmp_le_u32_e32 vcc, s48, v10
	v_div_fixup_f32 v7, v8, v7, 1.0
	v_xor_b32_e32 v8, s51, v30
	v_cndmask_b32_e32 v9, v9, v11, vcc
	v_xor_b32_e32 v9, v9, v8
	v_sub_u32_e32 v9, v9, v8
	v_mul_lo_u32 v8, v9, s42
	v_sub_u32_e32 v8, v27, v8
	v_add_u32_e32 v8, v0, v8
	v_mul_lo_u32 v8, v8, s35
	v_mad_u64_u32 v[8:9], s[36:37], v9, s34, v[8:9]
	v_ashrrev_i32_e32 v9, 31, v8
	v_lshlrev_b64 v[8:9], 2, v[8:9]
	v_mul_hi_u32 v11, v34, v14
	v_mov_b32_e32 v27, s31
	v_add_co_u32_e32 v8, vcc, s30, v8
	v_mul_lo_u32 v30, v11, s48
	v_addc_co_u32_e32 v9, vcc, v27, v9, vcc
	v_sub_u32_e32 v30, v34, v30
	v_add_u32_e32 v31, 1, v11
	v_cmp_le_u32_e32 vcc, s48, v30
	v_cndmask_b32_e32 v11, v11, v31, vcc
	v_subrev_u32_e32 v31, s48, v30
	v_cndmask_b32_e32 v30, v30, v31, vcc
	v_add_u32_e32 v31, 1, v11
	v_cmp_le_u32_e32 vcc, s48, v30
	v_xor_b32_e32 v10, s51, v33
	v_cndmask_b32_e32 v11, v11, v31, vcc
	v_xor_b32_e32 v11, v11, v10
	v_sub_u32_e32 v11, v11, v10
	v_mul_lo_u32 v10, v11, s42
	v_sub_u32_e32 v10, v28, v10
	v_add_u32_e32 v10, v0, v10
	v_mul_lo_u32 v10, v10, s35
	v_mad_u64_u32 v[10:11], s[36:37], v11, s34, v[10:11]
	v_ashrrev_i32_e32 v11, 31, v10
	v_lshlrev_b64 v[10:11], 2, v[10:11]
	v_mul_hi_u32 v30, v36, v14
	v_add_co_u32_e32 v10, vcc, s30, v10
	v_mul_lo_u32 v31, v30, s48
	v_addc_co_u32_e32 v11, vcc, v27, v11, vcc
	v_sub_u32_e32 v31, v36, v31
	v_add_u32_e32 v33, 1, v30
	v_cmp_le_u32_e32 vcc, s48, v31
	v_cndmask_b32_e32 v30, v30, v33, vcc
	v_subrev_u32_e32 v33, s48, v31
	v_cndmask_b32_e32 v31, v31, v33, vcc
	v_add_u32_e32 v33, 1, v30
	v_cmp_le_u32_e32 vcc, s48, v31
	v_xor_b32_e32 v28, s51, v35
	v_cndmask_b32_e32 v30, v30, v33, vcc
	v_xor_b32_e32 v30, v30, v28
	v_sub_u32_e32 v30, v30, v28
	v_mul_lo_u32 v28, v30, s42
	v_sub_u32_e32 v28, v29, v28
	v_add_u32_e32 v28, v0, v28
	v_mul_lo_u32 v28, v28, s35
	v_mad_u64_u32 v[28:29], s[36:37], v30, s34, v[28:29]
	v_ashrrev_i32_e32 v29, 31, v28
	v_lshlrev_b64 v[28:29], 2, v[28:29]
	v_mul_hi_u32 v31, v38, v14
	;; [unrolled: 23-line block ×3, first 2 shown]
	v_add_co_u32_e32 v30, vcc, s30, v30
	v_mul_lo_u32 v33, v32, s53
	v_addc_co_u32_e32 v31, vcc, v27, v31, vcc
	v_sub_u32_e32 v33, v26, v33
	v_add_u32_e32 v34, 1, v32
	v_cmp_le_u32_e32 vcc, s53, v33
	v_cndmask_b32_e32 v32, v32, v34, vcc
	v_subrev_u32_e32 v34, s53, v33
	v_cndmask_b32_e32 v33, v33, v34, vcc
	v_add_u32_e32 v34, 1, v32
	v_cmp_le_u32_e32 vcc, s53, v33
	v_xor_b32_e32 v27, s55, v25
	v_cndmask_b32_e32 v32, v32, v34, vcc
	v_xor_b32_e32 v32, v32, v27
	v_sub_u32_e32 v27, v32, v27
	v_mad_u64_u32 v[32:33], s[36:37], s60, v27, v[0:1]
	v_mul_lo_u32 v32, v32, s23
	v_mad_u64_u32 v[32:33], s[36:37], v27, s22, v[32:33]
	v_ashrrev_i32_e32 v33, 31, v32
	v_lshlrev_b64 v[32:33], 2, v[32:33]
	v_mov_b32_e32 v27, s21
	v_add_co_u32_e32 v32, vcc, s20, v32
	v_addc_co_u32_e32 v33, vcc, v27, v33, vcc
	v_mul_hi_u32 v27, v26, v17
	v_mul_lo_u32 v34, v27, s54
	v_sub_u32_e32 v26, v26, v34
	v_add_u32_e32 v34, 1, v27
	v_cmp_le_u32_e32 vcc, s54, v26
	v_cndmask_b32_e32 v27, v27, v34, vcc
	v_subrev_u32_e32 v34, s54, v26
	v_cndmask_b32_e32 v26, v26, v34, vcc
	v_add_u32_e32 v34, 1, v27
	v_cmp_le_u32_e32 vcc, s54, v26
	v_xor_b32_e32 v25, s56, v25
	v_cndmask_b32_e32 v26, v27, v34, vcc
	v_xor_b32_e32 v26, v26, v25
	v_sub_u32_e32 v25, v26, v25
	v_mad_u64_u32 v[26:27], s[36:37], s61, v25, v[0:1]
	v_mul_lo_u32 v26, v26, s29
	v_mad_u64_u32 v[26:27], s[36:37], v25, s28, v[26:27]
	v_ashrrev_i32_e32 v27, 31, v26
	v_lshlrev_b64 v[26:27], 2, v[26:27]
	v_mov_b32_e32 v25, s27
	v_add_co_u32_e32 v26, vcc, s26, v26
	v_addc_co_u32_e32 v27, vcc, v25, v27, vcc
	v_add_u32_e32 v0, s43, v0
	v_cmp_le_i32_e32 vcc, s1, v0
	v_mul_f32_e32 v2, v7, v2
	s_or_b64 s[4:5], vcc, s[4:5]
	global_store_dword v[32:33], v2, off
	global_store_dword v[26:27], v6, off
	;; [unrolled: 1-line block ×6, first 2 shown]
	s_andn2_b64 exec, exec, s[4:5]
	s_cbranch_execz .LBB5_13
.LBB5_3:                                ; =>This Inner Loop Header: Depth=1
	v_sub_u32_e32 v2, 0, v0
	v_max_i32_e32 v26, v0, v2
	v_mul_hi_u32 v2, v26, v1
	v_mul_lo_u32 v4, v2, s41
	v_sub_u32_e32 v4, v26, v4
	v_add_u32_e32 v5, 1, v2
	v_cmp_le_u32_e32 vcc, s41, v4
	v_cndmask_b32_e32 v2, v2, v5, vcc
	v_subrev_u32_e32 v5, s41, v4
	v_cndmask_b32_e32 v4, v4, v5, vcc
	v_ashrrev_i32_e32 v25, 31, v0
	v_add_u32_e32 v5, 1, v2
	v_cmp_le_u32_e32 vcc, s41, v4
	v_xor_b32_e32 v3, s45, v25
	v_cndmask_b32_e32 v2, v2, v5, vcc
	v_xor_b32_e32 v41, v2, v3
	v_sub_u32_e32 v42, v41, v3
	v_mul_lo_u32 v27, s57, v42
	v_add_u32_e32 v2, v0, v27
	v_ashrrev_i32_e32 v30, 31, v2
	v_add3_u32 v4, v30, v27, v0
	v_xor_b32_e32 v31, v4, v30
	v_mul_hi_u32 v4, v31, v12
	v_mul_lo_u32 v5, v4, s44
	v_sub_u32_e32 v5, v31, v5
	v_add_u32_e32 v6, 1, v4
	v_cmp_le_u32_e32 vcc, s44, v5
	v_cndmask_b32_e32 v4, v4, v6, vcc
	v_subrev_u32_e32 v6, s44, v5
	v_cndmask_b32_e32 v5, v5, v6, vcc
	v_add_u32_e32 v6, 1, v4
	v_cmp_le_u32_e32 vcc, s44, v5
	v_xor_b32_e32 v2, s47, v30
	v_cndmask_b32_e32 v4, v4, v6, vcc
	v_xor_b32_e32 v4, v4, v2
	v_sub_u32_e32 v4, v4, v2
	v_mul_lo_u32 v2, v4, s33
	v_sub_u32_e32 v2, v27, v2
	v_add_u32_e32 v2, v0, v2
	v_mul_lo_u32 v2, v2, s7
	v_mad_u64_u32 v[4:5], s[36:37], v4, s6, v[2:3]
	v_lshl_add_u32 v2, v41, 1, v41
	v_mul_i32_i24_e32 v6, 3, v3
	v_sub_u32_e32 v10, v2, v6
	v_mul_lo_u32 v2, s0, v10
	v_add_u32_e32 v28, s0, v2
	v_add_u32_e32 v2, v0, v28
	v_ashrrev_i32_e32 v33, 31, v2
	v_add3_u32 v6, v33, v28, v0
	v_ashrrev_i32_e32 v5, 31, v4
	v_xor_b32_e32 v34, v6, v33
	v_lshlrev_b64 v[4:5], 2, v[4:5]
	v_mul_hi_u32 v6, v34, v12
	v_add_co_u32_e32 v4, vcc, s2, v4
	v_mul_lo_u32 v7, v6, s44
	v_addc_co_u32_e32 v5, vcc, v18, v5, vcc
	v_sub_u32_e32 v7, v34, v7
	v_add_u32_e32 v8, 1, v6
	v_cmp_le_u32_e32 vcc, s44, v7
	v_cndmask_b32_e32 v6, v6, v8, vcc
	v_subrev_u32_e32 v8, s44, v7
	v_cndmask_b32_e32 v7, v7, v8, vcc
	v_add_u32_e32 v8, 1, v6
	v_cmp_le_u32_e32 vcc, s44, v7
	v_xor_b32_e32 v2, s47, v33
	v_cndmask_b32_e32 v6, v6, v8, vcc
	v_xor_b32_e32 v6, v6, v2
	v_sub_u32_e32 v6, v6, v2
	v_mul_lo_u32 v2, v6, s33
	v_sub_u32_e32 v2, v28, v2
	v_add_u32_e32 v2, v0, v2
	v_mul_lo_u32 v2, v2, s7
	v_mad_u64_u32 v[6:7], s[36:37], v6, s6, v[2:3]
	v_add_u32_e32 v2, 2, v10
	v_mul_lo_u32 v29, s0, v2
	v_add_u32_e32 v2, v0, v29
	v_ashrrev_i32_e32 v35, 31, v2
	v_add3_u32 v8, v35, v29, v0
	v_ashrrev_i32_e32 v7, 31, v6
	v_xor_b32_e32 v36, v8, v35
	v_lshlrev_b64 v[6:7], 2, v[6:7]
	v_mul_hi_u32 v8, v36, v12
	v_add_co_u32_e32 v6, vcc, s2, v6
	v_mul_lo_u32 v9, v8, s44
	v_addc_co_u32_e32 v7, vcc, v18, v7, vcc
	v_sub_u32_e32 v9, v36, v9
	v_add_u32_e32 v11, 1, v8
	v_cmp_le_u32_e32 vcc, s44, v9
	v_cndmask_b32_e32 v8, v8, v11, vcc
	v_subrev_u32_e32 v11, s44, v9
	v_cndmask_b32_e32 v9, v9, v11, vcc
	v_add_u32_e32 v11, 1, v8
	v_cmp_le_u32_e32 vcc, s44, v9
	v_xor_b32_e32 v2, s47, v35
	v_cndmask_b32_e32 v8, v8, v11, vcc
	v_xor_b32_e32 v8, v8, v2
	v_sub_u32_e32 v8, v8, v2
	v_mul_lo_u32 v2, v8, s33
	v_sub_u32_e32 v2, v29, v2
	v_add_u32_e32 v2, v0, v2
	v_mul_lo_u32 v2, v2, s7
	v_mad_u64_u32 v[8:9], s[36:37], v8, s6, v[2:3]
	v_add_u32_e32 v2, 3, v10
	v_mul_lo_u32 v32, s0, v2
	v_add_u32_e32 v2, v0, v32
	v_ashrrev_i32_e32 v37, 31, v2
	v_add3_u32 v10, v37, v32, v0
	v_ashrrev_i32_e32 v9, 31, v8
	v_xor_b32_e32 v38, v10, v37
	v_lshlrev_b64 v[8:9], 2, v[8:9]
	v_mul_hi_u32 v10, v38, v12
	v_add_co_u32_e32 v8, vcc, s2, v8
	v_mul_lo_u32 v11, v10, s44
	v_addc_co_u32_e32 v9, vcc, v18, v9, vcc
	v_sub_u32_e32 v11, v38, v11
	v_add_u32_e32 v39, 1, v10
	v_cmp_le_u32_e32 vcc, s44, v11
	v_cndmask_b32_e32 v10, v10, v39, vcc
	v_subrev_u32_e32 v39, s44, v11
	v_cndmask_b32_e32 v11, v11, v39, vcc
	v_add_u32_e32 v39, 1, v10
	v_cmp_le_u32_e32 vcc, s44, v11
	v_xor_b32_e32 v2, s47, v37
	v_cndmask_b32_e32 v10, v10, v39, vcc
	v_xor_b32_e32 v10, v10, v2
	v_sub_u32_e32 v10, v10, v2
	v_mul_lo_u32 v2, v10, s33
	v_sub_u32_e32 v2, v32, v2
	v_add_u32_e32 v2, v0, v2
	v_mul_lo_u32 v2, v2, s7
	v_mad_u64_u32 v[10:11], s[36:37], v10, s6, v[2:3]
	v_ashrrev_i32_e32 v11, 31, v10
	v_lshlrev_b64 v[10:11], 2, v[10:11]
	v_add_co_u32_e32 v10, vcc, s2, v10
	v_addc_co_u32_e32 v11, vcc, v18, v11, vcc
	global_load_dword v5, v[4:5], off
	s_nop 0
	global_load_dword v4, v[6:7], off
	global_load_dword v43, v[8:9], off
	;; [unrolled: 1-line block ×3, first 2 shown]
	v_mul_hi_u32 v6, v31, v13
	v_mul_lo_u32 v7, v6, s46
	v_sub_u32_e32 v7, v31, v7
	v_add_u32_e32 v8, 1, v6
	v_cmp_le_u32_e32 vcc, s46, v7
	v_cndmask_b32_e32 v6, v6, v8, vcc
	v_subrev_u32_e32 v8, s46, v7
	v_cndmask_b32_e32 v7, v7, v8, vcc
	v_add_u32_e32 v8, 1, v6
	v_cmp_le_u32_e32 vcc, s46, v7
	v_xor_b32_e32 v2, s49, v30
	v_cndmask_b32_e32 v6, v6, v8, vcc
	v_xor_b32_e32 v6, v6, v2
	v_sub_u32_e32 v6, v6, v2
	v_mul_lo_u32 v2, v6, s38
	v_sub_u32_e32 v2, v27, v2
	v_add_u32_e32 v2, v0, v2
	v_mul_lo_u32 v2, v2, s11
	v_mad_u64_u32 v[6:7], s[36:37], v6, s10, v[2:3]
	v_ashrrev_i32_e32 v7, 31, v6
	v_lshlrev_b64 v[6:7], 2, v[6:7]
	v_mul_hi_u32 v8, v34, v13
	v_add_co_u32_e32 v6, vcc, s8, v6
	v_mul_lo_u32 v9, v8, s46
	v_addc_co_u32_e32 v7, vcc, v19, v7, vcc
	v_sub_u32_e32 v9, v34, v9
	v_add_u32_e32 v10, 1, v8
	v_cmp_le_u32_e32 vcc, s46, v9
	v_cndmask_b32_e32 v8, v8, v10, vcc
	v_subrev_u32_e32 v10, s46, v9
	v_cndmask_b32_e32 v9, v9, v10, vcc
	v_add_u32_e32 v10, 1, v8
	v_cmp_le_u32_e32 vcc, s46, v9
	v_xor_b32_e32 v2, s49, v33
	v_cndmask_b32_e32 v8, v8, v10, vcc
	v_xor_b32_e32 v8, v8, v2
	v_sub_u32_e32 v8, v8, v2
	v_mul_lo_u32 v2, v8, s38
	v_sub_u32_e32 v2, v28, v2
	v_add_u32_e32 v2, v0, v2
	v_mul_lo_u32 v2, v2, s11
	v_mad_u64_u32 v[8:9], s[36:37], v8, s10, v[2:3]
	v_ashrrev_i32_e32 v9, 31, v8
	v_lshlrev_b64 v[8:9], 2, v[8:9]
	v_mul_hi_u32 v10, v36, v13
	v_add_co_u32_e32 v8, vcc, s8, v8
	v_mul_lo_u32 v11, v10, s46
	v_addc_co_u32_e32 v9, vcc, v19, v9, vcc
	;; [unrolled: 23-line block ×3, first 2 shown]
	v_sub_u32_e32 v44, v38, v44
	v_add_u32_e32 v45, 1, v40
	v_cmp_le_u32_e32 vcc, s46, v44
	v_cndmask_b32_e32 v40, v40, v45, vcc
	v_subrev_u32_e32 v45, s46, v44
	v_cndmask_b32_e32 v44, v44, v45, vcc
	v_add_u32_e32 v45, 1, v40
	v_cmp_le_u32_e32 vcc, s46, v44
	v_xor_b32_e32 v2, s49, v37
	v_cndmask_b32_e32 v40, v40, v45, vcc
	v_xor_b32_e32 v40, v40, v2
	v_sub_u32_e32 v40, v40, v2
	v_mul_lo_u32 v2, v40, s38
	v_sub_u32_e32 v2, v32, v2
	v_add_u32_e32 v2, v0, v2
	v_mul_lo_u32 v2, v2, s11
	v_mad_u64_u32 v[44:45], s[36:37], v40, s10, v[2:3]
	v_ashrrev_i32_e32 v45, 31, v44
	v_lshlrev_b64 v[44:45], 2, v[44:45]
	v_add_co_u32_e32 v44, vcc, s8, v44
	v_addc_co_u32_e32 v45, vcc, v19, v45, vcc
	global_load_dword v7, v[6:7], off
	s_nop 0
	global_load_dword v6, v[8:9], off
	global_load_dword v46, v[10:11], off
	;; [unrolled: 1-line block ×3, first 2 shown]
	v_mul_hi_u32 v8, v26, v15
	v_mul_lo_u32 v9, v8, s50
	v_sub_u32_e32 v9, v26, v9
	v_add_u32_e32 v10, 1, v8
	v_cmp_le_u32_e32 vcc, s50, v9
	v_cndmask_b32_e32 v8, v8, v10, vcc
	v_subrev_u32_e32 v10, s50, v9
	v_cndmask_b32_e32 v9, v9, v10, vcc
	v_add_u32_e32 v10, 1, v8
	v_cmp_le_u32_e32 vcc, s50, v9
	v_xor_b32_e32 v2, s52, v25
	v_cndmask_b32_e32 v8, v8, v10, vcc
	v_xor_b32_e32 v8, v8, v2
	v_sub_u32_e32 v10, v8, v2
	v_mad_u64_u32 v[8:9], s[36:37], s59, v10, v[0:1]
	v_mul_lo_u32 v2, v8, s19
	v_mad_u64_u32 v[8:9], s[36:37], v10, s18, v[2:3]
	v_ashrrev_i32_e32 v9, 31, v8
	v_lshlrev_b64 v[8:9], 2, v[8:9]
	v_add_co_u32_e32 v8, vcc, s16, v8
	v_addc_co_u32_e32 v9, vcc, v20, v9, vcc
	global_load_dword v2, v[8:9], off
	s_andn2_b64 vcc, exec, s[24:25]
	v_mov_b32_e32 v48, 0
	v_mov_b32_e32 v45, 0
	;; [unrolled: 1-line block ×8, first 2 shown]
	s_cbranch_vccnz .LBB5_5
; %bb.4:                                ;   in Loop: Header=BB5_3 Depth=1
	v_mad_u64_u32 v[10:11], s[36:37], s58, v42, v[0:1]
	v_sub_u32_e32 v3, v3, v41
	v_mul_lo_u32 v8, v10, s39
	v_mul_lo_u32 v41, s0, v3
	v_ashrrev_i32_e32 v9, 31, v8
	v_add3_u32 v41, v41, s0, v0
	v_lshlrev_b64 v[8:9], 2, v[8:9]
	v_mul_lo_u32 v44, v41, s39
	v_add_u32_e32 v42, 2, v3
	v_mov_b32_e32 v11, s13
	v_add_co_u32_e32 v8, vcc, s12, v8
	v_ashrrev_i32_e32 v45, 31, v44
	v_mad_u64_u32 v[48:49], s[36:37], s0, v42, v[0:1]
	v_addc_co_u32_e32 v9, vcc, v11, v9, vcc
	v_lshlrev_b64 v[44:45], 2, v[44:45]
	v_mul_lo_u32 v50, v48, s39
	v_add_u32_e32 v3, 3, v3
	v_add_co_u32_e32 v44, vcc, s12, v44
	v_ashrrev_i32_e32 v51, 31, v50
	v_mad_u64_u32 v[52:53], s[36:37], s0, v3, v[0:1]
	v_addc_co_u32_e32 v45, vcc, v11, v45, vcc
	v_lshlrev_b64 v[50:51], 2, v[50:51]
	v_mul_lo_u32 v54, v52, s39
	v_add_co_u32_e32 v50, vcc, s12, v50
	v_ashrrev_i32_e32 v55, 31, v54
	v_addc_co_u32_e32 v51, vcc, v11, v51, vcc
	v_lshlrev_b64 v[54:55], 2, v[54:55]
	v_add_co_u32_e32 v54, vcc, s12, v54
	v_mul_lo_u32 v10, v10, s40
	v_addc_co_u32_e32 v55, vcc, v11, v55, vcc
	v_ashrrev_i32_e32 v11, 31, v10
	global_load_dword v9, v[8:9], off
	s_nop 0
	global_load_dword v8, v[44:45], off
	global_load_dword v47, v[50:51], off
	s_nop 0
	global_load_dword v44, v[54:55], off
	v_lshlrev_b64 v[10:11], 2, v[10:11]
	v_mul_lo_u32 v50, v41, s40
	v_mov_b32_e32 v3, s15
	v_add_co_u32_e32 v10, vcc, s14, v10
	v_ashrrev_i32_e32 v51, 31, v50
	v_addc_co_u32_e32 v11, vcc, v3, v11, vcc
	v_lshlrev_b64 v[50:51], 2, v[50:51]
	v_mul_lo_u32 v48, v48, s40
	v_add_co_u32_e32 v50, vcc, s14, v50
	v_ashrrev_i32_e32 v49, 31, v48
	v_addc_co_u32_e32 v51, vcc, v3, v51, vcc
	v_lshlrev_b64 v[48:49], 2, v[48:49]
	v_mul_lo_u32 v52, v52, s40
	v_add_co_u32_e32 v48, vcc, s14, v48
	v_ashrrev_i32_e32 v53, 31, v52
	v_addc_co_u32_e32 v49, vcc, v3, v49, vcc
	v_lshlrev_b64 v[52:53], 2, v[52:53]
	v_add_co_u32_e32 v52, vcc, s14, v52
	v_addc_co_u32_e32 v53, vcc, v3, v53, vcc
	global_load_dword v11, v[10:11], off
	s_nop 0
	global_load_dword v10, v[50:51], off
	s_nop 0
	;; [unrolled: 2-line block ×3, first 2 shown]
	global_load_dword v45, v[52:53], off
.LBB5_5:                                ;   in Loop: Header=BB5_3 Depth=1
	s_waitcnt vmcnt(2)
	v_add_f32_e32 v3, v43, v46
	v_add_f32_e32 v3, v3, v47
	s_waitcnt vmcnt(1)
	v_add_f32_e32 v3, v48, v3
	v_cmp_nlt_f32_e64 s[36:37], |v3|, s3
                                        ; implicit-def: $vgpr41
	s_and_saveexec_b64 s[68:69], s[36:37]
	s_xor_b64 s[36:37], exec, s[68:69]
	s_cbranch_execz .LBB5_7
; %bb.6:                                ;   in Loop: Header=BB5_3 Depth=1
	v_add_f32_e64 v41, |v3|, |v3|
	v_mul_f32_e32 v42, 0x3fb8aa3b, v41
	v_rndne_f32_e32 v43, v42
	v_sub_f32_e32 v46, v42, v43
	v_fma_f32 v42, v41, s9, -v42
	v_fmac_f32_e32 v42, 0x32a5705f, v41
	v_add_f32_e32 v42, v46, v42
	v_cvt_i32_f32_e32 v43, v43
	v_exp_f32_e32 v42, v42
	v_cmp_ngt_f32_e32 vcc, s17, v41
	v_ldexp_f32 v42, v42, v43
	v_cndmask_b32_e32 v42, 0, v42, vcc
	v_cmp_nlt_f32_e32 vcc, s62, v41
	v_cndmask_b32_e32 v41, v24, v42, vcc
	v_add_f32_e32 v41, 1.0, v41
	v_rcp_f32_e32 v41, v41
	v_fma_f32 v41, v41, -2.0, 1.0
.LBB5_7:                                ;   in Loop: Header=BB5_3 Depth=1
	s_andn2_saveexec_b64 s[36:37], s[36:37]
; %bb.8:                                ;   in Loop: Header=BB5_3 Depth=1
	v_mul_f32_e32 v41, v3, v3
	v_mov_b32_e32 v42, 0x3ca908c9
	v_fmac_f32_e32 v42, 0xbbbac73d, v41
	v_fma_f32 v42, v41, v42, v21
	v_fma_f32 v42, v41, v42, v22
	;; [unrolled: 1-line block ×3, first 2 shown]
	v_mul_f32_e64 v42, |v3|, v42
	v_fma_f32 v41, v41, v42, |v3|
; %bb.9:                                ;   in Loop: Header=BB5_3 Depth=1
	s_or_b64 exec, exec, s[36:37]
	v_pk_add_f32 v[4:5], v[4:5], v[6:7]
	v_pk_add_f32 v[4:5], v[4:5], v[8:9]
	;; [unrolled: 1-line block ×3, first 2 shown]
	v_mul_f32_e32 v6, 0xbfb8aa3b, v5
	v_fma_f32 v7, v5, s63, -v6
	v_rndne_f32_e32 v8, v6
	v_fmac_f32_e32 v7, 0xb2a5705f, v5
	v_sub_f32_e32 v6, v6, v8
	v_add_f32_e32 v6, v6, v7
	v_cvt_i32_f32_e32 v7, v8
	v_exp_f32_e32 v6, v6
	v_cmp_nlt_f32_e32 vcc, s64, v5
	v_bfi_b32 v3, s66, v41, v3
	v_ldexp_f32 v6, v6, v7
	v_mul_f32_e32 v7, 0xbfb8aa3b, v4
	v_fma_f32 v8, v4, s63, -v7
	v_rndne_f32_e32 v9, v7
	v_fmac_f32_e32 v8, 0xb2a5705f, v4
	v_sub_f32_e32 v7, v7, v9
	v_add_f32_e32 v7, v7, v8
	v_exp_f32_e32 v7, v7
	v_cvt_i32_f32_e32 v8, v9
	v_cndmask_b32_e32 v6, 0, v6, vcc
	v_cmp_ngt_f32_e32 vcc, s65, v5
	v_cndmask_b32_e32 v5, v24, v6, vcc
	v_ldexp_f32 v6, v7, v8
	v_cmp_nlt_f32_e32 vcc, s64, v4
	v_cndmask_b32_e32 v6, 0, v6, vcc
	v_cmp_ngt_f32_e32 vcc, s65, v4
	v_cndmask_b32_e32 v4, v24, v6, vcc
	v_pk_add_f32 v[4:5], v[4:5], 1.0 op_sel_hi:[1,0]
	v_div_scale_f32 v6, s[36:37], v5, v5, 1.0
	v_rcp_f32_e32 v7, v6
	v_fma_f32 v8, -v6, v7, 1.0
	v_fmac_f32_e32 v7, v8, v7
	v_div_scale_f32 v8, vcc, 1.0, v5, 1.0
	v_mul_f32_e32 v9, v8, v7
	v_fma_f32 v10, -v6, v9, v8
	v_fmac_f32_e32 v9, v10, v7
	v_fma_f32 v6, -v6, v9, v8
	v_div_scale_f32 v8, s[36:37], v4, v4, 1.0
	v_rcp_f32_e32 v10, v8
	v_div_fmas_f32 v6, v6, v7, v9
	v_div_fixup_f32 v5, v6, v5, 1.0
	v_fma_f32 v6, -v8, v10, 1.0
	v_fmac_f32_e32 v10, v6, v10
	v_div_scale_f32 v6, vcc, 1.0, v4, 1.0
	v_mul_f32_e32 v7, v6, v10
	v_fma_f32 v9, -v8, v7, v6
	v_fmac_f32_e32 v7, v9, v10
	v_fma_f32 v6, -v8, v7, v6
	v_div_fmas_f32 v6, v6, v10, v7
	v_div_fixup_f32 v4, v6, v4, 1.0
	s_waitcnt vmcnt(0)
	v_pk_mul_f32 v[6:7], v[2:3], v[4:5]
	v_mov_b32_e32 v6, v7
	v_pk_fma_f32 v[6:7], v[2:3], v[4:5], v[6:7]
	v_cmp_nlt_f32_e64 s[36:37], |v6|, s3
                                        ; implicit-def: $vgpr2
	s_and_saveexec_b64 s[68:69], s[36:37]
	s_xor_b64 s[36:37], exec, s[68:69]
	s_cbranch_execz .LBB5_11
; %bb.10:                               ;   in Loop: Header=BB5_3 Depth=1
	v_add_f32_e64 v2, |v6|, |v6|
	v_mul_f32_e32 v7, 0x3fb8aa3b, v2
	v_rndne_f32_e32 v8, v7
	v_sub_f32_e32 v9, v7, v8
	v_fma_f32 v7, v2, s9, -v7
	v_fmac_f32_e32 v7, 0x32a5705f, v2
	v_add_f32_e32 v7, v9, v7
	v_cvt_i32_f32_e32 v8, v8
	v_exp_f32_e32 v7, v7
	v_cmp_ngt_f32_e32 vcc, s17, v2
	v_ldexp_f32 v7, v7, v8
	v_cndmask_b32_e32 v7, 0, v7, vcc
	v_cmp_nlt_f32_e32 vcc, s62, v2
	v_cndmask_b32_e32 v2, v24, v7, vcc
	v_add_f32_e32 v2, 1.0, v2
	v_rcp_f32_e32 v2, v2
	v_fma_f32 v2, v2, -2.0, 1.0
.LBB5_11:                               ;   in Loop: Header=BB5_3 Depth=1
	s_andn2_saveexec_b64 s[36:37], s[36:37]
	s_cbranch_execz .LBB5_2
; %bb.12:                               ;   in Loop: Header=BB5_3 Depth=1
	v_mul_f32_e32 v2, v6, v6
	v_mov_b32_e32 v7, 0x3ca908c9
	v_fmac_f32_e32 v7, 0xbbbac73d, v2
	v_fma_f32 v7, v2, v7, v21
	v_fma_f32 v7, v2, v7, v22
	;; [unrolled: 1-line block ×3, first 2 shown]
	v_mul_f32_e64 v7, |v6|, v7
	v_fma_f32 v2, v2, v7, |v6|
	s_branch .LBB5_2
.LBB5_13:
	s_endpgm
	.section	.rodata,"a",@progbits
	.p2align	6, 0x0
	.amdhsa_kernel _ZN2at6native12_GLOBAL__N_16kernel17lstm_cell_forwardIffiLi2EEEvNS_4cuda6detail10TensorInfoIT_T1_EES9_S9_S9_S9_S9_S9_S9_S8_S8_
		.amdhsa_group_segment_fixed_size 0
		.amdhsa_private_segment_fixed_size 0
		.amdhsa_kernarg_size 1992
		.amdhsa_user_sgpr_count 6
		.amdhsa_user_sgpr_private_segment_buffer 1
		.amdhsa_user_sgpr_dispatch_ptr 0
		.amdhsa_user_sgpr_queue_ptr 0
		.amdhsa_user_sgpr_kernarg_segment_ptr 1
		.amdhsa_user_sgpr_dispatch_id 0
		.amdhsa_user_sgpr_flat_scratch_init 0
		.amdhsa_user_sgpr_kernarg_preload_length 0
		.amdhsa_user_sgpr_kernarg_preload_offset 0
		.amdhsa_user_sgpr_private_segment_size 0
		.amdhsa_uses_dynamic_stack 0
		.amdhsa_system_sgpr_private_segment_wavefront_offset 0
		.amdhsa_system_sgpr_workgroup_id_x 1
		.amdhsa_system_sgpr_workgroup_id_y 0
		.amdhsa_system_sgpr_workgroup_id_z 0
		.amdhsa_system_sgpr_workgroup_info 0
		.amdhsa_system_vgpr_workitem_id 0
		.amdhsa_next_free_vgpr 56
		.amdhsa_next_free_sgpr 70
		.amdhsa_accum_offset 56
		.amdhsa_reserve_vcc 1
		.amdhsa_reserve_flat_scratch 0
		.amdhsa_float_round_mode_32 0
		.amdhsa_float_round_mode_16_64 0
		.amdhsa_float_denorm_mode_32 3
		.amdhsa_float_denorm_mode_16_64 3
		.amdhsa_dx10_clamp 1
		.amdhsa_ieee_mode 1
		.amdhsa_fp16_overflow 0
		.amdhsa_tg_split 0
		.amdhsa_exception_fp_ieee_invalid_op 0
		.amdhsa_exception_fp_denorm_src 0
		.amdhsa_exception_fp_ieee_div_zero 0
		.amdhsa_exception_fp_ieee_overflow 0
		.amdhsa_exception_fp_ieee_underflow 0
		.amdhsa_exception_fp_ieee_inexact 0
		.amdhsa_exception_int_div_zero 0
	.end_amdhsa_kernel
	.section	.text._ZN2at6native12_GLOBAL__N_16kernel17lstm_cell_forwardIffiLi2EEEvNS_4cuda6detail10TensorInfoIT_T1_EES9_S9_S9_S9_S9_S9_S9_S8_S8_,"axG",@progbits,_ZN2at6native12_GLOBAL__N_16kernel17lstm_cell_forwardIffiLi2EEEvNS_4cuda6detail10TensorInfoIT_T1_EES9_S9_S9_S9_S9_S9_S9_S8_S8_,comdat
.Lfunc_end5:
	.size	_ZN2at6native12_GLOBAL__N_16kernel17lstm_cell_forwardIffiLi2EEEvNS_4cuda6detail10TensorInfoIT_T1_EES9_S9_S9_S9_S9_S9_S9_S8_S8_, .Lfunc_end5-_ZN2at6native12_GLOBAL__N_16kernel17lstm_cell_forwardIffiLi2EEEvNS_4cuda6detail10TensorInfoIT_T1_EES9_S9_S9_S9_S9_S9_S9_S8_S8_
                                        ; -- End function
	.section	.AMDGPU.csdata,"",@progbits
; Kernel info:
; codeLenInByte = 4168
; NumSgprs: 74
; NumVgprs: 56
; NumAgprs: 0
; TotalNumVgprs: 56
; ScratchSize: 0
; MemoryBound: 0
; FloatMode: 240
; IeeeMode: 1
; LDSByteSize: 0 bytes/workgroup (compile time only)
; SGPRBlocks: 9
; VGPRBlocks: 6
; NumSGPRsForWavesPerEU: 74
; NumVGPRsForWavesPerEU: 56
; AccumOffset: 56
; Occupancy: 8
; WaveLimiterHint : 1
; COMPUTE_PGM_RSRC2:SCRATCH_EN: 0
; COMPUTE_PGM_RSRC2:USER_SGPR: 6
; COMPUTE_PGM_RSRC2:TRAP_HANDLER: 0
; COMPUTE_PGM_RSRC2:TGID_X_EN: 1
; COMPUTE_PGM_RSRC2:TGID_Y_EN: 0
; COMPUTE_PGM_RSRC2:TGID_Z_EN: 0
; COMPUTE_PGM_RSRC2:TIDIG_COMP_CNT: 0
; COMPUTE_PGM_RSRC3_GFX90A:ACCUM_OFFSET: 13
; COMPUTE_PGM_RSRC3_GFX90A:TG_SPLIT: 0
	.section	.text._ZN2at6native12_GLOBAL__N_16kernel17lstm_cell_forwardIfflLi1EEEvNS_4cuda6detail10TensorInfoIT_T1_EES9_S9_S9_S9_S9_S9_S9_S8_S8_,"axG",@progbits,_ZN2at6native12_GLOBAL__N_16kernel17lstm_cell_forwardIfflLi1EEEvNS_4cuda6detail10TensorInfoIT_T1_EES9_S9_S9_S9_S9_S9_S9_S8_S8_,comdat
	.globl	_ZN2at6native12_GLOBAL__N_16kernel17lstm_cell_forwardIfflLi1EEEvNS_4cuda6detail10TensorInfoIT_T1_EES9_S9_S9_S9_S9_S9_S9_S8_S8_ ; -- Begin function _ZN2at6native12_GLOBAL__N_16kernel17lstm_cell_forwardIfflLi1EEEvNS_4cuda6detail10TensorInfoIT_T1_EES9_S9_S9_S9_S9_S9_S9_S8_S8_
	.p2align	8
	.type	_ZN2at6native12_GLOBAL__N_16kernel17lstm_cell_forwardIfflLi1EEEvNS_4cuda6detail10TensorInfoIT_T1_EES9_S9_S9_S9_S9_S9_S9_S8_S8_,@function
_ZN2at6native12_GLOBAL__N_16kernel17lstm_cell_forwardIfflLi1EEEvNS_4cuda6detail10TensorInfoIT_T1_EES9_S9_S9_S9_S9_S9_S9_S8_S8_: ; @_ZN2at6native12_GLOBAL__N_16kernel17lstm_cell_forwardIfflLi1EEEvNS_4cuda6detail10TensorInfoIT_T1_EES9_S9_S9_S9_S9_S9_S9_S8_S8_
; %bb.0:
	s_load_dword s2, s[4:5], 0xd1c
	s_load_dwordx4 s[8:11], s[4:5], 0xd00
	s_add_u32 s0, s4, 0xd10
	s_addc_u32 s1, s5, 0
	v_mov_b32_e32 v2, 0
	s_waitcnt lgkmcnt(0)
	s_and_b32 s30, s2, 0xffff
	s_mul_i32 s6, s6, s30
	v_add_u32_e32 v0, s6, v0
	v_mov_b32_e32 v1, v2
	v_cmp_gt_i64_e32 vcc, s[10:11], v[0:1]
	s_and_saveexec_b64 s[2:3], vcc
	s_cbranch_execz .LBB6_17
; %bb.1:
	s_load_dwordx2 s[2:3], s[4:5], 0x0
	s_load_dwordx2 s[6:7], s[4:5], 0xd0
	;; [unrolled: 1-line block ×12, first 2 shown]
	s_load_dword s31, s[0:1], 0x0
	s_load_dwordx2 s[42:43], s[4:5], 0x9c0
	s_load_dwordx2 s[50:51], s[4:5], 0xa90
                                        ; kill: killed $sgpr0 killed $sgpr1
	s_load_dwordx2 s[24:25], s[4:5], 0xb60
	s_load_dwordx2 s[26:27], s[4:5], 0xc30
	s_waitcnt lgkmcnt(0)
	s_cmp_lg_u64 s[16:17], 0
	s_mul_i32 s0, s9, 3
	s_mul_hi_u32 s1, s8, 3
	s_cselect_b64 s[28:29], -1, 0
	s_add_i32 s45, s1, s0
	v_mul_lo_u32 v3, 0, s36
	v_mul_lo_u32 v6, v0, s37
	v_mad_u64_u32 v[4:5], s[0:1], v0, s36, 0
	s_mul_i32 s33, s31, s30
	v_add3_u32 v5, v5, v6, v3
	s_sub_u32 s47, 0, s8
	v_lshlrev_b64 v[4:5], 2, v[4:5]
	s_mul_i32 s0, s33, s37
	s_mul_hi_u32 s1, s33, s36
	s_subb_u32 s48, 0, s9
	v_mov_b32_e32 v3, s35
	v_add_co_u32_e32 v4, vcc, s34, v4
	s_add_i32 s1, s1, s0
	s_mul_i32 s0, s33, s36
	v_addc_co_u32_e32 v5, vcc, v3, v5, vcc
	s_lshl_b64 s[30:31], s[0:1], 2
	v_mul_lo_u32 v3, 0, s40
	v_mul_lo_u32 v8, v0, s41
	v_mad_u64_u32 v[6:7], s[0:1], v0, s40, 0
	v_add3_u32 v7, v7, v8, v3
	v_lshlrev_b64 v[6:7], 2, v[6:7]
	s_mul_i32 s0, s33, s41
	s_mul_hi_u32 s1, s33, s40
	v_mov_b32_e32 v3, s39
	v_add_co_u32_e32 v6, vcc, s38, v6
	s_add_i32 s1, s1, s0
	s_mul_i32 s0, s33, s40
	v_addc_co_u32_e32 v7, vcc, v3, v7, vcc
	s_lshl_b64 s[34:35], s[0:1], 2
	v_mul_lo_u32 v3, 0, s50
	v_mul_lo_u32 v10, v0, s51
	v_mad_u64_u32 v[8:9], s[0:1], v0, s50, 0
	v_add3_u32 v9, v9, v10, v3
	v_lshlrev_b64 v[8:9], 2, v[8:9]
	s_mul_i32 s0, s33, s51
	s_mul_hi_u32 s1, s33, s50
	v_mov_b32_e32 v3, s43
	v_add_co_u32_e32 v8, vcc, s42, v8
	s_add_i32 s1, s1, s0
	s_mul_i32 s0, s33, s50
	s_mov_b64 s[4:5], 0
	s_mov_b32 s44, 0
	s_mul_i32 s46, s8, 3
	v_addc_co_u32_e32 v9, vcc, v3, v9, vcc
	s_lshl_b64 s[36:37], s[0:1], 2
	s_mov_b32 s49, 0x3f200000
	s_mov_b32 s50, 0x3fb8aa3b
	;; [unrolled: 1-line block ×4, first 2 shown]
	v_mov_b32_e32 v30, 0xbd5c1c4e
	v_mov_b32_e32 v31, 0x3e088382
	;; [unrolled: 1-line block ×3, first 2 shown]
	s_mov_b32 s53, 0xbfb8aa3b
	s_mov_b32 s54, 0x42ce8ed0
	;; [unrolled: 1-line block ×3, first 2 shown]
	s_brev_b32 s56, -2
	v_mov_b32_e32 v33, 0x7f800000
	s_branch .LBB6_3
.LBB6_2:                                ;   in Loop: Header=BB6_3 Depth=1
	s_or_b64 exec, exec, s[0:1]
	v_add_f32_e32 v17, v17, v34
	v_add_f32_e32 v17, v17, v35
	;; [unrolled: 1-line block ×3, first 2 shown]
	v_mul_f32_e32 v23, 0xbfb8aa3b, v17
	v_fma_f32 v24, v17, s53, -v23
	v_rndne_f32_e32 v25, v23
	v_fmac_f32_e32 v24, 0xb2a5705f, v17
	v_sub_f32_e32 v23, v23, v25
	v_add_f32_e32 v23, v23, v24
	v_cvt_i32_f32_e32 v24, v25
	v_exp_f32_e32 v23, v23
	v_cmp_nlt_f32_e32 vcc, s54, v17
	v_mul_lo_u32 v3, v3, s26
	v_ldexp_f32 v23, v23, v24
	v_cndmask_b32_e32 v23, 0, v23, vcc
	v_cmp_ngt_f32_e32 vcc, s55, v17
	v_cndmask_b32_e32 v17, v33, v23, vcc
	v_add_f32_e32 v17, 1.0, v17
	v_div_scale_f32 v23, s[0:1], v17, v17, 1.0
	v_rcp_f32_e32 v24, v23
	v_fma_f32 v25, -v23, v24, 1.0
	v_fmac_f32_e32 v24, v25, v24
	v_div_scale_f32 v25, vcc, 1.0, v17, 1.0
	v_mul_f32_e32 v26, v25, v24
	v_fma_f32 v27, -v23, v26, v25
	v_fmac_f32_e32 v26, v27, v24
	v_fma_f32 v23, -v23, v26, v25
	v_div_fmas_f32 v23, v23, v24, v26
	v_div_fixup_f32 v17, v23, v17, 1.0
	v_mul_lo_u32 v23, v10, s27
	v_mad_u64_u32 v[24:25], s[0:1], v10, s26, 0
	v_add3_u32 v25, v25, v23, v3
	v_lshlrev_b64 v[24:25], 2, v[24:25]
	v_mul_lo_u32 v23, v11, s26
	v_mul_lo_u32 v26, v12, s27
	v_mad_u64_u32 v[10:11], s[0:1], v12, s26, 0
	v_mov_b32_e32 v3, s25
	v_add_co_u32_e32 v24, vcc, s24, v24
	v_add3_u32 v11, v11, v26, v23
	v_addc_co_u32_e32 v25, vcc, v3, v25, vcc
	v_lshlrev_b64 v[10:11], 2, v[10:11]
	v_mul_lo_u32 v23, v13, s26
	v_mul_lo_u32 v26, v14, s27
	v_mad_u64_u32 v[12:13], s[0:1], v14, s26, 0
	v_add_co_u32_e32 v10, vcc, s24, v10
	v_add3_u32 v13, v13, v26, v23
	v_addc_co_u32_e32 v11, vcc, v3, v11, vcc
	v_lshlrev_b64 v[12:13], 2, v[12:13]
	v_mul_lo_u32 v23, v15, s26
	v_mul_lo_u32 v26, v16, s27
	v_mad_u64_u32 v[14:15], s[0:1], v16, s26, 0
	v_add_co_u32_e32 v12, vcc, s24, v12
	v_add3_u32 v15, v15, v26, v23
	v_addc_co_u32_e32 v13, vcc, v3, v13, vcc
	v_lshlrev_b64 v[14:15], 2, v[14:15]
	v_add_co_u32_e32 v14, vcc, s24, v14
	v_addc_co_u32_e32 v15, vcc, v3, v15, vcc
	v_bfi_b32 v3, s56, v18, v22
	v_mul_f32_e32 v3, v17, v3
	global_store_dword v[6:7], v3, off
	global_store_dword v[8:9], v22, off
	;; [unrolled: 1-line block ×6, first 2 shown]
	v_mov_b32_e32 v3, s44
	v_add_co_u32_e32 v0, vcc, s33, v0
	v_addc_co_u32_e32 v1, vcc, v1, v3, vcc
	v_mov_b32_e32 v3, s31
	v_add_co_u32_e32 v4, vcc, s30, v4
	v_addc_co_u32_e32 v5, vcc, v5, v3, vcc
	;; [unrolled: 3-line block ×3, first 2 shown]
	v_cmp_le_i64_e32 vcc, s[10:11], v[0:1]
	v_mov_b32_e32 v3, s37
	s_or_b64 s[4:5], vcc, s[4:5]
	v_add_co_u32_e32 v8, vcc, s36, v8
	v_addc_co_u32_e32 v9, vcc, v9, v3, vcc
	s_andn2_b64 exec, exec, s[4:5]
	s_cbranch_execz .LBB6_17
.LBB6_3:                                ; =>This Inner Loop Header: Depth=1
	v_or_b32_e32 v3, s9, v1
	v_cmp_ne_u64_e32 vcc, 0, v[2:3]
                                        ; implicit-def: $vgpr24_vgpr25
	s_and_saveexec_b64 s[0:1], vcc
	s_xor_b64 s[38:39], exec, s[0:1]
	s_cbranch_execz .LBB6_5
; %bb.4:                                ;   in Loop: Header=BB6_3 Depth=1
	s_ashr_i32 s40, s9, 31
	s_add_u32 s0, s8, s40
	s_mov_b32 s41, s40
	s_addc_u32 s1, s9, s40
	s_xor_b64 s[42:43], s[0:1], s[40:41]
	v_cvt_f32_u32_e32 v3, s42
	v_cvt_f32_u32_e32 v10, s43
	s_sub_u32 s0, 0, s42
	s_subb_u32 s1, 0, s43
	v_mac_f32_e32 v3, 0x4f800000, v10
	v_rcp_f32_e32 v3, v3
	v_mul_f32_e32 v3, 0x5f7ffffc, v3
	v_mul_f32_e32 v10, 0x2f800000, v3
	v_trunc_f32_e32 v10, v10
	v_mac_f32_e32 v3, 0xcf800000, v10
	v_cvt_u32_f32_e32 v10, v10
	v_cvt_u32_f32_e32 v3, v3
	v_mul_lo_u32 v11, s0, v10
	v_mul_hi_u32 v13, s0, v3
	v_mul_lo_u32 v12, s1, v3
	v_add_u32_e32 v11, v13, v11
	v_mul_lo_u32 v14, s0, v3
	v_add_u32_e32 v11, v11, v12
	v_mul_lo_u32 v13, v3, v11
	v_mul_hi_u32 v15, v3, v14
	v_mul_hi_u32 v12, v3, v11
	v_add_co_u32_e32 v13, vcc, v15, v13
	v_addc_co_u32_e32 v12, vcc, 0, v12, vcc
	v_mul_hi_u32 v16, v10, v14
	v_mul_lo_u32 v14, v10, v14
	v_add_co_u32_e32 v13, vcc, v13, v14
	v_mul_hi_u32 v15, v10, v11
	v_addc_co_u32_e32 v12, vcc, v12, v16, vcc
	v_addc_co_u32_e32 v13, vcc, 0, v15, vcc
	v_mul_lo_u32 v11, v10, v11
	v_add_co_u32_e32 v11, vcc, v12, v11
	v_addc_co_u32_e32 v12, vcc, 0, v13, vcc
	v_add_co_u32_e32 v3, vcc, v3, v11
	v_addc_co_u32_e32 v10, vcc, v10, v12, vcc
	v_mul_lo_u32 v11, s0, v10
	v_mul_hi_u32 v12, s0, v3
	v_add_u32_e32 v11, v12, v11
	v_mul_lo_u32 v12, s1, v3
	v_add_u32_e32 v11, v11, v12
	v_mul_lo_u32 v13, s0, v3
	v_mul_hi_u32 v14, v10, v13
	v_mul_lo_u32 v15, v10, v13
	v_mul_lo_u32 v17, v3, v11
	v_mul_hi_u32 v13, v3, v13
	v_mul_hi_u32 v16, v3, v11
	v_add_co_u32_e32 v13, vcc, v13, v17
	v_addc_co_u32_e32 v16, vcc, 0, v16, vcc
	v_add_co_u32_e32 v13, vcc, v13, v15
	v_mul_hi_u32 v12, v10, v11
	v_addc_co_u32_e32 v13, vcc, v16, v14, vcc
	v_addc_co_u32_e32 v12, vcc, 0, v12, vcc
	v_mul_lo_u32 v11, v10, v11
	v_add_co_u32_e32 v11, vcc, v13, v11
	v_addc_co_u32_e32 v12, vcc, 0, v12, vcc
	v_add_co_u32_e32 v3, vcc, v3, v11
	v_addc_co_u32_e32 v12, vcc, v10, v12, vcc
	v_ashrrev_i32_e32 v14, 31, v1
	v_add_co_u32_e32 v10, vcc, v0, v14
	v_addc_co_u32_e32 v11, vcc, v1, v14, vcc
	v_xor_b32_e32 v16, v10, v14
	v_xor_b32_e32 v15, v11, v14
	v_mad_u64_u32 v[10:11], s[0:1], v16, v12, 0
	v_mul_hi_u32 v13, v16, v3
	v_add_co_u32_e32 v17, vcc, v13, v10
	v_addc_co_u32_e32 v18, vcc, 0, v11, vcc
	v_mad_u64_u32 v[10:11], s[0:1], v15, v12, 0
	v_mad_u64_u32 v[12:13], s[0:1], v15, v3, 0
	v_add_co_u32_e32 v3, vcc, v17, v12
	v_addc_co_u32_e32 v3, vcc, v18, v13, vcc
	v_addc_co_u32_e32 v11, vcc, 0, v11, vcc
	v_add_co_u32_e32 v3, vcc, v3, v10
	v_addc_co_u32_e32 v12, vcc, 0, v11, vcc
	v_mul_lo_u32 v13, s43, v3
	v_mul_lo_u32 v17, s42, v12
	v_mad_u64_u32 v[10:11], s[0:1], s42, v3, 0
	v_add3_u32 v11, v11, v17, v13
	v_sub_u32_e32 v13, v15, v11
	v_mov_b32_e32 v17, s43
	v_sub_co_u32_e32 v10, vcc, v16, v10
	v_subb_co_u32_e64 v13, s[0:1], v13, v17, vcc
	v_subrev_co_u32_e64 v16, s[0:1], s42, v10
	v_subbrev_co_u32_e64 v13, s[0:1], 0, v13, s[0:1]
	v_cmp_le_u32_e64 s[0:1], s43, v13
	v_cndmask_b32_e64 v17, 0, -1, s[0:1]
	v_cmp_le_u32_e64 s[0:1], s42, v16
	v_cndmask_b32_e64 v16, 0, -1, s[0:1]
	v_cmp_eq_u32_e64 s[0:1], s43, v13
	v_cndmask_b32_e64 v13, v17, v16, s[0:1]
	v_add_co_u32_e64 v16, s[0:1], 2, v3
	v_subb_co_u32_e32 v11, vcc, v15, v11, vcc
	v_addc_co_u32_e64 v17, s[0:1], 0, v12, s[0:1]
	v_cmp_le_u32_e32 vcc, s43, v11
	v_add_co_u32_e64 v18, s[0:1], 1, v3
	v_cndmask_b32_e64 v15, 0, -1, vcc
	v_cmp_le_u32_e32 vcc, s42, v10
	v_addc_co_u32_e64 v19, s[0:1], 0, v12, s[0:1]
	v_cndmask_b32_e64 v10, 0, -1, vcc
	v_cmp_eq_u32_e32 vcc, s43, v11
	v_cmp_ne_u32_e64 s[0:1], 0, v13
	v_cndmask_b32_e32 v10, v15, v10, vcc
	v_cmp_ne_u32_e32 vcc, 0, v10
	v_cndmask_b32_e64 v11, v18, v16, s[0:1]
	v_cndmask_b32_e64 v13, v19, v17, s[0:1]
	v_cndmask_b32_e32 v3, v3, v11, vcc
	v_xor_b32_e32 v11, s40, v14
	v_cndmask_b32_e32 v10, v12, v13, vcc
	v_xor_b32_e32 v3, v3, v11
	v_xor_b32_e32 v10, v10, v11
	v_sub_co_u32_e32 v24, vcc, v3, v11
	v_subb_co_u32_e32 v25, vcc, v10, v11, vcc
.LBB6_5:                                ;   in Loop: Header=BB6_3 Depth=1
	s_andn2_saveexec_b64 s[0:1], s[38:39]
	s_cbranch_execz .LBB6_7
; %bb.6:                                ;   in Loop: Header=BB6_3 Depth=1
	v_cvt_f32_u32_e32 v3, s8
	s_sub_i32 s38, 0, s8
	v_mov_b32_e32 v25, v2
	v_rcp_iflag_f32_e32 v3, v3
	v_mul_f32_e32 v3, 0x4f7ffffe, v3
	v_cvt_u32_f32_e32 v3, v3
	v_mul_lo_u32 v10, s38, v3
	v_mul_hi_u32 v10, v3, v10
	v_add_u32_e32 v3, v3, v10
	v_mul_hi_u32 v3, v0, v3
	v_mul_lo_u32 v10, v3, s8
	v_sub_u32_e32 v10, v0, v10
	v_add_u32_e32 v11, 1, v3
	v_subrev_u32_e32 v12, s8, v10
	v_cmp_le_u32_e32 vcc, s8, v10
	v_cndmask_b32_e32 v10, v10, v12, vcc
	v_cndmask_b32_e32 v3, v3, v11, vcc
	v_add_u32_e32 v11, 1, v3
	v_cmp_le_u32_e32 vcc, s8, v10
	v_cndmask_b32_e32 v24, v3, v11, vcc
.LBB6_7:                                ;   in Loop: Header=BB6_3 Depth=1
	s_or_b64 exec, exec, s[0:1]
	v_mad_u64_u32 v[10:11], s[0:1], s46, v24, v[0:1]
	v_mul_lo_u32 v3, s46, v25
	v_mul_lo_u32 v12, s45, v24
	v_add3_u32 v3, v12, v11, v3
	v_mul_lo_u32 v11, v10, s7
	v_mul_lo_u32 v14, v3, s6
	v_mad_u64_u32 v[12:13], s[0:1], v10, s6, 0
	v_add3_u32 v13, v13, v11, v14
	v_lshlrev_b64 v[12:13], 2, v[12:13]
	v_mov_b32_e32 v29, s3
	v_add_co_u32_e32 v18, vcc, s2, v12
	v_addc_co_u32_e32 v19, vcc, v29, v13, vcc
	v_mad_u64_u32 v[12:13], s[0:1], v24, 3, 1
	v_lshl_add_u32 v20, v25, 1, v25
	v_add_u32_e32 v11, v20, v13
	v_mul_lo_u32 v14, s9, v12
	v_mul_lo_u32 v11, s8, v11
	v_mad_u64_u32 v[12:13], s[0:1], s8, v12, v[0:1]
	v_add3_u32 v11, v14, v13, v11
	v_mul_lo_u32 v13, v11, s6
	v_mul_lo_u32 v16, v12, s7
	v_mad_u64_u32 v[14:15], s[0:1], v12, s6, 0
	v_add3_u32 v15, v15, v16, v13
	v_lshlrev_b64 v[14:15], 2, v[14:15]
	v_add_co_u32_e32 v22, vcc, s2, v14
	v_addc_co_u32_e32 v23, vcc, v29, v15, vcc
	v_mad_u64_u32 v[14:15], s[0:1], v24, 3, 2
	v_add_u32_e32 v13, v20, v15
	v_mul_lo_u32 v16, s9, v14
	v_mul_lo_u32 v13, s8, v13
	v_mad_u64_u32 v[14:15], s[0:1], s8, v14, v[0:1]
	v_add3_u32 v13, v16, v15, v13
	v_mul_lo_u32 v15, v13, s6
	v_mul_lo_u32 v21, v14, s7
	v_mad_u64_u32 v[16:17], s[0:1], v14, s6, 0
	v_add3_u32 v17, v17, v21, v15
	v_lshlrev_b64 v[16:17], 2, v[16:17]
	v_add_co_u32_e32 v26, vcc, s2, v16
	v_addc_co_u32_e32 v27, vcc, v29, v17, vcc
	v_mad_u64_u32 v[16:17], s[0:1], v24, 3, 3
	v_add_u32_e32 v15, v20, v17
	v_mul_lo_u32 v20, s9, v16
	v_mul_lo_u32 v15, s8, v15
	v_mad_u64_u32 v[16:17], s[0:1], s8, v16, v[0:1]
	v_add3_u32 v15, v20, v17, v15
	v_mul_lo_u32 v17, v15, s6
	v_mul_lo_u32 v28, v16, s7
	v_mad_u64_u32 v[20:21], s[0:1], v16, s6, 0
	v_add3_u32 v21, v21, v28, v17
	v_lshlrev_b64 v[20:21], 2, v[20:21]
	v_add_co_u32_e32 v28, vcc, s2, v20
	v_addc_co_u32_e32 v29, vcc, v29, v21, vcc
	global_load_dword v21, v[18:19], off
	global_load_dword v20, v[22:23], off
	s_nop 0
	global_load_dword v19, v[26:27], off
	global_load_dword v17, v[28:29], off
	v_mul_lo_u32 v18, v10, s15
	v_mul_lo_u32 v26, v3, s14
	v_mad_u64_u32 v[22:23], s[0:1], v10, s14, 0
	v_add3_u32 v23, v23, v18, v26
	v_lshlrev_b64 v[22:23], 2, v[22:23]
	v_mul_lo_u32 v28, v11, s14
	v_mul_lo_u32 v29, v12, s15
	v_mad_u64_u32 v[26:27], s[0:1], v12, s14, 0
	v_mov_b32_e32 v18, s13
	v_add_co_u32_e32 v22, vcc, s12, v22
	v_add3_u32 v27, v27, v29, v28
	v_addc_co_u32_e32 v23, vcc, v18, v23, vcc
	v_lshlrev_b64 v[26:27], 2, v[26:27]
	v_mul_lo_u32 v34, v13, s14
	v_mul_lo_u32 v35, v14, s15
	v_mad_u64_u32 v[28:29], s[0:1], v14, s14, 0
	v_add_co_u32_e32 v26, vcc, s12, v26
	v_add3_u32 v29, v29, v35, v34
	v_addc_co_u32_e32 v27, vcc, v18, v27, vcc
	v_lshlrev_b64 v[28:29], 2, v[28:29]
	v_mul_lo_u32 v36, v15, s14
	v_mul_lo_u32 v37, v16, s15
	v_mad_u64_u32 v[34:35], s[0:1], v16, s14, 0
	v_add_co_u32_e32 v28, vcc, s12, v28
	v_add3_u32 v35, v35, v37, v36
	v_addc_co_u32_e32 v29, vcc, v18, v29, vcc
	v_lshlrev_b64 v[34:35], 2, v[34:35]
	v_add_co_u32_e32 v34, vcc, s12, v34
	v_addc_co_u32_e32 v35, vcc, v18, v35, vcc
	global_load_dword v23, v[22:23], off
	s_nop 0
	global_load_dword v22, v[26:27], off
	global_load_dword v37, v[28:29], off
	s_nop 0
	global_load_dword v34, v[34:35], off
	s_nop 0
	global_load_dword v18, v[4:5], off
	s_andn2_b64 vcc, exec, s[28:29]
	v_mov_b32_e32 v39, 0
	v_mov_b32_e32 v36, 0
	v_mov_b32_e32 v35, 0
	v_mov_b32_e32 v38, 0
	v_mov_b32_e32 v28, 0
	v_mov_b32_e32 v29, 0
	v_mov_b32_e32 v26, 0
	v_mov_b32_e32 v27, 0
	s_cbranch_vccnz .LBB6_9
; %bb.8:                                ;   in Loop: Header=BB6_3 Depth=1
	v_mad_u64_u32 v[28:29], s[0:1], s47, v24, v[0:1]
	v_mul_lo_u32 v26, s47, v25
	v_mul_lo_u32 v27, s48, v24
	v_add3_u32 v29, v27, v29, v26
	v_mul_lo_u32 v35, v28, s19
	v_mul_lo_u32 v36, v29, s18
	v_mad_u64_u32 v[26:27], s[0:1], v28, s18, 0
	v_add3_u32 v27, v27, v35, v36
	v_lshlrev_b64 v[26:27], 2, v[26:27]
	v_mov_b32_e32 v35, s17
	v_add_co_u32_e32 v26, vcc, s16, v26
	v_addc_co_u32_e32 v27, vcc, v35, v27, vcc
	v_sub_co_u32_e32 v36, vcc, 1, v24
	v_subb_co_u32_e32 v38, vcc, 0, v25, vcc
	v_mul_lo_u32 v38, s8, v38
	v_mul_lo_u32 v39, s9, v36
	v_mad_u64_u32 v[40:41], s[0:1], s8, v36, v[0:1]
	v_add3_u32 v36, v39, v41, v38
	v_mul_lo_u32 v41, v36, s18
	v_mul_lo_u32 v42, v40, s19
	v_mad_u64_u32 v[38:39], s[0:1], v40, s18, 0
	v_add3_u32 v39, v39, v42, v41
	v_lshlrev_b64 v[38:39], 2, v[38:39]
	v_add_co_u32_e32 v38, vcc, s16, v38
	v_addc_co_u32_e32 v39, vcc, v35, v39, vcc
	v_sub_co_u32_e32 v41, vcc, 2, v24
	v_subb_co_u32_e32 v42, vcc, 0, v25, vcc
	v_mul_lo_u32 v44, s8, v42
	v_mul_lo_u32 v45, s9, v41
	v_mad_u64_u32 v[42:43], s[0:1], s8, v41, v[0:1]
	v_add3_u32 v43, v45, v43, v44
	v_mul_lo_u32 v41, v43, s18
	v_mul_lo_u32 v46, v42, s19
	v_mad_u64_u32 v[44:45], s[0:1], v42, s18, 0
	v_add3_u32 v45, v45, v46, v41
	v_lshlrev_b64 v[44:45], 2, v[44:45]
	;; [unrolled: 13-line block ×3, first 2 shown]
	v_add_co_u32_e32 v46, vcc, s16, v46
	v_addc_co_u32_e32 v47, vcc, v35, v47, vcc
	global_load_dword v27, v[26:27], off
	s_nop 0
	global_load_dword v26, v[38:39], off
	s_nop 0
	global_load_dword v38, v[44:45], off
	global_load_dword v35, v[46:47], off
	v_mul_lo_u32 v39, v28, s23
	v_mul_lo_u32 v41, v29, s22
	v_mad_u64_u32 v[28:29], s[0:1], v28, s22, 0
	v_add3_u32 v29, v29, v39, v41
	v_lshlrev_b64 v[28:29], 2, v[28:29]
	v_mul_lo_u32 v36, v36, s22
	v_mul_lo_u32 v44, v40, s23
	v_mad_u64_u32 v[40:41], s[0:1], v40, s22, 0
	v_mov_b32_e32 v39, s21
	v_add_co_u32_e32 v28, vcc, s20, v28
	v_add3_u32 v41, v41, v44, v36
	v_addc_co_u32_e32 v29, vcc, v39, v29, vcc
	v_lshlrev_b64 v[40:41], 2, v[40:41]
	v_mul_lo_u32 v36, v43, s22
	v_mul_lo_u32 v44, v42, s23
	v_mad_u64_u32 v[42:43], s[0:1], v42, s22, 0
	v_add_co_u32_e32 v40, vcc, s20, v40
	v_add3_u32 v43, v43, v44, v36
	v_addc_co_u32_e32 v41, vcc, v39, v41, vcc
	v_lshlrev_b64 v[42:43], 2, v[42:43]
	v_mul_lo_u32 v36, v25, s22
	v_mul_lo_u32 v44, v24, s23
	v_mad_u64_u32 v[24:25], s[0:1], v24, s22, 0
	v_add_co_u32_e32 v42, vcc, s20, v42
	v_add3_u32 v25, v25, v44, v36
	v_addc_co_u32_e32 v43, vcc, v39, v43, vcc
	v_lshlrev_b64 v[24:25], 2, v[24:25]
	v_add_co_u32_e32 v24, vcc, s20, v24
	v_addc_co_u32_e32 v25, vcc, v39, v25, vcc
	global_load_dword v29, v[28:29], off
	s_nop 0
	global_load_dword v28, v[40:41], off
	global_load_dword v39, v[42:43], off
	;; [unrolled: 1-line block ×3, first 2 shown]
.LBB6_9:                                ;   in Loop: Header=BB6_3 Depth=1
	s_waitcnt vmcnt(2)
	v_add_f32_e32 v19, v19, v37
	v_add_f32_e32 v19, v19, v38
	s_waitcnt vmcnt(1)
	v_add_f32_e32 v19, v39, v19
	v_cmp_nlt_f32_e64 s[0:1], |v19|, s49
                                        ; implicit-def: $vgpr24
	s_and_saveexec_b64 s[38:39], s[0:1]
	s_xor_b64 s[0:1], exec, s[38:39]
	s_cbranch_execz .LBB6_11
; %bb.10:                               ;   in Loop: Header=BB6_3 Depth=1
	v_add_f32_e64 v24, |v19|, |v19|
	v_mul_f32_e32 v25, 0x3fb8aa3b, v24
	v_rndne_f32_e32 v37, v25
	v_sub_f32_e32 v38, v25, v37
	v_fma_f32 v25, v24, s50, -v25
	v_fmac_f32_e32 v25, 0x32a5705f, v24
	v_add_f32_e32 v25, v38, v25
	v_cvt_i32_f32_e32 v37, v37
	v_exp_f32_e32 v25, v25
	v_cmp_ngt_f32_e32 vcc, s51, v24
	v_ldexp_f32 v25, v25, v37
	v_cndmask_b32_e32 v25, 0, v25, vcc
	v_cmp_nlt_f32_e32 vcc, s52, v24
	v_cndmask_b32_e32 v24, v33, v25, vcc
	v_add_f32_e32 v24, 1.0, v24
	v_rcp_f32_e32 v24, v24
	v_fma_f32 v24, v24, -2.0, 1.0
.LBB6_11:                               ;   in Loop: Header=BB6_3 Depth=1
	s_andn2_saveexec_b64 s[0:1], s[0:1]
; %bb.12:                               ;   in Loop: Header=BB6_3 Depth=1
	v_mul_f32_e32 v24, v19, v19
	v_mov_b32_e32 v25, 0x3ca908c9
	v_fmac_f32_e32 v25, 0xbbbac73d, v24
	v_fma_f32 v25, v24, v25, v30
	v_fma_f32 v25, v24, v25, v31
	;; [unrolled: 1-line block ×3, first 2 shown]
	v_mul_f32_e64 v25, |v19|, v25
	v_fma_f32 v24, v24, v25, |v19|
; %bb.13:                               ;   in Loop: Header=BB6_3 Depth=1
	s_or_b64 exec, exec, s[0:1]
	v_pk_add_f32 v[20:21], v[20:21], v[22:23]
	v_pk_add_f32 v[20:21], v[20:21], v[26:27]
	;; [unrolled: 1-line block ×3, first 2 shown]
	v_mul_f32_e32 v22, 0xbfb8aa3b, v21
	v_fma_f32 v23, v21, s53, -v22
	v_rndne_f32_e32 v25, v22
	v_fmac_f32_e32 v23, 0xb2a5705f, v21
	v_sub_f32_e32 v22, v22, v25
	v_add_f32_e32 v22, v22, v23
	v_cvt_i32_f32_e32 v23, v25
	v_exp_f32_e32 v22, v22
	v_cmp_nlt_f32_e32 vcc, s54, v21
	v_bfi_b32 v19, s56, v24, v19
	v_ldexp_f32 v22, v22, v23
	v_mul_f32_e32 v23, 0xbfb8aa3b, v20
	v_fma_f32 v25, v20, s53, -v23
	v_rndne_f32_e32 v26, v23
	v_fmac_f32_e32 v25, 0xb2a5705f, v20
	v_sub_f32_e32 v23, v23, v26
	v_add_f32_e32 v23, v23, v25
	v_exp_f32_e32 v23, v23
	v_cvt_i32_f32_e32 v25, v26
	v_cndmask_b32_e32 v22, 0, v22, vcc
	v_cmp_ngt_f32_e32 vcc, s55, v21
	v_cndmask_b32_e32 v21, v33, v22, vcc
	v_ldexp_f32 v22, v23, v25
	v_cmp_nlt_f32_e32 vcc, s54, v20
	v_cndmask_b32_e32 v22, 0, v22, vcc
	v_cmp_ngt_f32_e32 vcc, s55, v20
	v_cndmask_b32_e32 v20, v33, v22, vcc
	v_pk_add_f32 v[20:21], v[20:21], 1.0 op_sel_hi:[1,0]
	v_div_scale_f32 v22, s[0:1], v21, v21, 1.0
	v_rcp_f32_e32 v23, v22
	v_fma_f32 v25, -v22, v23, 1.0
	v_fmac_f32_e32 v23, v25, v23
	v_div_scale_f32 v25, vcc, 1.0, v21, 1.0
	v_mul_f32_e32 v26, v25, v23
	v_fma_f32 v27, -v22, v26, v25
	v_fmac_f32_e32 v26, v27, v23
	v_fma_f32 v22, -v22, v26, v25
	v_div_scale_f32 v25, s[0:1], v20, v20, 1.0
	v_rcp_f32_e32 v27, v25
	v_div_fmas_f32 v22, v22, v23, v26
	v_div_fixup_f32 v21, v22, v21, 1.0
	v_fma_f32 v22, -v25, v27, 1.0
	v_fmac_f32_e32 v27, v22, v27
	v_div_scale_f32 v22, vcc, 1.0, v20, 1.0
	v_mul_f32_e32 v23, v22, v27
	v_fma_f32 v26, -v25, v23, v22
	v_fmac_f32_e32 v23, v26, v27
	v_fma_f32 v22, -v25, v23, v22
	v_div_fmas_f32 v22, v22, v27, v23
	v_div_fixup_f32 v20, v22, v20, 1.0
	s_waitcnt vmcnt(0)
	v_pk_mul_f32 v[22:23], v[18:19], v[20:21]
	v_mov_b32_e32 v22, v23
	v_pk_fma_f32 v[22:23], v[18:19], v[20:21], v[22:23]
	v_cmp_nlt_f32_e64 s[0:1], |v22|, s49
                                        ; implicit-def: $vgpr18
	s_and_saveexec_b64 s[38:39], s[0:1]
	s_xor_b64 s[0:1], exec, s[38:39]
	s_cbranch_execz .LBB6_15
; %bb.14:                               ;   in Loop: Header=BB6_3 Depth=1
	v_add_f32_e64 v18, |v22|, |v22|
	v_mul_f32_e32 v23, 0x3fb8aa3b, v18
	v_rndne_f32_e32 v24, v23
	v_sub_f32_e32 v25, v23, v24
	v_fma_f32 v23, v18, s50, -v23
	v_fmac_f32_e32 v23, 0x32a5705f, v18
	v_add_f32_e32 v23, v25, v23
	v_cvt_i32_f32_e32 v24, v24
	v_exp_f32_e32 v23, v23
	v_cmp_ngt_f32_e32 vcc, s51, v18
	v_ldexp_f32 v23, v23, v24
	v_cndmask_b32_e32 v23, 0, v23, vcc
	v_cmp_nlt_f32_e32 vcc, s52, v18
	v_cndmask_b32_e32 v18, v33, v23, vcc
	v_add_f32_e32 v18, 1.0, v18
	v_rcp_f32_e32 v18, v18
	v_fma_f32 v18, v18, -2.0, 1.0
.LBB6_15:                               ;   in Loop: Header=BB6_3 Depth=1
	s_andn2_saveexec_b64 s[0:1], s[0:1]
	s_cbranch_execz .LBB6_2
; %bb.16:                               ;   in Loop: Header=BB6_3 Depth=1
	v_mul_f32_e32 v18, v22, v22
	v_mov_b32_e32 v23, 0x3ca908c9
	v_fmac_f32_e32 v23, 0xbbbac73d, v18
	v_fma_f32 v23, v18, v23, v30
	v_fma_f32 v23, v18, v23, v31
	;; [unrolled: 1-line block ×3, first 2 shown]
	v_mul_f32_e64 v23, |v22|, v23
	v_fma_f32 v18, v18, v23, |v22|
	s_branch .LBB6_2
.LBB6_17:
	s_endpgm
	.section	.rodata,"a",@progbits
	.p2align	6, 0x0
	.amdhsa_kernel _ZN2at6native12_GLOBAL__N_16kernel17lstm_cell_forwardIfflLi1EEEvNS_4cuda6detail10TensorInfoIT_T1_EES9_S9_S9_S9_S9_S9_S9_S8_S8_
		.amdhsa_group_segment_fixed_size 0
		.amdhsa_private_segment_fixed_size 0
		.amdhsa_kernarg_size 3600
		.amdhsa_user_sgpr_count 6
		.amdhsa_user_sgpr_private_segment_buffer 1
		.amdhsa_user_sgpr_dispatch_ptr 0
		.amdhsa_user_sgpr_queue_ptr 0
		.amdhsa_user_sgpr_kernarg_segment_ptr 1
		.amdhsa_user_sgpr_dispatch_id 0
		.amdhsa_user_sgpr_flat_scratch_init 0
		.amdhsa_user_sgpr_kernarg_preload_length 0
		.amdhsa_user_sgpr_kernarg_preload_offset 0
		.amdhsa_user_sgpr_private_segment_size 0
		.amdhsa_uses_dynamic_stack 0
		.amdhsa_system_sgpr_private_segment_wavefront_offset 0
		.amdhsa_system_sgpr_workgroup_id_x 1
		.amdhsa_system_sgpr_workgroup_id_y 0
		.amdhsa_system_sgpr_workgroup_id_z 0
		.amdhsa_system_sgpr_workgroup_info 0
		.amdhsa_system_vgpr_workitem_id 0
		.amdhsa_next_free_vgpr 49
		.amdhsa_next_free_sgpr 57
		.amdhsa_accum_offset 52
		.amdhsa_reserve_vcc 1
		.amdhsa_reserve_flat_scratch 0
		.amdhsa_float_round_mode_32 0
		.amdhsa_float_round_mode_16_64 0
		.amdhsa_float_denorm_mode_32 3
		.amdhsa_float_denorm_mode_16_64 3
		.amdhsa_dx10_clamp 1
		.amdhsa_ieee_mode 1
		.amdhsa_fp16_overflow 0
		.amdhsa_tg_split 0
		.amdhsa_exception_fp_ieee_invalid_op 0
		.amdhsa_exception_fp_denorm_src 0
		.amdhsa_exception_fp_ieee_div_zero 0
		.amdhsa_exception_fp_ieee_overflow 0
		.amdhsa_exception_fp_ieee_underflow 0
		.amdhsa_exception_fp_ieee_inexact 0
		.amdhsa_exception_int_div_zero 0
	.end_amdhsa_kernel
	.section	.text._ZN2at6native12_GLOBAL__N_16kernel17lstm_cell_forwardIfflLi1EEEvNS_4cuda6detail10TensorInfoIT_T1_EES9_S9_S9_S9_S9_S9_S9_S8_S8_,"axG",@progbits,_ZN2at6native12_GLOBAL__N_16kernel17lstm_cell_forwardIfflLi1EEEvNS_4cuda6detail10TensorInfoIT_T1_EES9_S9_S9_S9_S9_S9_S9_S8_S8_,comdat
.Lfunc_end6:
	.size	_ZN2at6native12_GLOBAL__N_16kernel17lstm_cell_forwardIfflLi1EEEvNS_4cuda6detail10TensorInfoIT_T1_EES9_S9_S9_S9_S9_S9_S9_S8_S8_, .Lfunc_end6-_ZN2at6native12_GLOBAL__N_16kernel17lstm_cell_forwardIfflLi1EEEvNS_4cuda6detail10TensorInfoIT_T1_EES9_S9_S9_S9_S9_S9_S9_S8_S8_
                                        ; -- End function
	.section	.AMDGPU.csdata,"",@progbits
; Kernel info:
; codeLenInByte = 3888
; NumSgprs: 61
; NumVgprs: 49
; NumAgprs: 0
; TotalNumVgprs: 49
; ScratchSize: 0
; MemoryBound: 0
; FloatMode: 240
; IeeeMode: 1
; LDSByteSize: 0 bytes/workgroup (compile time only)
; SGPRBlocks: 7
; VGPRBlocks: 6
; NumSGPRsForWavesPerEU: 61
; NumVGPRsForWavesPerEU: 49
; AccumOffset: 52
; Occupancy: 8
; WaveLimiterHint : 1
; COMPUTE_PGM_RSRC2:SCRATCH_EN: 0
; COMPUTE_PGM_RSRC2:USER_SGPR: 6
; COMPUTE_PGM_RSRC2:TRAP_HANDLER: 0
; COMPUTE_PGM_RSRC2:TGID_X_EN: 1
; COMPUTE_PGM_RSRC2:TGID_Y_EN: 0
; COMPUTE_PGM_RSRC2:TGID_Z_EN: 0
; COMPUTE_PGM_RSRC2:TIDIG_COMP_CNT: 0
; COMPUTE_PGM_RSRC3_GFX90A:ACCUM_OFFSET: 12
; COMPUTE_PGM_RSRC3_GFX90A:TG_SPLIT: 0
	.section	.text._ZN2at6native12_GLOBAL__N_16kernel17lstm_cell_forwardIfflLi2EEEvNS_4cuda6detail10TensorInfoIT_T1_EES9_S9_S9_S9_S9_S9_S9_S8_S8_,"axG",@progbits,_ZN2at6native12_GLOBAL__N_16kernel17lstm_cell_forwardIfflLi2EEEvNS_4cuda6detail10TensorInfoIT_T1_EES9_S9_S9_S9_S9_S9_S9_S8_S8_,comdat
	.globl	_ZN2at6native12_GLOBAL__N_16kernel17lstm_cell_forwardIfflLi2EEEvNS_4cuda6detail10TensorInfoIT_T1_EES9_S9_S9_S9_S9_S9_S9_S8_S8_ ; -- Begin function _ZN2at6native12_GLOBAL__N_16kernel17lstm_cell_forwardIfflLi2EEEvNS_4cuda6detail10TensorInfoIT_T1_EES9_S9_S9_S9_S9_S9_S9_S8_S8_
	.p2align	8
	.type	_ZN2at6native12_GLOBAL__N_16kernel17lstm_cell_forwardIfflLi2EEEvNS_4cuda6detail10TensorInfoIT_T1_EES9_S9_S9_S9_S9_S9_S9_S8_S8_,@function
_ZN2at6native12_GLOBAL__N_16kernel17lstm_cell_forwardIfflLi2EEEvNS_4cuda6detail10TensorInfoIT_T1_EES9_S9_S9_S9_S9_S9_S9_S8_S8_: ; @_ZN2at6native12_GLOBAL__N_16kernel17lstm_cell_forwardIfflLi2EEEvNS_4cuda6detail10TensorInfoIT_T1_EES9_S9_S9_S9_S9_S9_S9_S8_S8_
; %bb.0:
	s_load_dword s2, s[4:5], 0xd1c
	s_load_dwordx4 s[8:11], s[4:5], 0xd00
	s_add_u32 s0, s4, 0xd10
	s_addc_u32 s1, s5, 0
	v_mov_b32_e32 v2, 0
	s_waitcnt lgkmcnt(0)
	s_and_b32 s7, s2, 0xffff
	s_mul_i32 s6, s6, s7
	v_add_u32_e32 v0, s6, v0
	v_mov_b32_e32 v1, v2
	v_cmp_gt_i64_e32 vcc, s[10:11], v[0:1]
	s_and_saveexec_b64 s[2:3], vcc
	s_cbranch_execz .LBB7_77
; %bb.1:
	v_cvt_f32_u32_e32 v3, s8
	s_load_dwordx2 s[2:3], s[4:5], 0x0
	s_load_dwordx2 s[34:35], s[4:5], 0x10
	s_load_dwordx4 s[12:15], s[4:5], 0xd0
	s_load_dwordx2 s[36:37], s[4:5], 0x1a0
	s_load_dwordx2 s[38:39], s[4:5], 0x340
	;; [unrolled: 1-line block ×7, first 2 shown]
	s_load_dwordx4 s[16:19], s[4:5], 0x750
	s_load_dwordx2 s[50:51], s[4:5], 0x820
	s_load_dwordx2 s[52:53], s[4:5], 0x830
	s_load_dwordx4 s[20:23], s[4:5], 0x8f0
	s_load_dwordx2 s[54:55], s[4:5], 0x9c0
	s_load_dwordx2 s[56:57], s[4:5], 0x9d0
	s_nop 0
	s_load_dword s0, s[0:1], 0x0
	s_nop 0
	s_load_dwordx4 s[24:27], s[4:5], 0xa90
	s_load_dwordx2 s[58:59], s[4:5], 0xb60
	s_load_dwordx2 s[60:61], s[4:5], 0xb70
	s_waitcnt lgkmcnt(0)
	s_cmp_lg_u64 s[38:39], 0
	s_mul_i32 s33, s0, s7
	s_mul_i32 s0, s9, 3
	s_mul_hi_u32 s1, s8, 3
	s_cselect_b64 s[62:63], -1, 0
	s_add_i32 s75, s1, s0
	v_rcp_iflag_f32_e32 v3, v3
	s_sub_u32 s77, 0, s8
	s_subb_u32 s78, 0, s9
	s_sub_u32 s79, 0, s48
	s_load_dwordx2 s[64:65], s[4:5], 0x1b0
	s_load_dwordx4 s[28:31], s[4:5], 0x270
	s_nop 0
	s_load_dwordx4 s[4:7], s[4:5], 0xc30
	s_subb_u32 s80, 0, s49
	v_mul_f32_e32 v3, 0x4f7ffffe, v3
	s_sub_u32 s81, 0, s52
	v_cvt_u32_f32_e32 v39, v3
	s_subb_u32 s82, 0, s53
	s_sub_u32 s83, 0, s56
	s_mov_b32 s74, 0
	s_mul_i32 s76, s8, 3
	s_subb_u32 s84, 0, s57
	s_mov_b32 s85, 0x3f200000
	s_mov_b32 s86, 0x3fb8aa3b
	;; [unrolled: 1-line block ×4, first 2 shown]
	v_mov_b32_e32 v36, 0xbd5c1c4e
	v_mov_b32_e32 v37, 0x3e088382
	;; [unrolled: 1-line block ×3, first 2 shown]
	s_mov_b32 s89, 0xbfb8aa3b
	s_mov_b32 s90, 0x42ce8ed0
	;; [unrolled: 1-line block ×3, first 2 shown]
	s_brev_b32 s92, -2
	v_mov_b32_e32 v40, 0x7f800000
	s_mov_b64 s[66:67], 0
	s_branch .LBB7_3
.LBB7_2:                                ;   in Loop: Header=BB7_3 Depth=1
	s_or_b64 exec, exec, s[0:1]
	v_add_f32_e32 v16, v42, v44
	v_add_f32_e32 v3, v16, v3
	;; [unrolled: 1-line block ×3, first 2 shown]
	v_mul_f32_e32 v16, 0xbfb8aa3b, v3
	v_fma_f32 v17, v3, s89, -v16
	v_rndne_f32_e32 v24, v16
	v_fmac_f32_e32 v17, 0xb2a5705f, v3
	v_sub_f32_e32 v16, v16, v24
	v_add_f32_e32 v16, v16, v17
	v_cvt_i32_f32_e32 v17, v24
	v_exp_f32_e32 v16, v16
	v_cmp_nlt_f32_e32 vcc, s90, v3
	v_bfi_b32 v11, s92, v11, v10
	v_ldexp_f32 v16, v16, v17
	v_cndmask_b32_e32 v16, 0, v16, vcc
	v_cmp_ngt_f32_e32 vcc, s91, v3
	v_cndmask_b32_e32 v3, v40, v16, vcc
	v_add_f32_e32 v3, 1.0, v3
	v_div_scale_f32 v16, s[0:1], v3, v3, 1.0
	v_rcp_f32_e32 v17, v16
	v_fma_f32 v24, -v16, v17, 1.0
	v_fmac_f32_e32 v17, v24, v17
	v_div_scale_f32 v24, vcc, 1.0, v3, 1.0
	v_mul_f32_e32 v32, v24, v17
	v_fma_f32 v33, -v16, v32, v24
	v_fmac_f32_e32 v32, v33, v17
	v_fma_f32 v16, -v16, v32, v24
	v_div_fmas_f32 v16, v16, v17, v32
	v_div_fixup_f32 v3, v16, v3, 1.0
	v_mad_u64_u32 v[16:17], s[0:1], s83, v30, v[0:1]
	v_mul_lo_u32 v24, s83, v31
	v_mul_lo_u32 v32, s84, v30
	v_add3_u32 v17, v32, v17, v24
	v_mul_lo_u32 v24, v16, s27
	v_mul_lo_u32 v32, v17, s26
	v_mad_u64_u32 v[16:17], s[0:1], v16, s26, 0
	v_add3_u32 v17, v17, v24, v32
	v_mul_lo_u32 v24, v31, s24
	v_mul_lo_u32 v32, v30, s25
	v_mad_u64_u32 v[30:31], s[0:1], v30, s24, 0
	v_add3_u32 v31, v31, v32, v24
	v_lshlrev_b64 v[30:31], 2, v[30:31]
	v_mov_b32_e32 v24, s55
	v_add_co_u32_e32 v30, vcc, s54, v30
	v_addc_co_u32_e32 v24, vcc, v24, v31, vcc
	v_lshlrev_b64 v[16:17], 2, v[16:17]
	v_add_co_u32_e32 v16, vcc, v30, v16
	v_addc_co_u32_e32 v17, vcc, v24, v17, vcc
	v_mad_u64_u32 v[30:31], s[0:1], s81, v28, v[0:1]
	v_mul_lo_u32 v24, s81, v29
	v_mul_lo_u32 v32, s82, v28
	v_add3_u32 v24, v32, v31, v24
	v_mul_lo_u32 v32, v30, s23
	v_mul_lo_u32 v24, v24, s22
	v_mad_u64_u32 v[30:31], s[0:1], v30, s22, 0
	v_add3_u32 v31, v31, v32, v24
	v_mul_lo_u32 v24, v29, s20
	v_mul_lo_u32 v32, v28, s21
	v_mad_u64_u32 v[28:29], s[0:1], v28, s20, 0
	v_add3_u32 v29, v29, v32, v24
	v_lshlrev_b64 v[28:29], 2, v[28:29]
	v_mov_b32_e32 v24, s51
	v_add_co_u32_e32 v32, vcc, s50, v28
	v_addc_co_u32_e32 v24, vcc, v24, v29, vcc
	v_lshlrev_b64 v[28:29], 2, v[30:31]
	v_add_co_u32_e32 v28, vcc, v32, v28
	v_addc_co_u32_e32 v29, vcc, v24, v29, vcc
	v_mul_lo_u32 v24, v23, s60
	v_mul_lo_u32 v32, v22, s61
	v_mad_u64_u32 v[30:31], s[0:1], v22, s60, 0
	v_add3_u32 v24, v31, v32, v24
	v_sub_co_u32_e32 v14, vcc, v14, v30
	v_subb_co_u32_e32 v15, vcc, v15, v24, vcc
	v_add_co_u32_e32 v14, vcc, v0, v14
	v_addc_co_u32_e32 v15, vcc, v1, v15, vcc
	v_mul_lo_u32 v24, v15, s6
	v_mul_lo_u32 v30, v14, s7
	v_mad_u64_u32 v[14:15], s[0:1], v14, s6, 0
	v_add3_u32 v15, v15, v30, v24
	v_mul_lo_u32 v24, v23, s4
	v_mul_lo_u32 v30, v22, s5
	v_mad_u64_u32 v[22:23], s[0:1], v22, s4, 0
	v_add3_u32 v23, v23, v30, v24
	v_lshlrev_b64 v[22:23], 2, v[22:23]
	v_mov_b32_e32 v24, s59
	v_add_co_u32_e32 v22, vcc, s58, v22
	v_addc_co_u32_e32 v23, vcc, v24, v23, vcc
	v_lshlrev_b64 v[14:15], 2, v[14:15]
	v_add_co_u32_e32 v14, vcc, v22, v14
	v_addc_co_u32_e32 v15, vcc, v23, v15, vcc
	v_mul_lo_u32 v30, v21, s60
	v_mul_lo_u32 v31, v20, s61
	v_mad_u64_u32 v[22:23], s[0:1], v20, s60, 0
	v_add3_u32 v23, v23, v31, v30
	v_sub_co_u32_e32 v12, vcc, v12, v22
	v_subb_co_u32_e32 v13, vcc, v13, v23, vcc
	v_add_co_u32_e32 v12, vcc, v0, v12
	v_addc_co_u32_e32 v13, vcc, v1, v13, vcc
	v_mul_lo_u32 v22, v13, s6
	v_mul_lo_u32 v23, v12, s7
	v_mad_u64_u32 v[12:13], s[0:1], v12, s6, 0
	v_add3_u32 v13, v13, v23, v22
	v_mul_lo_u32 v22, v21, s4
	v_mul_lo_u32 v23, v20, s5
	v_mad_u64_u32 v[20:21], s[0:1], v20, s4, 0
	v_add3_u32 v21, v21, v23, v22
	v_lshlrev_b64 v[20:21], 2, v[20:21]
	v_add_co_u32_e32 v20, vcc, s58, v20
	v_addc_co_u32_e32 v21, vcc, v24, v21, vcc
	v_lshlrev_b64 v[12:13], 2, v[12:13]
	v_add_co_u32_e32 v12, vcc, v20, v12
	v_addc_co_u32_e32 v13, vcc, v21, v13, vcc
	v_mul_lo_u32 v22, v19, s60
	v_mul_lo_u32 v23, v18, s61
	v_mad_u64_u32 v[20:21], s[0:1], v18, s60, 0
	v_add3_u32 v21, v21, v23, v22
	v_sub_co_u32_e32 v8, vcc, v8, v20
	v_subb_co_u32_e32 v9, vcc, v9, v21, vcc
	v_add_co_u32_e32 v8, vcc, v0, v8
	v_addc_co_u32_e32 v9, vcc, v1, v9, vcc
	v_mul_lo_u32 v20, v9, s6
	v_mul_lo_u32 v21, v8, s7
	v_mad_u64_u32 v[8:9], s[0:1], v8, s6, 0
	v_add3_u32 v9, v9, v21, v20
	v_mul_lo_u32 v20, v19, s4
	v_mul_lo_u32 v21, v18, s5
	v_mad_u64_u32 v[18:19], s[0:1], v18, s4, 0
	v_add3_u32 v19, v19, v21, v20
	v_lshlrev_b64 v[18:19], 2, v[18:19]
	;; [unrolled: 22-line block ×3, first 2 shown]
	v_add_co_u32_e32 v18, vcc, s58, v18
	v_addc_co_u32_e32 v19, vcc, v24, v19, vcc
	v_lshlrev_b64 v[4:5], 2, v[4:5]
	v_add_co_u32_e32 v4, vcc, v18, v4
	v_addc_co_u32_e32 v5, vcc, v19, v5, vcc
	v_mul_f32_e32 v11, v3, v11
	global_store_dword v[28:29], v11, off
	global_store_dword v[16:17], v10, off
	;; [unrolled: 1-line block ×5, first 2 shown]
	v_mov_b32_e32 v4, s74
	v_add_co_u32_e32 v0, vcc, s33, v0
	v_addc_co_u32_e32 v1, vcc, v1, v4, vcc
	v_cmp_le_i64_e32 vcc, s[10:11], v[0:1]
	s_or_b64 s[66:67], vcc, s[66:67]
	global_store_dword v[14:15], v3, off
	s_andn2_b64 exec, exec, s[66:67]
	s_cbranch_execz .LBB7_77
.LBB7_3:                                ; =>This Inner Loop Header: Depth=1
	v_or_b32_e32 v3, s9, v1
	v_cmp_ne_u64_e32 vcc, 0, v[2:3]
	v_ashrrev_i32_e32 v32, 31, v1
                                        ; implicit-def: $vgpr6_vgpr7
	s_and_saveexec_b64 s[0:1], vcc
	s_xor_b64 s[68:69], exec, s[0:1]
	s_cbranch_execz .LBB7_5
; %bb.4:                                ;   in Loop: Header=BB7_3 Depth=1
	s_ashr_i32 s70, s9, 31
	s_add_u32 s0, s8, s70
	s_mov_b32 s71, s70
	s_addc_u32 s1, s9, s70
	s_xor_b64 s[72:73], s[0:1], s[70:71]
	v_cvt_f32_u32_e32 v3, s72
	v_cvt_f32_u32_e32 v4, s73
	s_sub_u32 s0, 0, s72
	s_subb_u32 s1, 0, s73
	v_mac_f32_e32 v3, 0x4f800000, v4
	v_rcp_f32_e32 v3, v3
	v_mul_f32_e32 v3, 0x5f7ffffc, v3
	v_mul_f32_e32 v4, 0x2f800000, v3
	v_trunc_f32_e32 v4, v4
	v_mac_f32_e32 v3, 0xcf800000, v4
	v_cvt_u32_f32_e32 v4, v4
	v_cvt_u32_f32_e32 v3, v3
	v_mul_lo_u32 v5, s0, v4
	v_mul_hi_u32 v7, s0, v3
	v_mul_lo_u32 v6, s1, v3
	v_add_u32_e32 v5, v7, v5
	v_mul_lo_u32 v8, s0, v3
	v_add_u32_e32 v5, v5, v6
	v_mul_lo_u32 v7, v3, v5
	v_mul_hi_u32 v9, v3, v8
	v_mul_hi_u32 v6, v3, v5
	v_add_co_u32_e32 v7, vcc, v9, v7
	v_addc_co_u32_e32 v6, vcc, 0, v6, vcc
	v_mul_hi_u32 v10, v4, v8
	v_mul_lo_u32 v8, v4, v8
	v_add_co_u32_e32 v7, vcc, v7, v8
	v_mul_hi_u32 v9, v4, v5
	v_addc_co_u32_e32 v6, vcc, v6, v10, vcc
	v_addc_co_u32_e32 v7, vcc, 0, v9, vcc
	v_mul_lo_u32 v5, v4, v5
	v_add_co_u32_e32 v5, vcc, v6, v5
	v_addc_co_u32_e32 v6, vcc, 0, v7, vcc
	v_add_co_u32_e32 v3, vcc, v3, v5
	v_addc_co_u32_e32 v4, vcc, v4, v6, vcc
	v_mul_lo_u32 v5, s0, v4
	v_mul_hi_u32 v6, s0, v3
	v_add_u32_e32 v5, v6, v5
	v_mul_lo_u32 v6, s1, v3
	v_add_u32_e32 v5, v5, v6
	v_mul_lo_u32 v7, s0, v3
	v_mul_hi_u32 v8, v4, v7
	v_mul_lo_u32 v9, v4, v7
	v_mul_lo_u32 v11, v3, v5
	v_mul_hi_u32 v7, v3, v7
	v_mul_hi_u32 v10, v3, v5
	v_add_co_u32_e32 v7, vcc, v7, v11
	v_addc_co_u32_e32 v10, vcc, 0, v10, vcc
	v_add_co_u32_e32 v7, vcc, v7, v9
	v_mul_hi_u32 v6, v4, v5
	v_addc_co_u32_e32 v7, vcc, v10, v8, vcc
	v_addc_co_u32_e32 v6, vcc, 0, v6, vcc
	v_mul_lo_u32 v5, v4, v5
	v_add_co_u32_e32 v5, vcc, v7, v5
	v_addc_co_u32_e32 v6, vcc, 0, v6, vcc
	v_add_co_u32_e32 v3, vcc, v3, v5
	v_addc_co_u32_e32 v6, vcc, v4, v6, vcc
	;; [unrolled: 2-line block ×3, first 2 shown]
	v_xor_b32_e32 v9, v4, v32
	v_xor_b32_e32 v8, v5, v32
	v_mad_u64_u32 v[4:5], s[0:1], v9, v6, 0
	v_mul_hi_u32 v7, v9, v3
	v_add_co_u32_e32 v10, vcc, v7, v4
	v_addc_co_u32_e32 v11, vcc, 0, v5, vcc
	v_mad_u64_u32 v[4:5], s[0:1], v8, v6, 0
	v_mad_u64_u32 v[6:7], s[0:1], v8, v3, 0
	v_add_co_u32_e32 v3, vcc, v10, v6
	v_addc_co_u32_e32 v3, vcc, v11, v7, vcc
	v_addc_co_u32_e32 v5, vcc, 0, v5, vcc
	v_add_co_u32_e32 v3, vcc, v3, v4
	v_addc_co_u32_e32 v6, vcc, 0, v5, vcc
	v_mul_lo_u32 v7, s73, v3
	v_mul_lo_u32 v10, s72, v6
	v_mad_u64_u32 v[4:5], s[0:1], s72, v3, 0
	v_add3_u32 v5, v5, v10, v7
	v_sub_u32_e32 v7, v8, v5
	v_mov_b32_e32 v10, s73
	v_sub_co_u32_e32 v4, vcc, v9, v4
	v_subb_co_u32_e64 v7, s[0:1], v7, v10, vcc
	v_subrev_co_u32_e64 v9, s[0:1], s72, v4
	v_subbrev_co_u32_e64 v7, s[0:1], 0, v7, s[0:1]
	v_cmp_le_u32_e64 s[0:1], s73, v7
	v_cndmask_b32_e64 v10, 0, -1, s[0:1]
	v_cmp_le_u32_e64 s[0:1], s72, v9
	v_cndmask_b32_e64 v9, 0, -1, s[0:1]
	v_cmp_eq_u32_e64 s[0:1], s73, v7
	v_cndmask_b32_e64 v7, v10, v9, s[0:1]
	v_add_co_u32_e64 v9, s[0:1], 2, v3
	v_subb_co_u32_e32 v5, vcc, v8, v5, vcc
	v_addc_co_u32_e64 v10, s[0:1], 0, v6, s[0:1]
	v_cmp_le_u32_e32 vcc, s73, v5
	v_add_co_u32_e64 v11, s[0:1], 1, v3
	v_cndmask_b32_e64 v8, 0, -1, vcc
	v_cmp_le_u32_e32 vcc, s72, v4
	v_addc_co_u32_e64 v12, s[0:1], 0, v6, s[0:1]
	v_cndmask_b32_e64 v4, 0, -1, vcc
	v_cmp_eq_u32_e32 vcc, s73, v5
	v_cmp_ne_u32_e64 s[0:1], 0, v7
	v_cndmask_b32_e32 v4, v8, v4, vcc
	v_cmp_ne_u32_e32 vcc, 0, v4
	v_cndmask_b32_e64 v5, v11, v9, s[0:1]
	v_cndmask_b32_e64 v7, v12, v10, s[0:1]
	v_cndmask_b32_e32 v3, v3, v5, vcc
	v_xor_b32_e32 v5, s70, v32
	v_cndmask_b32_e32 v4, v6, v7, vcc
	v_xor_b32_e32 v3, v3, v5
	v_xor_b32_e32 v4, v4, v5
	v_sub_co_u32_e32 v6, vcc, v3, v5
	v_subb_co_u32_e32 v7, vcc, v4, v5, vcc
.LBB7_5:                                ;   in Loop: Header=BB7_3 Depth=1
	s_andn2_saveexec_b64 s[0:1], s[68:69]
	s_cbranch_execz .LBB7_7
; %bb.6:                                ;   in Loop: Header=BB7_3 Depth=1
	s_sub_i32 s68, 0, s8
	v_mul_lo_u32 v3, s68, v39
	v_mul_hi_u32 v3, v39, v3
	v_add_u32_e32 v3, v39, v3
	v_mul_hi_u32 v3, v0, v3
	v_mul_lo_u32 v4, v3, s8
	v_sub_u32_e32 v4, v0, v4
	v_subrev_u32_e32 v5, s8, v4
	v_cmp_le_u32_e32 vcc, s8, v4
	v_cndmask_b32_e32 v4, v4, v5, vcc
	v_add_u32_e32 v5, 1, v3
	v_cndmask_b32_e32 v3, v3, v5, vcc
	v_add_u32_e32 v5, 1, v3
	v_cmp_le_u32_e32 vcc, s8, v4
	v_cndmask_b32_e32 v6, v3, v5, vcc
	v_mov_b32_e32 v7, v2
.LBB7_7:                                ;   in Loop: Header=BB7_3 Depth=1
	s_or_b64 exec, exec, s[0:1]
	v_mul_lo_u32 v10, s75, v6
	v_mul_lo_u32 v11, s76, v7
	v_mad_u64_u32 v[18:19], s[0:1], s76, v6, v[0:1]
	v_add3_u32 v19, v10, v19, v11
	v_or_b32_e32 v3, s35, v19
	v_cmp_ne_u64_e32 vcc, 0, v[2:3]
	v_ashrrev_i32_e32 v28, 31, v19
                                        ; implicit-def: $vgpr8_vgpr9
	s_and_saveexec_b64 s[0:1], vcc
	s_xor_b64 s[68:69], exec, s[0:1]
	s_cbranch_execz .LBB7_9
; %bb.8:                                ;   in Loop: Header=BB7_3 Depth=1
	s_ashr_i32 s70, s35, 31
	s_add_u32 s0, s34, s70
	s_mov_b32 s71, s70
	s_addc_u32 s1, s35, s70
	s_xor_b64 s[72:73], s[0:1], s[70:71]
	v_cvt_f32_u32_e32 v3, s72
	v_cvt_f32_u32_e32 v4, s73
	s_sub_u32 s0, 0, s72
	s_subb_u32 s1, 0, s73
	v_mac_f32_e32 v3, 0x4f800000, v4
	v_rcp_f32_e32 v3, v3
	v_mul_f32_e32 v3, 0x5f7ffffc, v3
	v_mul_f32_e32 v4, 0x2f800000, v3
	v_trunc_f32_e32 v4, v4
	v_mac_f32_e32 v3, 0xcf800000, v4
	v_cvt_u32_f32_e32 v4, v4
	v_cvt_u32_f32_e32 v3, v3
	v_mul_lo_u32 v5, s0, v4
	v_mul_hi_u32 v9, s0, v3
	v_mul_lo_u32 v8, s1, v3
	v_add_u32_e32 v5, v9, v5
	v_mul_lo_u32 v12, s0, v3
	v_add_u32_e32 v5, v5, v8
	v_mul_lo_u32 v9, v3, v5
	v_mul_hi_u32 v13, v3, v12
	v_mul_hi_u32 v8, v3, v5
	v_add_co_u32_e32 v9, vcc, v13, v9
	v_addc_co_u32_e32 v8, vcc, 0, v8, vcc
	v_mul_hi_u32 v14, v4, v12
	v_mul_lo_u32 v12, v4, v12
	v_add_co_u32_e32 v9, vcc, v9, v12
	v_mul_hi_u32 v13, v4, v5
	v_addc_co_u32_e32 v8, vcc, v8, v14, vcc
	v_addc_co_u32_e32 v9, vcc, 0, v13, vcc
	v_mul_lo_u32 v5, v4, v5
	v_add_co_u32_e32 v5, vcc, v8, v5
	v_addc_co_u32_e32 v8, vcc, 0, v9, vcc
	v_add_co_u32_e32 v3, vcc, v3, v5
	v_addc_co_u32_e32 v4, vcc, v4, v8, vcc
	v_mul_lo_u32 v5, s0, v4
	v_mul_hi_u32 v8, s0, v3
	v_add_u32_e32 v5, v8, v5
	v_mul_lo_u32 v8, s1, v3
	v_add_u32_e32 v5, v5, v8
	v_mul_lo_u32 v9, s0, v3
	v_mul_hi_u32 v12, v4, v9
	v_mul_lo_u32 v13, v4, v9
	v_mul_lo_u32 v15, v3, v5
	v_mul_hi_u32 v9, v3, v9
	v_mul_hi_u32 v14, v3, v5
	v_add_co_u32_e32 v9, vcc, v9, v15
	v_addc_co_u32_e32 v14, vcc, 0, v14, vcc
	v_add_co_u32_e32 v9, vcc, v9, v13
	v_mul_hi_u32 v8, v4, v5
	v_addc_co_u32_e32 v9, vcc, v14, v12, vcc
	v_addc_co_u32_e32 v8, vcc, 0, v8, vcc
	v_mul_lo_u32 v5, v4, v5
	v_add_co_u32_e32 v5, vcc, v9, v5
	v_addc_co_u32_e32 v8, vcc, 0, v8, vcc
	v_add_co_u32_e32 v3, vcc, v3, v5
	v_addc_co_u32_e32 v8, vcc, v4, v8, vcc
	;; [unrolled: 2-line block ×3, first 2 shown]
	v_xor_b32_e32 v13, v4, v28
	v_xor_b32_e32 v12, v5, v28
	v_mad_u64_u32 v[4:5], s[0:1], v13, v8, 0
	v_mul_hi_u32 v9, v13, v3
	v_add_co_u32_e32 v14, vcc, v9, v4
	v_addc_co_u32_e32 v15, vcc, 0, v5, vcc
	v_mad_u64_u32 v[4:5], s[0:1], v12, v8, 0
	v_mad_u64_u32 v[8:9], s[0:1], v12, v3, 0
	v_add_co_u32_e32 v3, vcc, v14, v8
	v_addc_co_u32_e32 v3, vcc, v15, v9, vcc
	v_addc_co_u32_e32 v5, vcc, 0, v5, vcc
	v_add_co_u32_e32 v3, vcc, v3, v4
	v_addc_co_u32_e32 v8, vcc, 0, v5, vcc
	v_mul_lo_u32 v9, s73, v3
	v_mul_lo_u32 v14, s72, v8
	v_mad_u64_u32 v[4:5], s[0:1], s72, v3, 0
	v_add3_u32 v5, v5, v14, v9
	v_sub_u32_e32 v9, v12, v5
	v_mov_b32_e32 v14, s73
	v_sub_co_u32_e32 v4, vcc, v13, v4
	v_subb_co_u32_e64 v9, s[0:1], v9, v14, vcc
	v_subrev_co_u32_e64 v13, s[0:1], s72, v4
	v_subbrev_co_u32_e64 v9, s[0:1], 0, v9, s[0:1]
	v_cmp_le_u32_e64 s[0:1], s73, v9
	v_cndmask_b32_e64 v14, 0, -1, s[0:1]
	v_cmp_le_u32_e64 s[0:1], s72, v13
	v_cndmask_b32_e64 v13, 0, -1, s[0:1]
	v_cmp_eq_u32_e64 s[0:1], s73, v9
	v_cndmask_b32_e64 v9, v14, v13, s[0:1]
	v_add_co_u32_e64 v13, s[0:1], 2, v3
	v_subb_co_u32_e32 v5, vcc, v12, v5, vcc
	v_addc_co_u32_e64 v14, s[0:1], 0, v8, s[0:1]
	v_cmp_le_u32_e32 vcc, s73, v5
	v_add_co_u32_e64 v15, s[0:1], 1, v3
	v_cndmask_b32_e64 v12, 0, -1, vcc
	v_cmp_le_u32_e32 vcc, s72, v4
	v_addc_co_u32_e64 v16, s[0:1], 0, v8, s[0:1]
	v_cndmask_b32_e64 v4, 0, -1, vcc
	v_cmp_eq_u32_e32 vcc, s73, v5
	v_cmp_ne_u32_e64 s[0:1], 0, v9
	v_cndmask_b32_e32 v4, v12, v4, vcc
	v_cmp_ne_u32_e32 vcc, 0, v4
	v_cndmask_b32_e64 v5, v15, v13, s[0:1]
	v_cndmask_b32_e64 v9, v16, v14, s[0:1]
	v_cndmask_b32_e32 v3, v3, v5, vcc
	v_xor_b32_e32 v5, s70, v28
	v_cndmask_b32_e32 v4, v8, v9, vcc
	v_xor_b32_e32 v3, v3, v5
	v_xor_b32_e32 v4, v4, v5
	v_sub_co_u32_e32 v8, vcc, v3, v5
	v_subb_co_u32_e32 v9, vcc, v4, v5, vcc
.LBB7_9:                                ;   in Loop: Header=BB7_3 Depth=1
	s_or_saveexec_b64 s[0:1], s[68:69]
	v_cvt_f32_u32_e32 v26, s34
	s_xor_b64 exec, exec, s[0:1]
	s_cbranch_execz .LBB7_11
; %bb.10:                               ;   in Loop: Header=BB7_3 Depth=1
	v_rcp_iflag_f32_e32 v3, v26
	s_sub_i32 s68, 0, s34
	v_mov_b32_e32 v9, v2
	v_mul_f32_e32 v3, 0x4f7ffffe, v3
	v_cvt_u32_f32_e32 v3, v3
	v_mul_lo_u32 v4, s68, v3
	v_mul_hi_u32 v4, v3, v4
	v_add_u32_e32 v3, v3, v4
	v_mul_hi_u32 v3, v18, v3
	v_mul_lo_u32 v4, v3, s34
	v_sub_u32_e32 v4, v18, v4
	v_add_u32_e32 v5, 1, v3
	v_subrev_u32_e32 v8, s34, v4
	v_cmp_le_u32_e32 vcc, s34, v4
	v_cndmask_b32_e32 v4, v4, v8, vcc
	v_cndmask_b32_e32 v3, v3, v5, vcc
	v_add_u32_e32 v5, 1, v3
	v_cmp_le_u32_e32 vcc, s34, v4
	v_cndmask_b32_e32 v8, v3, v5, vcc
.LBB7_11:                               ;   in Loop: Header=BB7_3 Depth=1
	s_or_b64 exec, exec, s[0:1]
	v_mad_u64_u32 v[4:5], s[0:1], s76, v6, 0
	v_add3_u32 v5, v5, v11, v10
	v_mul_lo_u32 v3, v9, s34
	v_mul_lo_u32 v12, v8, s35
	v_mad_u64_u32 v[10:11], s[0:1], v8, s34, 0
	v_add3_u32 v3, v11, v12, v3
	v_sub_co_u32_e32 v10, vcc, v4, v10
	v_subb_co_u32_e32 v3, vcc, v5, v3, vcc
	v_add_co_u32_e32 v10, vcc, v0, v10
	v_addc_co_u32_e32 v3, vcc, v1, v3, vcc
	v_mul_lo_u32 v3, v3, s14
	v_mul_lo_u32 v12, v10, s15
	v_mad_u64_u32 v[10:11], s[0:1], v10, s14, 0
	v_add3_u32 v11, v11, v12, v3
	v_mul_lo_u32 v3, v9, s12
	v_mul_lo_u32 v12, v8, s13
	v_mad_u64_u32 v[8:9], s[0:1], v8, s12, 0
	v_add3_u32 v9, v9, v12, v3
	v_lshlrev_b64 v[8:9], 2, v[8:9]
	v_mov_b32_e32 v3, s3
	v_add_co_u32_e32 v12, vcc, s2, v8
	v_addc_co_u32_e32 v3, vcc, v3, v9, vcc
	v_lshlrev_b64 v[8:9], 2, v[10:11]
	v_add_co_u32_e32 v8, vcc, v12, v8
	v_addc_co_u32_e32 v9, vcc, v3, v9, vcc
	global_load_dword v11, v[8:9], off
	v_lshl_add_u32 v16, v7, 1, v7
	v_mad_u64_u32 v[8:9], s[0:1], v6, 3, 1
	v_add_u32_e32 v3, v16, v9
	v_mul_lo_u32 v10, s9, v8
	v_mul_lo_u32 v14, s8, v3
	v_mad_u64_u32 v[20:21], s[0:1], s8, v8, v[0:1]
	v_add3_u32 v21, v10, v21, v14
	v_or_b32_e32 v3, s35, v21
	v_cmp_ne_u64_e32 vcc, 0, v[2:3]
	v_ashrrev_i32_e32 v29, 31, v21
                                        ; implicit-def: $vgpr12_vgpr13
	s_and_saveexec_b64 s[0:1], vcc
	s_xor_b64 s[68:69], exec, s[0:1]
	s_cbranch_execz .LBB7_13
; %bb.12:                               ;   in Loop: Header=BB7_3 Depth=1
	s_ashr_i32 s70, s35, 31
	s_add_u32 s0, s34, s70
	s_mov_b32 s71, s70
	s_addc_u32 s1, s35, s70
	s_xor_b64 s[72:73], s[0:1], s[70:71]
	v_cvt_f32_u32_e32 v3, s72
	v_cvt_f32_u32_e32 v9, s73
	s_sub_u32 s0, 0, s72
	s_subb_u32 s1, 0, s73
	v_mac_f32_e32 v3, 0x4f800000, v9
	v_rcp_f32_e32 v3, v3
	v_mul_f32_e32 v3, 0x5f7ffffc, v3
	v_mul_f32_e32 v9, 0x2f800000, v3
	v_trunc_f32_e32 v9, v9
	v_mac_f32_e32 v3, 0xcf800000, v9
	v_cvt_u32_f32_e32 v9, v9
	v_cvt_u32_f32_e32 v3, v3
	v_mul_lo_u32 v12, s0, v9
	v_mul_hi_u32 v15, s0, v3
	v_mul_lo_u32 v13, s1, v3
	v_add_u32_e32 v12, v15, v12
	v_mul_lo_u32 v17, s0, v3
	v_add_u32_e32 v12, v12, v13
	v_mul_lo_u32 v15, v3, v12
	v_mul_hi_u32 v22, v3, v17
	v_mul_hi_u32 v13, v3, v12
	v_add_co_u32_e32 v15, vcc, v22, v15
	v_addc_co_u32_e32 v13, vcc, 0, v13, vcc
	v_mul_hi_u32 v23, v9, v17
	v_mul_lo_u32 v17, v9, v17
	v_add_co_u32_e32 v15, vcc, v15, v17
	v_mul_hi_u32 v22, v9, v12
	v_addc_co_u32_e32 v13, vcc, v13, v23, vcc
	v_addc_co_u32_e32 v15, vcc, 0, v22, vcc
	v_mul_lo_u32 v12, v9, v12
	v_add_co_u32_e32 v12, vcc, v13, v12
	v_addc_co_u32_e32 v13, vcc, 0, v15, vcc
	v_add_co_u32_e32 v3, vcc, v3, v12
	v_addc_co_u32_e32 v9, vcc, v9, v13, vcc
	v_mul_lo_u32 v12, s0, v9
	v_mul_hi_u32 v13, s0, v3
	v_add_u32_e32 v12, v13, v12
	v_mul_lo_u32 v13, s1, v3
	v_add_u32_e32 v12, v12, v13
	v_mul_lo_u32 v15, s0, v3
	v_mul_hi_u32 v17, v9, v15
	v_mul_lo_u32 v22, v9, v15
	v_mul_lo_u32 v24, v3, v12
	v_mul_hi_u32 v15, v3, v15
	v_mul_hi_u32 v23, v3, v12
	v_add_co_u32_e32 v15, vcc, v15, v24
	v_addc_co_u32_e32 v23, vcc, 0, v23, vcc
	v_add_co_u32_e32 v15, vcc, v15, v22
	v_mul_hi_u32 v13, v9, v12
	v_addc_co_u32_e32 v15, vcc, v23, v17, vcc
	v_addc_co_u32_e32 v13, vcc, 0, v13, vcc
	v_mul_lo_u32 v12, v9, v12
	v_add_co_u32_e32 v12, vcc, v15, v12
	v_addc_co_u32_e32 v13, vcc, 0, v13, vcc
	v_add_co_u32_e32 v3, vcc, v3, v12
	v_addc_co_u32_e32 v9, vcc, v9, v13, vcc
	;; [unrolled: 2-line block ×3, first 2 shown]
	v_xor_b32_e32 v17, v12, v29
	v_xor_b32_e32 v15, v13, v29
	v_mad_u64_u32 v[12:13], s[0:1], v17, v9, 0
	v_mul_hi_u32 v22, v17, v3
	v_add_co_u32_e32 v24, vcc, v22, v12
	v_addc_co_u32_e32 v25, vcc, 0, v13, vcc
	v_mad_u64_u32 v[22:23], s[0:1], v15, v3, 0
	v_add_co_u32_e32 v3, vcc, v24, v22
	v_mad_u64_u32 v[12:13], s[0:1], v15, v9, 0
	v_addc_co_u32_e32 v3, vcc, v25, v23, vcc
	v_addc_co_u32_e32 v9, vcc, 0, v13, vcc
	v_add_co_u32_e32 v3, vcc, v3, v12
	v_addc_co_u32_e32 v9, vcc, 0, v9, vcc
	v_mul_lo_u32 v22, s73, v3
	v_mul_lo_u32 v23, s72, v9
	v_mad_u64_u32 v[12:13], s[0:1], s72, v3, 0
	v_add3_u32 v13, v13, v23, v22
	v_sub_u32_e32 v22, v15, v13
	v_mov_b32_e32 v23, s73
	v_sub_co_u32_e32 v12, vcc, v17, v12
	v_subb_co_u32_e64 v17, s[0:1], v22, v23, vcc
	v_subrev_co_u32_e64 v22, s[0:1], s72, v12
	v_subbrev_co_u32_e64 v17, s[0:1], 0, v17, s[0:1]
	v_cmp_le_u32_e64 s[0:1], s73, v17
	v_cndmask_b32_e64 v23, 0, -1, s[0:1]
	v_cmp_le_u32_e64 s[0:1], s72, v22
	v_cndmask_b32_e64 v22, 0, -1, s[0:1]
	v_cmp_eq_u32_e64 s[0:1], s73, v17
	v_cndmask_b32_e64 v17, v23, v22, s[0:1]
	v_add_co_u32_e64 v22, s[0:1], 2, v3
	v_subb_co_u32_e32 v13, vcc, v15, v13, vcc
	v_addc_co_u32_e64 v23, s[0:1], 0, v9, s[0:1]
	v_cmp_le_u32_e32 vcc, s73, v13
	v_add_co_u32_e64 v24, s[0:1], 1, v3
	v_cndmask_b32_e64 v15, 0, -1, vcc
	v_cmp_le_u32_e32 vcc, s72, v12
	v_addc_co_u32_e64 v25, s[0:1], 0, v9, s[0:1]
	v_cndmask_b32_e64 v12, 0, -1, vcc
	v_cmp_eq_u32_e32 vcc, s73, v13
	v_cmp_ne_u32_e64 s[0:1], 0, v17
	v_cndmask_b32_e32 v12, v15, v12, vcc
	v_cmp_ne_u32_e32 vcc, 0, v12
	v_cndmask_b32_e64 v12, v24, v22, s[0:1]
	v_cndmask_b32_e64 v17, v25, v23, s[0:1]
	v_cndmask_b32_e32 v3, v3, v12, vcc
	v_xor_b32_e32 v13, s70, v29
	v_cndmask_b32_e32 v9, v9, v17, vcc
	v_xor_b32_e32 v3, v3, v13
	v_xor_b32_e32 v9, v9, v13
	v_sub_co_u32_e32 v12, vcc, v3, v13
	v_subb_co_u32_e32 v13, vcc, v9, v13, vcc
.LBB7_13:                               ;   in Loop: Header=BB7_3 Depth=1
	s_andn2_saveexec_b64 s[0:1], s[68:69]
	s_cbranch_execz .LBB7_15
; %bb.14:                               ;   in Loop: Header=BB7_3 Depth=1
	v_rcp_iflag_f32_e32 v3, v26
	s_sub_i32 s68, 0, s34
	v_mul_f32_e32 v3, 0x4f7ffffe, v3
	v_cvt_u32_f32_e32 v3, v3
	v_mul_lo_u32 v9, s68, v3
	v_mul_hi_u32 v9, v3, v9
	v_add_u32_e32 v3, v3, v9
	v_mul_hi_u32 v3, v20, v3
	v_mul_lo_u32 v9, v3, s34
	v_sub_u32_e32 v9, v20, v9
	v_add_u32_e32 v12, 1, v3
	v_subrev_u32_e32 v13, s34, v9
	v_cmp_le_u32_e32 vcc, s34, v9
	v_cndmask_b32_e32 v9, v9, v13, vcc
	v_cndmask_b32_e32 v3, v3, v12, vcc
	v_add_u32_e32 v12, 1, v3
	v_cmp_le_u32_e32 vcc, s34, v9
	v_cndmask_b32_e32 v12, v3, v12, vcc
	v_mov_b32_e32 v13, v2
.LBB7_15:                               ;   in Loop: Header=BB7_3 Depth=1
	s_or_b64 exec, exec, s[0:1]
	v_mad_u64_u32 v[8:9], s[0:1], s8, v8, 0
	v_add3_u32 v9, v9, v14, v10
	v_mul_lo_u32 v3, v13, s34
	v_mul_lo_u32 v10, v12, s35
	v_mad_u64_u32 v[14:15], s[0:1], v12, s34, 0
	v_add3_u32 v3, v15, v10, v3
	v_sub_co_u32_e32 v10, vcc, v8, v14
	v_subb_co_u32_e32 v3, vcc, v9, v3, vcc
	v_add_co_u32_e32 v10, vcc, v0, v10
	v_addc_co_u32_e32 v3, vcc, v1, v3, vcc
	v_mul_lo_u32 v3, v3, s14
	v_mul_lo_u32 v17, v10, s15
	v_mad_u64_u32 v[14:15], s[0:1], v10, s14, 0
	v_add3_u32 v15, v15, v17, v3
	v_mul_lo_u32 v3, v13, s12
	v_mul_lo_u32 v10, v12, s13
	v_mad_u64_u32 v[12:13], s[0:1], v12, s12, 0
	v_add3_u32 v13, v13, v10, v3
	v_lshlrev_b64 v[12:13], 2, v[12:13]
	v_mov_b32_e32 v3, s3
	v_add_co_u32_e32 v10, vcc, s2, v12
	v_addc_co_u32_e32 v3, vcc, v3, v13, vcc
	v_lshlrev_b64 v[12:13], 2, v[14:15]
	v_add_co_u32_e32 v12, vcc, v10, v12
	v_addc_co_u32_e32 v13, vcc, v3, v13, vcc
	global_load_dword v10, v[12:13], off
	v_mad_u64_u32 v[14:15], s[0:1], v6, 3, 0
	v_add_u32_e32 v15, v15, v16
	v_add_co_u32_e32 v12, vcc, 2, v14
	v_addc_co_u32_e32 v3, vcc, 0, v15, vcc
	v_mul_lo_u32 v24, s9, v12
	v_mul_lo_u32 v25, s8, v3
	v_mad_u64_u32 v[22:23], s[0:1], s8, v12, v[0:1]
	v_add3_u32 v23, v24, v23, v25
	v_or_b32_e32 v3, s35, v23
	v_cmp_ne_u64_e32 vcc, 0, v[2:3]
	v_ashrrev_i32_e32 v30, 31, v23
                                        ; implicit-def: $vgpr16_vgpr17
	s_and_saveexec_b64 s[0:1], vcc
	s_xor_b64 s[68:69], exec, s[0:1]
	s_cbranch_execz .LBB7_17
; %bb.16:                               ;   in Loop: Header=BB7_3 Depth=1
	s_ashr_i32 s70, s35, 31
	s_add_u32 s0, s34, s70
	s_mov_b32 s71, s70
	s_addc_u32 s1, s35, s70
	s_xor_b64 s[72:73], s[0:1], s[70:71]
	v_cvt_f32_u32_e32 v3, s72
	v_cvt_f32_u32_e32 v13, s73
	s_sub_u32 s0, 0, s72
	s_subb_u32 s1, 0, s73
	v_mac_f32_e32 v3, 0x4f800000, v13
	v_rcp_f32_e32 v3, v3
	v_mul_f32_e32 v3, 0x5f7ffffc, v3
	v_mul_f32_e32 v13, 0x2f800000, v3
	v_trunc_f32_e32 v13, v13
	v_mac_f32_e32 v3, 0xcf800000, v13
	v_cvt_u32_f32_e32 v13, v13
	v_cvt_u32_f32_e32 v3, v3
	v_mul_lo_u32 v16, s0, v13
	v_mul_hi_u32 v27, s0, v3
	v_mul_lo_u32 v17, s1, v3
	v_add_u32_e32 v16, v27, v16
	v_mul_lo_u32 v31, s0, v3
	v_add_u32_e32 v16, v16, v17
	v_mul_lo_u32 v27, v3, v16
	v_mul_hi_u32 v33, v3, v31
	v_mul_hi_u32 v17, v3, v16
	v_add_co_u32_e32 v27, vcc, v33, v27
	v_addc_co_u32_e32 v17, vcc, 0, v17, vcc
	v_mul_hi_u32 v34, v13, v31
	v_mul_lo_u32 v31, v13, v31
	v_add_co_u32_e32 v27, vcc, v27, v31
	v_mul_hi_u32 v33, v13, v16
	v_addc_co_u32_e32 v17, vcc, v17, v34, vcc
	v_addc_co_u32_e32 v27, vcc, 0, v33, vcc
	v_mul_lo_u32 v16, v13, v16
	v_add_co_u32_e32 v16, vcc, v17, v16
	v_addc_co_u32_e32 v17, vcc, 0, v27, vcc
	v_add_co_u32_e32 v3, vcc, v3, v16
	v_addc_co_u32_e32 v13, vcc, v13, v17, vcc
	v_mul_lo_u32 v16, s0, v13
	v_mul_hi_u32 v17, s0, v3
	v_add_u32_e32 v16, v17, v16
	v_mul_lo_u32 v17, s1, v3
	v_add_u32_e32 v16, v16, v17
	v_mul_lo_u32 v27, s0, v3
	v_mul_hi_u32 v31, v13, v27
	v_mul_lo_u32 v33, v13, v27
	v_mul_lo_u32 v35, v3, v16
	v_mul_hi_u32 v27, v3, v27
	v_mul_hi_u32 v34, v3, v16
	v_add_co_u32_e32 v27, vcc, v27, v35
	v_addc_co_u32_e32 v34, vcc, 0, v34, vcc
	v_add_co_u32_e32 v27, vcc, v27, v33
	v_mul_hi_u32 v17, v13, v16
	v_addc_co_u32_e32 v27, vcc, v34, v31, vcc
	v_addc_co_u32_e32 v17, vcc, 0, v17, vcc
	v_mul_lo_u32 v16, v13, v16
	v_add_co_u32_e32 v16, vcc, v27, v16
	v_addc_co_u32_e32 v17, vcc, 0, v17, vcc
	v_add_co_u32_e32 v3, vcc, v3, v16
	v_addc_co_u32_e32 v13, vcc, v13, v17, vcc
	;; [unrolled: 2-line block ×3, first 2 shown]
	v_xor_b32_e32 v31, v16, v30
	v_xor_b32_e32 v27, v17, v30
	v_mad_u64_u32 v[16:17], s[0:1], v31, v13, 0
	v_mul_hi_u32 v33, v31, v3
	v_add_co_u32_e32 v33, vcc, v33, v16
	v_addc_co_u32_e32 v41, vcc, 0, v17, vcc
	v_mad_u64_u32 v[34:35], s[0:1], v27, v3, 0
	v_add_co_u32_e32 v3, vcc, v33, v34
	v_mad_u64_u32 v[16:17], s[0:1], v27, v13, 0
	v_addc_co_u32_e32 v3, vcc, v41, v35, vcc
	v_addc_co_u32_e32 v13, vcc, 0, v17, vcc
	v_add_co_u32_e32 v3, vcc, v3, v16
	v_addc_co_u32_e32 v13, vcc, 0, v13, vcc
	v_mul_lo_u32 v33, s73, v3
	v_mul_lo_u32 v34, s72, v13
	v_mad_u64_u32 v[16:17], s[0:1], s72, v3, 0
	v_add3_u32 v17, v17, v34, v33
	v_sub_u32_e32 v33, v27, v17
	v_mov_b32_e32 v34, s73
	v_sub_co_u32_e32 v16, vcc, v31, v16
	v_subb_co_u32_e64 v31, s[0:1], v33, v34, vcc
	v_subrev_co_u32_e64 v33, s[0:1], s72, v16
	v_subbrev_co_u32_e64 v31, s[0:1], 0, v31, s[0:1]
	v_cmp_le_u32_e64 s[0:1], s73, v31
	v_cndmask_b32_e64 v34, 0, -1, s[0:1]
	v_cmp_le_u32_e64 s[0:1], s72, v33
	v_cndmask_b32_e64 v33, 0, -1, s[0:1]
	v_cmp_eq_u32_e64 s[0:1], s73, v31
	v_cndmask_b32_e64 v31, v34, v33, s[0:1]
	v_add_co_u32_e64 v33, s[0:1], 2, v3
	v_subb_co_u32_e32 v17, vcc, v27, v17, vcc
	v_addc_co_u32_e64 v34, s[0:1], 0, v13, s[0:1]
	v_cmp_le_u32_e32 vcc, s73, v17
	v_add_co_u32_e64 v35, s[0:1], 1, v3
	v_cndmask_b32_e64 v27, 0, -1, vcc
	v_cmp_le_u32_e32 vcc, s72, v16
	v_addc_co_u32_e64 v41, s[0:1], 0, v13, s[0:1]
	v_cndmask_b32_e64 v16, 0, -1, vcc
	v_cmp_eq_u32_e32 vcc, s73, v17
	v_cmp_ne_u32_e64 s[0:1], 0, v31
	v_cndmask_b32_e32 v16, v27, v16, vcc
	v_cmp_ne_u32_e32 vcc, 0, v16
	v_cndmask_b32_e64 v16, v35, v33, s[0:1]
	v_cndmask_b32_e64 v31, v41, v34, s[0:1]
	v_cndmask_b32_e32 v3, v3, v16, vcc
	v_xor_b32_e32 v17, s70, v30
	v_cndmask_b32_e32 v13, v13, v31, vcc
	v_xor_b32_e32 v3, v3, v17
	v_xor_b32_e32 v13, v13, v17
	v_sub_co_u32_e32 v16, vcc, v3, v17
	v_subb_co_u32_e32 v17, vcc, v13, v17, vcc
.LBB7_17:                               ;   in Loop: Header=BB7_3 Depth=1
	s_andn2_saveexec_b64 s[0:1], s[68:69]
	s_cbranch_execz .LBB7_19
; %bb.18:                               ;   in Loop: Header=BB7_3 Depth=1
	v_rcp_iflag_f32_e32 v3, v26
	s_sub_i32 s68, 0, s34
	v_mul_f32_e32 v3, 0x4f7ffffe, v3
	v_cvt_u32_f32_e32 v3, v3
	v_mul_lo_u32 v13, s68, v3
	v_mul_hi_u32 v13, v3, v13
	v_add_u32_e32 v3, v3, v13
	v_mul_hi_u32 v3, v22, v3
	v_mul_lo_u32 v13, v3, s34
	v_sub_u32_e32 v13, v22, v13
	v_add_u32_e32 v16, 1, v3
	v_subrev_u32_e32 v17, s34, v13
	v_cmp_le_u32_e32 vcc, s34, v13
	v_cndmask_b32_e32 v13, v13, v17, vcc
	v_cndmask_b32_e32 v3, v3, v16, vcc
	v_add_u32_e32 v16, 1, v3
	v_cmp_le_u32_e32 vcc, s34, v13
	v_cndmask_b32_e32 v16, v3, v16, vcc
	v_mov_b32_e32 v17, v2
.LBB7_19:                               ;   in Loop: Header=BB7_3 Depth=1
	s_or_b64 exec, exec, s[0:1]
	v_mad_u64_u32 v[12:13], s[0:1], s8, v12, 0
	v_add3_u32 v13, v13, v25, v24
	v_mul_lo_u32 v3, v17, s34
	v_mul_lo_u32 v27, v16, s35
	v_mad_u64_u32 v[24:25], s[0:1], v16, s34, 0
	v_add3_u32 v3, v25, v27, v3
	v_sub_co_u32_e32 v24, vcc, v12, v24
	v_subb_co_u32_e32 v3, vcc, v13, v3, vcc
	v_add_co_u32_e32 v24, vcc, v0, v24
	v_addc_co_u32_e32 v3, vcc, v1, v3, vcc
	v_mul_lo_u32 v3, v3, s14
	v_mul_lo_u32 v27, v24, s15
	v_mad_u64_u32 v[24:25], s[0:1], v24, s14, 0
	v_add3_u32 v25, v25, v27, v3
	v_mul_lo_u32 v3, v17, s12
	v_mul_lo_u32 v27, v16, s13
	v_mad_u64_u32 v[16:17], s[0:1], v16, s12, 0
	v_add3_u32 v17, v17, v27, v3
	v_lshlrev_b64 v[16:17], 2, v[16:17]
	v_mov_b32_e32 v3, s3
	v_add_co_u32_e32 v27, vcc, s2, v16
	v_addc_co_u32_e32 v3, vcc, v3, v17, vcc
	v_lshlrev_b64 v[16:17], 2, v[24:25]
	v_add_co_u32_e32 v16, vcc, v27, v16
	v_addc_co_u32_e32 v17, vcc, v3, v17, vcc
	global_load_dword v41, v[16:17], off
	v_add_co_u32_e32 v14, vcc, 3, v14
	v_addc_co_u32_e32 v3, vcc, 0, v15, vcc
	v_mul_lo_u32 v27, s9, v14
	v_mul_lo_u32 v33, s8, v3
	v_mad_u64_u32 v[24:25], s[0:1], s8, v14, v[0:1]
	v_add3_u32 v25, v27, v25, v33
	v_or_b32_e32 v3, s35, v25
	v_cmp_ne_u64_e32 vcc, 0, v[2:3]
	v_ashrrev_i32_e32 v31, 31, v25
                                        ; implicit-def: $vgpr16_vgpr17
	s_and_saveexec_b64 s[0:1], vcc
	s_xor_b64 s[68:69], exec, s[0:1]
	s_cbranch_execz .LBB7_21
; %bb.20:                               ;   in Loop: Header=BB7_3 Depth=1
	s_ashr_i32 s70, s35, 31
	s_add_u32 s0, s34, s70
	s_mov_b32 s71, s70
	s_addc_u32 s1, s35, s70
	s_xor_b64 s[72:73], s[0:1], s[70:71]
	v_cvt_f32_u32_e32 v3, s72
	v_cvt_f32_u32_e32 v15, s73
	s_sub_u32 s0, 0, s72
	s_subb_u32 s1, 0, s73
	v_mac_f32_e32 v3, 0x4f800000, v15
	v_rcp_f32_e32 v3, v3
	v_mul_f32_e32 v3, 0x5f7ffffc, v3
	v_mul_f32_e32 v15, 0x2f800000, v3
	v_trunc_f32_e32 v15, v15
	v_mac_f32_e32 v3, 0xcf800000, v15
	v_cvt_u32_f32_e32 v15, v15
	v_cvt_u32_f32_e32 v3, v3
	v_mul_lo_u32 v16, s0, v15
	v_mul_hi_u32 v26, s0, v3
	v_mul_lo_u32 v17, s1, v3
	v_add_u32_e32 v16, v26, v16
	v_mul_lo_u32 v34, s0, v3
	v_add_u32_e32 v16, v16, v17
	v_mul_lo_u32 v26, v3, v16
	v_mul_hi_u32 v35, v3, v34
	v_mul_hi_u32 v17, v3, v16
	v_add_co_u32_e32 v26, vcc, v35, v26
	v_addc_co_u32_e32 v17, vcc, 0, v17, vcc
	v_mul_hi_u32 v42, v15, v34
	v_mul_lo_u32 v34, v15, v34
	v_add_co_u32_e32 v26, vcc, v26, v34
	v_mul_hi_u32 v35, v15, v16
	v_addc_co_u32_e32 v17, vcc, v17, v42, vcc
	v_addc_co_u32_e32 v26, vcc, 0, v35, vcc
	v_mul_lo_u32 v16, v15, v16
	v_add_co_u32_e32 v16, vcc, v17, v16
	v_addc_co_u32_e32 v17, vcc, 0, v26, vcc
	v_add_co_u32_e32 v3, vcc, v3, v16
	v_addc_co_u32_e32 v15, vcc, v15, v17, vcc
	v_mul_lo_u32 v16, s0, v15
	v_mul_hi_u32 v17, s0, v3
	v_add_u32_e32 v16, v17, v16
	v_mul_lo_u32 v17, s1, v3
	v_add_u32_e32 v16, v16, v17
	v_mul_lo_u32 v26, s0, v3
	v_mul_hi_u32 v34, v15, v26
	v_mul_lo_u32 v35, v15, v26
	v_mul_lo_u32 v43, v3, v16
	v_mul_hi_u32 v26, v3, v26
	v_mul_hi_u32 v42, v3, v16
	v_add_co_u32_e32 v26, vcc, v26, v43
	v_addc_co_u32_e32 v42, vcc, 0, v42, vcc
	v_add_co_u32_e32 v26, vcc, v26, v35
	v_mul_hi_u32 v17, v15, v16
	v_addc_co_u32_e32 v26, vcc, v42, v34, vcc
	v_addc_co_u32_e32 v17, vcc, 0, v17, vcc
	v_mul_lo_u32 v16, v15, v16
	v_add_co_u32_e32 v16, vcc, v26, v16
	v_addc_co_u32_e32 v17, vcc, 0, v17, vcc
	v_add_co_u32_e32 v3, vcc, v3, v16
	v_addc_co_u32_e32 v15, vcc, v15, v17, vcc
	;; [unrolled: 2-line block ×3, first 2 shown]
	v_xor_b32_e32 v42, v16, v31
	v_xor_b32_e32 v26, v17, v31
	v_mad_u64_u32 v[16:17], s[0:1], v42, v15, 0
	v_mul_hi_u32 v34, v42, v3
	v_add_co_u32_e32 v43, vcc, v34, v16
	v_addc_co_u32_e32 v44, vcc, 0, v17, vcc
	v_mad_u64_u32 v[34:35], s[0:1], v26, v3, 0
	v_add_co_u32_e32 v3, vcc, v43, v34
	v_mad_u64_u32 v[16:17], s[0:1], v26, v15, 0
	v_addc_co_u32_e32 v3, vcc, v44, v35, vcc
	v_addc_co_u32_e32 v15, vcc, 0, v17, vcc
	v_add_co_u32_e32 v3, vcc, v3, v16
	v_addc_co_u32_e32 v15, vcc, 0, v15, vcc
	v_mul_lo_u32 v34, s73, v3
	v_mul_lo_u32 v35, s72, v15
	v_mad_u64_u32 v[16:17], s[0:1], s72, v3, 0
	v_add3_u32 v17, v17, v35, v34
	v_sub_u32_e32 v34, v26, v17
	v_mov_b32_e32 v35, s73
	v_sub_co_u32_e32 v16, vcc, v42, v16
	v_subb_co_u32_e64 v34, s[0:1], v34, v35, vcc
	v_subrev_co_u32_e64 v35, s[0:1], s72, v16
	v_subbrev_co_u32_e64 v34, s[0:1], 0, v34, s[0:1]
	v_cmp_le_u32_e64 s[0:1], s73, v34
	v_cndmask_b32_e64 v42, 0, -1, s[0:1]
	v_cmp_le_u32_e64 s[0:1], s72, v35
	v_cndmask_b32_e64 v35, 0, -1, s[0:1]
	v_cmp_eq_u32_e64 s[0:1], s73, v34
	v_cndmask_b32_e64 v34, v42, v35, s[0:1]
	v_add_co_u32_e64 v35, s[0:1], 2, v3
	v_subb_co_u32_e32 v17, vcc, v26, v17, vcc
	v_addc_co_u32_e64 v42, s[0:1], 0, v15, s[0:1]
	v_cmp_le_u32_e32 vcc, s73, v17
	v_add_co_u32_e64 v43, s[0:1], 1, v3
	v_cndmask_b32_e64 v26, 0, -1, vcc
	v_cmp_le_u32_e32 vcc, s72, v16
	v_addc_co_u32_e64 v44, s[0:1], 0, v15, s[0:1]
	v_cndmask_b32_e64 v16, 0, -1, vcc
	v_cmp_eq_u32_e32 vcc, s73, v17
	v_cmp_ne_u32_e64 s[0:1], 0, v34
	v_cndmask_b32_e32 v16, v26, v16, vcc
	v_cmp_ne_u32_e32 vcc, 0, v16
	v_cndmask_b32_e64 v16, v43, v35, s[0:1]
	v_cndmask_b32_e64 v34, v44, v42, s[0:1]
	v_cndmask_b32_e32 v3, v3, v16, vcc
	v_xor_b32_e32 v17, s70, v31
	v_cndmask_b32_e32 v15, v15, v34, vcc
	v_xor_b32_e32 v3, v3, v17
	v_xor_b32_e32 v15, v15, v17
	v_sub_co_u32_e32 v16, vcc, v3, v17
	v_subb_co_u32_e32 v17, vcc, v15, v17, vcc
                                        ; implicit-def: $vgpr26
.LBB7_21:                               ;   in Loop: Header=BB7_3 Depth=1
	s_andn2_saveexec_b64 s[0:1], s[68:69]
	s_cbranch_execz .LBB7_23
; %bb.22:                               ;   in Loop: Header=BB7_3 Depth=1
	v_rcp_iflag_f32_e32 v3, v26
	s_sub_i32 s68, 0, s34
	v_mul_f32_e32 v3, 0x4f7ffffe, v3
	v_cvt_u32_f32_e32 v3, v3
	v_mul_lo_u32 v15, s68, v3
	v_mul_hi_u32 v15, v3, v15
	v_add_u32_e32 v3, v3, v15
	v_mul_hi_u32 v3, v24, v3
	v_mul_lo_u32 v15, v3, s34
	v_sub_u32_e32 v15, v24, v15
	v_add_u32_e32 v16, 1, v3
	v_subrev_u32_e32 v17, s34, v15
	v_cmp_le_u32_e32 vcc, s34, v15
	v_cndmask_b32_e32 v15, v15, v17, vcc
	v_cndmask_b32_e32 v3, v3, v16, vcc
	v_add_u32_e32 v16, 1, v3
	v_cmp_le_u32_e32 vcc, s34, v15
	v_cndmask_b32_e32 v16, v3, v16, vcc
	v_mov_b32_e32 v17, v2
.LBB7_23:                               ;   in Loop: Header=BB7_3 Depth=1
	s_or_b64 exec, exec, s[0:1]
	v_mad_u64_u32 v[14:15], s[0:1], s8, v14, 0
	v_add3_u32 v15, v15, v33, v27
	v_mul_lo_u32 v3, v17, s34
	v_mul_lo_u32 v33, v16, s35
	v_mad_u64_u32 v[26:27], s[0:1], v16, s34, 0
	v_add3_u32 v3, v27, v33, v3
	v_sub_co_u32_e32 v26, vcc, v14, v26
	v_subb_co_u32_e32 v3, vcc, v15, v3, vcc
	v_add_co_u32_e32 v26, vcc, v0, v26
	v_addc_co_u32_e32 v3, vcc, v1, v3, vcc
	v_mul_lo_u32 v3, v3, s14
	v_mul_lo_u32 v33, v26, s15
	v_mad_u64_u32 v[26:27], s[0:1], v26, s14, 0
	v_add3_u32 v27, v27, v33, v3
	v_mul_lo_u32 v3, v17, s12
	v_mul_lo_u32 v33, v16, s13
	v_mad_u64_u32 v[16:17], s[0:1], v16, s12, 0
	v_add3_u32 v17, v17, v33, v3
	v_lshlrev_b64 v[16:17], 2, v[16:17]
	v_mov_b32_e32 v3, s3
	v_add_co_u32_e32 v33, vcc, s2, v16
	v_addc_co_u32_e32 v3, vcc, v3, v17, vcc
	v_lshlrev_b64 v[16:17], 2, v[26:27]
	v_add_co_u32_e32 v16, vcc, v33, v16
	v_addc_co_u32_e32 v17, vcc, v3, v17, vcc
	global_load_dword v42, v[16:17], off
	s_waitcnt lgkmcnt(0)
	v_or_b32_e32 v3, s65, v19
	v_cmp_ne_u64_e32 vcc, 0, v[2:3]
                                        ; implicit-def: $vgpr16_vgpr17
	s_and_saveexec_b64 s[0:1], vcc
	s_xor_b64 s[68:69], exec, s[0:1]
	s_cbranch_execz .LBB7_25
; %bb.24:                               ;   in Loop: Header=BB7_3 Depth=1
	s_ashr_i32 s70, s65, 31
	s_add_u32 s0, s64, s70
	s_mov_b32 s71, s70
	s_addc_u32 s1, s65, s70
	s_xor_b64 s[72:73], s[0:1], s[70:71]
	v_cvt_f32_u32_e32 v3, s72
	v_cvt_f32_u32_e32 v16, s73
	s_sub_u32 s0, 0, s72
	s_subb_u32 s1, 0, s73
	v_mac_f32_e32 v3, 0x4f800000, v16
	v_rcp_f32_e32 v3, v3
	v_mul_f32_e32 v3, 0x5f7ffffc, v3
	v_mul_f32_e32 v16, 0x2f800000, v3
	v_trunc_f32_e32 v16, v16
	v_mac_f32_e32 v3, 0xcf800000, v16
	v_cvt_u32_f32_e32 v16, v16
	v_cvt_u32_f32_e32 v3, v3
	v_mul_lo_u32 v17, s0, v16
	v_mul_hi_u32 v27, s0, v3
	v_mul_lo_u32 v26, s1, v3
	v_add_u32_e32 v17, v27, v17
	v_mul_lo_u32 v33, s0, v3
	v_add_u32_e32 v17, v17, v26
	v_mul_lo_u32 v27, v3, v17
	v_mul_hi_u32 v34, v3, v33
	v_mul_hi_u32 v26, v3, v17
	v_add_co_u32_e32 v27, vcc, v34, v27
	v_addc_co_u32_e32 v26, vcc, 0, v26, vcc
	v_mul_hi_u32 v35, v16, v33
	v_mul_lo_u32 v33, v16, v33
	v_add_co_u32_e32 v27, vcc, v27, v33
	v_mul_hi_u32 v34, v16, v17
	v_addc_co_u32_e32 v26, vcc, v26, v35, vcc
	v_addc_co_u32_e32 v27, vcc, 0, v34, vcc
	v_mul_lo_u32 v17, v16, v17
	v_add_co_u32_e32 v17, vcc, v26, v17
	v_addc_co_u32_e32 v26, vcc, 0, v27, vcc
	v_add_co_u32_e32 v3, vcc, v3, v17
	v_addc_co_u32_e32 v16, vcc, v16, v26, vcc
	v_mul_lo_u32 v17, s0, v16
	v_mul_hi_u32 v26, s0, v3
	v_add_u32_e32 v17, v26, v17
	v_mul_lo_u32 v26, s1, v3
	v_add_u32_e32 v17, v17, v26
	v_mul_lo_u32 v27, s0, v3
	v_mul_hi_u32 v33, v16, v27
	v_mul_lo_u32 v34, v16, v27
	v_mul_lo_u32 v43, v3, v17
	v_mul_hi_u32 v27, v3, v27
	v_mul_hi_u32 v35, v3, v17
	v_add_co_u32_e32 v27, vcc, v27, v43
	v_addc_co_u32_e32 v35, vcc, 0, v35, vcc
	v_add_co_u32_e32 v27, vcc, v27, v34
	v_mul_hi_u32 v26, v16, v17
	v_addc_co_u32_e32 v27, vcc, v35, v33, vcc
	v_addc_co_u32_e32 v26, vcc, 0, v26, vcc
	v_mul_lo_u32 v17, v16, v17
	v_add_co_u32_e32 v17, vcc, v27, v17
	v_addc_co_u32_e32 v26, vcc, 0, v26, vcc
	v_add_co_u32_e32 v3, vcc, v3, v17
	v_addc_co_u32_e32 v26, vcc, v16, v26, vcc
	;; [unrolled: 2-line block ×3, first 2 shown]
	v_xor_b32_e32 v34, v16, v28
	v_xor_b32_e32 v33, v17, v28
	v_mad_u64_u32 v[16:17], s[0:1], v34, v26, 0
	v_mul_hi_u32 v27, v34, v3
	v_add_co_u32_e32 v35, vcc, v27, v16
	v_addc_co_u32_e32 v43, vcc, 0, v17, vcc
	v_mad_u64_u32 v[16:17], s[0:1], v33, v26, 0
	v_mad_u64_u32 v[26:27], s[0:1], v33, v3, 0
	v_add_co_u32_e32 v3, vcc, v35, v26
	v_addc_co_u32_e32 v3, vcc, v43, v27, vcc
	v_addc_co_u32_e32 v17, vcc, 0, v17, vcc
	v_add_co_u32_e32 v3, vcc, v3, v16
	v_addc_co_u32_e32 v26, vcc, 0, v17, vcc
	v_mul_lo_u32 v27, s73, v3
	v_mul_lo_u32 v35, s72, v26
	v_mad_u64_u32 v[16:17], s[0:1], s72, v3, 0
	v_add3_u32 v17, v17, v35, v27
	v_sub_u32_e32 v27, v33, v17
	v_mov_b32_e32 v35, s73
	v_sub_co_u32_e32 v16, vcc, v34, v16
	v_subb_co_u32_e64 v27, s[0:1], v27, v35, vcc
	v_subrev_co_u32_e64 v34, s[0:1], s72, v16
	v_subbrev_co_u32_e64 v27, s[0:1], 0, v27, s[0:1]
	v_cmp_le_u32_e64 s[0:1], s73, v27
	v_cndmask_b32_e64 v35, 0, -1, s[0:1]
	v_cmp_le_u32_e64 s[0:1], s72, v34
	v_cndmask_b32_e64 v34, 0, -1, s[0:1]
	v_cmp_eq_u32_e64 s[0:1], s73, v27
	v_cndmask_b32_e64 v27, v35, v34, s[0:1]
	v_add_co_u32_e64 v34, s[0:1], 2, v3
	v_subb_co_u32_e32 v17, vcc, v33, v17, vcc
	v_addc_co_u32_e64 v35, s[0:1], 0, v26, s[0:1]
	v_cmp_le_u32_e32 vcc, s73, v17
	v_add_co_u32_e64 v43, s[0:1], 1, v3
	v_cndmask_b32_e64 v33, 0, -1, vcc
	v_cmp_le_u32_e32 vcc, s72, v16
	v_addc_co_u32_e64 v44, s[0:1], 0, v26, s[0:1]
	v_cndmask_b32_e64 v16, 0, -1, vcc
	v_cmp_eq_u32_e32 vcc, s73, v17
	v_cmp_ne_u32_e64 s[0:1], 0, v27
	v_cndmask_b32_e32 v16, v33, v16, vcc
	v_cmp_ne_u32_e32 vcc, 0, v16
	v_cndmask_b32_e64 v17, v43, v34, s[0:1]
	v_cndmask_b32_e64 v27, v44, v35, s[0:1]
	v_cndmask_b32_e32 v3, v3, v17, vcc
	v_xor_b32_e32 v17, s70, v28
	v_cndmask_b32_e32 v16, v26, v27, vcc
	v_xor_b32_e32 v3, v3, v17
	v_xor_b32_e32 v26, v16, v17
	v_sub_co_u32_e32 v16, vcc, v3, v17
	v_subb_co_u32_e32 v17, vcc, v26, v17, vcc
.LBB7_25:                               ;   in Loop: Header=BB7_3 Depth=1
	s_or_saveexec_b64 s[0:1], s[68:69]
	v_cvt_f32_u32_e32 v33, s64
	s_xor_b64 exec, exec, s[0:1]
	s_cbranch_execz .LBB7_27
; %bb.26:                               ;   in Loop: Header=BB7_3 Depth=1
	v_rcp_iflag_f32_e32 v3, v33
	s_sub_i32 s68, 0, s64
	v_mul_f32_e32 v3, 0x4f7ffffe, v3
	v_cvt_u32_f32_e32 v3, v3
	v_mul_lo_u32 v16, s68, v3
	v_mul_hi_u32 v16, v3, v16
	v_add_u32_e32 v3, v3, v16
	v_mul_hi_u32 v3, v18, v3
	v_mul_lo_u32 v16, v3, s64
	v_sub_u32_e32 v16, v18, v16
	v_add_u32_e32 v17, 1, v3
	v_subrev_u32_e32 v26, s64, v16
	v_cmp_le_u32_e32 vcc, s64, v16
	v_cndmask_b32_e32 v16, v16, v26, vcc
	v_cndmask_b32_e32 v3, v3, v17, vcc
	v_add_u32_e32 v17, 1, v3
	v_cmp_le_u32_e32 vcc, s64, v16
	v_cndmask_b32_e32 v16, v3, v17, vcc
	v_mov_b32_e32 v17, v2
.LBB7_27:                               ;   in Loop: Header=BB7_3 Depth=1
	s_or_b64 exec, exec, s[0:1]
	v_mul_lo_u32 v3, v17, s64
	v_mul_lo_u32 v34, v16, s65
	v_mad_u64_u32 v[26:27], s[0:1], v16, s64, 0
	v_add3_u32 v3, v27, v34, v3
	v_sub_co_u32_e32 v26, vcc, v4, v26
	v_subb_co_u32_e32 v3, vcc, v5, v3, vcc
	v_add_co_u32_e32 v26, vcc, v0, v26
	v_addc_co_u32_e32 v3, vcc, v1, v3, vcc
	v_mul_lo_u32 v3, v3, s30
	v_mul_lo_u32 v34, v26, s31
	v_mad_u64_u32 v[26:27], s[0:1], v26, s30, 0
	v_add3_u32 v27, v27, v34, v3
	v_mul_lo_u32 v3, v17, s28
	v_mul_lo_u32 v34, v16, s29
	v_mad_u64_u32 v[16:17], s[0:1], v16, s28, 0
	v_add3_u32 v17, v17, v34, v3
	v_lshlrev_b64 v[16:17], 2, v[16:17]
	v_mov_b32_e32 v3, s37
	v_add_co_u32_e32 v34, vcc, s36, v16
	v_addc_co_u32_e32 v3, vcc, v3, v17, vcc
	v_lshlrev_b64 v[16:17], 2, v[26:27]
	v_add_co_u32_e32 v16, vcc, v34, v16
	v_addc_co_u32_e32 v17, vcc, v3, v17, vcc
	global_load_dword v17, v[16:17], off
	v_or_b32_e32 v3, s65, v21
	v_cmp_ne_u64_e32 vcc, 0, v[2:3]
                                        ; implicit-def: $vgpr26_vgpr27
	s_and_saveexec_b64 s[0:1], vcc
	s_xor_b64 s[68:69], exec, s[0:1]
	s_cbranch_execz .LBB7_29
; %bb.28:                               ;   in Loop: Header=BB7_3 Depth=1
	s_ashr_i32 s70, s65, 31
	s_add_u32 s0, s64, s70
	s_mov_b32 s71, s70
	s_addc_u32 s1, s65, s70
	s_xor_b64 s[72:73], s[0:1], s[70:71]
	v_cvt_f32_u32_e32 v3, s72
	v_cvt_f32_u32_e32 v16, s73
	s_sub_u32 s0, 0, s72
	s_subb_u32 s1, 0, s73
	v_mac_f32_e32 v3, 0x4f800000, v16
	v_rcp_f32_e32 v3, v3
	v_mul_f32_e32 v3, 0x5f7ffffc, v3
	v_mul_f32_e32 v16, 0x2f800000, v3
	v_trunc_f32_e32 v16, v16
	v_mac_f32_e32 v3, 0xcf800000, v16
	v_cvt_u32_f32_e32 v16, v16
	v_cvt_u32_f32_e32 v3, v3
	v_mul_lo_u32 v26, s0, v16
	v_mul_hi_u32 v34, s0, v3
	v_mul_lo_u32 v27, s1, v3
	v_add_u32_e32 v26, v34, v26
	v_mul_lo_u32 v35, s0, v3
	v_add_u32_e32 v26, v26, v27
	v_mul_lo_u32 v34, v3, v26
	v_mul_hi_u32 v43, v3, v35
	v_mul_hi_u32 v27, v3, v26
	v_add_co_u32_e32 v34, vcc, v43, v34
	v_addc_co_u32_e32 v27, vcc, 0, v27, vcc
	v_mul_hi_u32 v44, v16, v35
	v_mul_lo_u32 v35, v16, v35
	v_add_co_u32_e32 v34, vcc, v34, v35
	v_mul_hi_u32 v43, v16, v26
	v_addc_co_u32_e32 v27, vcc, v27, v44, vcc
	v_addc_co_u32_e32 v34, vcc, 0, v43, vcc
	v_mul_lo_u32 v26, v16, v26
	v_add_co_u32_e32 v26, vcc, v27, v26
	v_addc_co_u32_e32 v27, vcc, 0, v34, vcc
	v_add_co_u32_e32 v3, vcc, v3, v26
	v_addc_co_u32_e32 v16, vcc, v16, v27, vcc
	v_mul_lo_u32 v26, s0, v16
	v_mul_hi_u32 v27, s0, v3
	v_add_u32_e32 v26, v27, v26
	v_mul_lo_u32 v27, s1, v3
	v_add_u32_e32 v26, v26, v27
	v_mul_lo_u32 v34, s0, v3
	v_mul_hi_u32 v35, v16, v34
	v_mul_lo_u32 v43, v16, v34
	v_mul_lo_u32 v45, v3, v26
	v_mul_hi_u32 v34, v3, v34
	v_mul_hi_u32 v44, v3, v26
	v_add_co_u32_e32 v34, vcc, v34, v45
	v_addc_co_u32_e32 v44, vcc, 0, v44, vcc
	v_add_co_u32_e32 v34, vcc, v34, v43
	v_mul_hi_u32 v27, v16, v26
	v_addc_co_u32_e32 v34, vcc, v44, v35, vcc
	v_addc_co_u32_e32 v27, vcc, 0, v27, vcc
	v_mul_lo_u32 v26, v16, v26
	v_add_co_u32_e32 v26, vcc, v34, v26
	v_addc_co_u32_e32 v27, vcc, 0, v27, vcc
	v_add_co_u32_e32 v3, vcc, v3, v26
	v_addc_co_u32_e32 v16, vcc, v16, v27, vcc
	;; [unrolled: 2-line block ×3, first 2 shown]
	v_xor_b32_e32 v44, v26, v29
	v_xor_b32_e32 v43, v27, v29
	v_mad_u64_u32 v[26:27], s[0:1], v44, v16, 0
	v_mul_hi_u32 v34, v44, v3
	v_add_co_u32_e32 v45, vcc, v34, v26
	v_addc_co_u32_e32 v46, vcc, 0, v27, vcc
	v_mad_u64_u32 v[34:35], s[0:1], v43, v3, 0
	v_add_co_u32_e32 v3, vcc, v45, v34
	v_mad_u64_u32 v[26:27], s[0:1], v43, v16, 0
	v_addc_co_u32_e32 v3, vcc, v46, v35, vcc
	v_addc_co_u32_e32 v16, vcc, 0, v27, vcc
	v_add_co_u32_e32 v3, vcc, v3, v26
	v_addc_co_u32_e32 v16, vcc, 0, v16, vcc
	v_mul_lo_u32 v34, s73, v3
	v_mul_lo_u32 v35, s72, v16
	v_mad_u64_u32 v[26:27], s[0:1], s72, v3, 0
	v_add3_u32 v27, v27, v35, v34
	v_sub_u32_e32 v34, v43, v27
	v_mov_b32_e32 v35, s73
	v_sub_co_u32_e32 v26, vcc, v44, v26
	v_subb_co_u32_e64 v34, s[0:1], v34, v35, vcc
	v_subrev_co_u32_e64 v35, s[0:1], s72, v26
	v_subbrev_co_u32_e64 v34, s[0:1], 0, v34, s[0:1]
	v_cmp_le_u32_e64 s[0:1], s73, v34
	v_cndmask_b32_e64 v44, 0, -1, s[0:1]
	v_cmp_le_u32_e64 s[0:1], s72, v35
	v_cndmask_b32_e64 v35, 0, -1, s[0:1]
	v_cmp_eq_u32_e64 s[0:1], s73, v34
	v_cndmask_b32_e64 v34, v44, v35, s[0:1]
	v_add_co_u32_e64 v35, s[0:1], 2, v3
	v_subb_co_u32_e32 v27, vcc, v43, v27, vcc
	v_addc_co_u32_e64 v44, s[0:1], 0, v16, s[0:1]
	v_cmp_le_u32_e32 vcc, s73, v27
	v_add_co_u32_e64 v45, s[0:1], 1, v3
	v_cndmask_b32_e64 v43, 0, -1, vcc
	v_cmp_le_u32_e32 vcc, s72, v26
	v_addc_co_u32_e64 v46, s[0:1], 0, v16, s[0:1]
	v_cndmask_b32_e64 v26, 0, -1, vcc
	v_cmp_eq_u32_e32 vcc, s73, v27
	v_cmp_ne_u32_e64 s[0:1], 0, v34
	v_cndmask_b32_e32 v26, v43, v26, vcc
	v_cmp_ne_u32_e32 vcc, 0, v26
	v_cndmask_b32_e64 v26, v45, v35, s[0:1]
	v_cndmask_b32_e64 v34, v46, v44, s[0:1]
	v_cndmask_b32_e32 v3, v3, v26, vcc
	v_xor_b32_e32 v27, s70, v29
	v_cndmask_b32_e32 v16, v16, v34, vcc
	v_xor_b32_e32 v3, v3, v27
	v_xor_b32_e32 v16, v16, v27
	v_sub_co_u32_e32 v26, vcc, v3, v27
	v_subb_co_u32_e32 v27, vcc, v16, v27, vcc
.LBB7_29:                               ;   in Loop: Header=BB7_3 Depth=1
	s_andn2_saveexec_b64 s[0:1], s[68:69]
	s_cbranch_execz .LBB7_31
; %bb.30:                               ;   in Loop: Header=BB7_3 Depth=1
	v_rcp_iflag_f32_e32 v3, v33
	s_sub_i32 s68, 0, s64
	v_mul_f32_e32 v3, 0x4f7ffffe, v3
	v_cvt_u32_f32_e32 v3, v3
	v_mul_lo_u32 v16, s68, v3
	v_mul_hi_u32 v16, v3, v16
	v_add_u32_e32 v3, v3, v16
	v_mul_hi_u32 v3, v20, v3
	v_mul_lo_u32 v16, v3, s64
	v_sub_u32_e32 v16, v20, v16
	v_add_u32_e32 v26, 1, v3
	v_subrev_u32_e32 v27, s64, v16
	v_cmp_le_u32_e32 vcc, s64, v16
	v_cndmask_b32_e32 v16, v16, v27, vcc
	v_cndmask_b32_e32 v3, v3, v26, vcc
	v_add_u32_e32 v26, 1, v3
	v_cmp_le_u32_e32 vcc, s64, v16
	v_cndmask_b32_e32 v26, v3, v26, vcc
	v_mov_b32_e32 v27, v2
.LBB7_31:                               ;   in Loop: Header=BB7_3 Depth=1
	s_or_b64 exec, exec, s[0:1]
	v_mul_lo_u32 v3, v27, s64
	v_mul_lo_u32 v16, v26, s65
	v_mad_u64_u32 v[34:35], s[0:1], v26, s64, 0
	v_add3_u32 v3, v35, v16, v3
	v_sub_co_u32_e32 v16, vcc, v8, v34
	v_subb_co_u32_e32 v3, vcc, v9, v3, vcc
	v_add_co_u32_e32 v16, vcc, v0, v16
	v_addc_co_u32_e32 v3, vcc, v1, v3, vcc
	v_mul_lo_u32 v3, v3, s30
	v_mul_lo_u32 v43, v16, s31
	v_mad_u64_u32 v[34:35], s[0:1], v16, s30, 0
	v_add3_u32 v35, v35, v43, v3
	v_mul_lo_u32 v3, v27, s28
	v_mul_lo_u32 v16, v26, s29
	v_mad_u64_u32 v[26:27], s[0:1], v26, s28, 0
	v_add3_u32 v27, v27, v16, v3
	v_lshlrev_b64 v[26:27], 2, v[26:27]
	v_mov_b32_e32 v3, s37
	v_add_co_u32_e32 v16, vcc, s36, v26
	v_addc_co_u32_e32 v3, vcc, v3, v27, vcc
	v_lshlrev_b64 v[26:27], 2, v[34:35]
	v_add_co_u32_e32 v26, vcc, v16, v26
	v_addc_co_u32_e32 v27, vcc, v3, v27, vcc
	global_load_dword v16, v[26:27], off
	v_or_b32_e32 v3, s65, v23
	v_cmp_ne_u64_e32 vcc, 0, v[2:3]
                                        ; implicit-def: $vgpr26_vgpr27
	s_and_saveexec_b64 s[0:1], vcc
	s_xor_b64 s[68:69], exec, s[0:1]
	s_cbranch_execz .LBB7_33
; %bb.32:                               ;   in Loop: Header=BB7_3 Depth=1
	s_ashr_i32 s70, s65, 31
	s_add_u32 s0, s64, s70
	s_mov_b32 s71, s70
	s_addc_u32 s1, s65, s70
	s_xor_b64 s[72:73], s[0:1], s[70:71]
	v_cvt_f32_u32_e32 v3, s72
	v_cvt_f32_u32_e32 v26, s73
	s_sub_u32 s0, 0, s72
	s_subb_u32 s1, 0, s73
	v_mac_f32_e32 v3, 0x4f800000, v26
	v_rcp_f32_e32 v3, v3
	v_mul_f32_e32 v3, 0x5f7ffffc, v3
	v_mul_f32_e32 v26, 0x2f800000, v3
	v_trunc_f32_e32 v26, v26
	v_mac_f32_e32 v3, 0xcf800000, v26
	v_cvt_u32_f32_e32 v26, v26
	v_cvt_u32_f32_e32 v3, v3
	v_mul_lo_u32 v27, s0, v26
	v_mul_hi_u32 v35, s0, v3
	v_mul_lo_u32 v34, s1, v3
	v_add_u32_e32 v27, v35, v27
	v_mul_lo_u32 v43, s0, v3
	v_add_u32_e32 v27, v27, v34
	v_mul_lo_u32 v35, v3, v27
	v_mul_hi_u32 v44, v3, v43
	v_mul_hi_u32 v34, v3, v27
	v_add_co_u32_e32 v35, vcc, v44, v35
	v_addc_co_u32_e32 v34, vcc, 0, v34, vcc
	v_mul_hi_u32 v45, v26, v43
	v_mul_lo_u32 v43, v26, v43
	v_add_co_u32_e32 v35, vcc, v35, v43
	v_mul_hi_u32 v44, v26, v27
	v_addc_co_u32_e32 v34, vcc, v34, v45, vcc
	v_addc_co_u32_e32 v35, vcc, 0, v44, vcc
	v_mul_lo_u32 v27, v26, v27
	v_add_co_u32_e32 v27, vcc, v34, v27
	v_addc_co_u32_e32 v34, vcc, 0, v35, vcc
	v_add_co_u32_e32 v3, vcc, v3, v27
	v_addc_co_u32_e32 v26, vcc, v26, v34, vcc
	v_mul_lo_u32 v27, s0, v26
	v_mul_hi_u32 v34, s0, v3
	v_add_u32_e32 v27, v34, v27
	v_mul_lo_u32 v34, s1, v3
	v_add_u32_e32 v27, v27, v34
	v_mul_lo_u32 v35, s0, v3
	v_mul_hi_u32 v43, v26, v35
	v_mul_lo_u32 v44, v26, v35
	v_mul_lo_u32 v46, v3, v27
	v_mul_hi_u32 v35, v3, v35
	v_mul_hi_u32 v45, v3, v27
	v_add_co_u32_e32 v35, vcc, v35, v46
	v_addc_co_u32_e32 v45, vcc, 0, v45, vcc
	v_add_co_u32_e32 v35, vcc, v35, v44
	v_mul_hi_u32 v34, v26, v27
	v_addc_co_u32_e32 v35, vcc, v45, v43, vcc
	v_addc_co_u32_e32 v34, vcc, 0, v34, vcc
	v_mul_lo_u32 v27, v26, v27
	v_add_co_u32_e32 v27, vcc, v35, v27
	v_addc_co_u32_e32 v34, vcc, 0, v34, vcc
	v_add_co_u32_e32 v3, vcc, v3, v27
	v_addc_co_u32_e32 v34, vcc, v26, v34, vcc
	v_add_co_u32_e32 v26, vcc, v22, v30
	v_addc_co_u32_e32 v27, vcc, v23, v30, vcc
	v_xor_b32_e32 v44, v26, v30
	v_xor_b32_e32 v43, v27, v30
	v_mad_u64_u32 v[26:27], s[0:1], v44, v34, 0
	v_mul_hi_u32 v35, v44, v3
	v_add_co_u32_e32 v45, vcc, v35, v26
	v_addc_co_u32_e32 v46, vcc, 0, v27, vcc
	v_mad_u64_u32 v[26:27], s[0:1], v43, v34, 0
	v_mad_u64_u32 v[34:35], s[0:1], v43, v3, 0
	v_add_co_u32_e32 v3, vcc, v45, v34
	v_addc_co_u32_e32 v3, vcc, v46, v35, vcc
	v_addc_co_u32_e32 v27, vcc, 0, v27, vcc
	v_add_co_u32_e32 v3, vcc, v3, v26
	v_addc_co_u32_e32 v34, vcc, 0, v27, vcc
	v_mul_lo_u32 v35, s73, v3
	v_mul_lo_u32 v45, s72, v34
	v_mad_u64_u32 v[26:27], s[0:1], s72, v3, 0
	v_add3_u32 v27, v27, v45, v35
	v_sub_u32_e32 v35, v43, v27
	v_mov_b32_e32 v45, s73
	v_sub_co_u32_e32 v26, vcc, v44, v26
	v_subb_co_u32_e64 v35, s[0:1], v35, v45, vcc
	v_subrev_co_u32_e64 v44, s[0:1], s72, v26
	v_subbrev_co_u32_e64 v35, s[0:1], 0, v35, s[0:1]
	v_cmp_le_u32_e64 s[0:1], s73, v35
	v_cndmask_b32_e64 v45, 0, -1, s[0:1]
	v_cmp_le_u32_e64 s[0:1], s72, v44
	v_cndmask_b32_e64 v44, 0, -1, s[0:1]
	v_cmp_eq_u32_e64 s[0:1], s73, v35
	v_cndmask_b32_e64 v35, v45, v44, s[0:1]
	v_add_co_u32_e64 v44, s[0:1], 2, v3
	v_subb_co_u32_e32 v27, vcc, v43, v27, vcc
	v_addc_co_u32_e64 v45, s[0:1], 0, v34, s[0:1]
	v_cmp_le_u32_e32 vcc, s73, v27
	v_add_co_u32_e64 v46, s[0:1], 1, v3
	v_cndmask_b32_e64 v43, 0, -1, vcc
	v_cmp_le_u32_e32 vcc, s72, v26
	v_addc_co_u32_e64 v47, s[0:1], 0, v34, s[0:1]
	v_cndmask_b32_e64 v26, 0, -1, vcc
	v_cmp_eq_u32_e32 vcc, s73, v27
	v_cmp_ne_u32_e64 s[0:1], 0, v35
	v_cndmask_b32_e32 v26, v43, v26, vcc
	v_cmp_ne_u32_e32 vcc, 0, v26
	v_cndmask_b32_e64 v27, v46, v44, s[0:1]
	v_cndmask_b32_e64 v35, v47, v45, s[0:1]
	v_cndmask_b32_e32 v3, v3, v27, vcc
	v_xor_b32_e32 v27, s70, v30
	v_cndmask_b32_e32 v26, v34, v35, vcc
	v_xor_b32_e32 v3, v3, v27
	v_xor_b32_e32 v34, v26, v27
	v_sub_co_u32_e32 v26, vcc, v3, v27
	v_subb_co_u32_e32 v27, vcc, v34, v27, vcc
.LBB7_33:                               ;   in Loop: Header=BB7_3 Depth=1
	s_andn2_saveexec_b64 s[0:1], s[68:69]
	s_cbranch_execz .LBB7_35
; %bb.34:                               ;   in Loop: Header=BB7_3 Depth=1
	v_rcp_iflag_f32_e32 v3, v33
	s_sub_i32 s68, 0, s64
	v_mul_f32_e32 v3, 0x4f7ffffe, v3
	v_cvt_u32_f32_e32 v3, v3
	v_mul_lo_u32 v26, s68, v3
	v_mul_hi_u32 v26, v3, v26
	v_add_u32_e32 v3, v3, v26
	v_mul_hi_u32 v3, v22, v3
	v_mul_lo_u32 v26, v3, s64
	v_sub_u32_e32 v26, v22, v26
	v_add_u32_e32 v27, 1, v3
	v_subrev_u32_e32 v34, s64, v26
	v_cmp_le_u32_e32 vcc, s64, v26
	v_cndmask_b32_e32 v26, v26, v34, vcc
	v_cndmask_b32_e32 v3, v3, v27, vcc
	v_add_u32_e32 v27, 1, v3
	v_cmp_le_u32_e32 vcc, s64, v26
	v_cndmask_b32_e32 v26, v3, v27, vcc
	v_mov_b32_e32 v27, v2
.LBB7_35:                               ;   in Loop: Header=BB7_3 Depth=1
	s_or_b64 exec, exec, s[0:1]
	v_mul_lo_u32 v3, v27, s64
	v_mul_lo_u32 v43, v26, s65
	v_mad_u64_u32 v[34:35], s[0:1], v26, s64, 0
	v_add3_u32 v3, v35, v43, v3
	v_sub_co_u32_e32 v34, vcc, v12, v34
	v_subb_co_u32_e32 v3, vcc, v13, v3, vcc
	v_add_co_u32_e32 v34, vcc, v0, v34
	v_addc_co_u32_e32 v3, vcc, v1, v3, vcc
	v_mul_lo_u32 v3, v3, s30
	v_mul_lo_u32 v43, v34, s31
	v_mad_u64_u32 v[34:35], s[0:1], v34, s30, 0
	v_add3_u32 v35, v35, v43, v3
	v_mul_lo_u32 v3, v27, s28
	v_mul_lo_u32 v43, v26, s29
	v_mad_u64_u32 v[26:27], s[0:1], v26, s28, 0
	v_add3_u32 v27, v27, v43, v3
	v_lshlrev_b64 v[26:27], 2, v[26:27]
	v_mov_b32_e32 v3, s37
	v_add_co_u32_e32 v43, vcc, s36, v26
	v_addc_co_u32_e32 v3, vcc, v3, v27, vcc
	v_lshlrev_b64 v[26:27], 2, v[34:35]
	v_add_co_u32_e32 v26, vcc, v43, v26
	v_addc_co_u32_e32 v27, vcc, v3, v27, vcc
	global_load_dword v43, v[26:27], off
	v_or_b32_e32 v3, s65, v25
	v_cmp_ne_u64_e32 vcc, 0, v[2:3]
                                        ; implicit-def: $vgpr26_vgpr27
	s_and_saveexec_b64 s[0:1], vcc
	s_xor_b64 s[68:69], exec, s[0:1]
	s_cbranch_execz .LBB7_37
; %bb.36:                               ;   in Loop: Header=BB7_3 Depth=1
	s_ashr_i32 s70, s65, 31
	s_add_u32 s0, s64, s70
	s_mov_b32 s71, s70
	s_addc_u32 s1, s65, s70
	s_xor_b64 s[72:73], s[0:1], s[70:71]
	v_cvt_f32_u32_e32 v3, s72
	v_cvt_f32_u32_e32 v26, s73
	s_sub_u32 s0, 0, s72
	s_subb_u32 s1, 0, s73
	v_mac_f32_e32 v3, 0x4f800000, v26
	v_rcp_f32_e32 v3, v3
	v_mul_f32_e32 v3, 0x5f7ffffc, v3
	v_mul_f32_e32 v26, 0x2f800000, v3
	v_trunc_f32_e32 v26, v26
	v_mac_f32_e32 v3, 0xcf800000, v26
	v_cvt_u32_f32_e32 v26, v26
	v_cvt_u32_f32_e32 v3, v3
	v_mul_lo_u32 v27, s0, v26
	v_mul_hi_u32 v34, s0, v3
	v_mul_lo_u32 v33, s1, v3
	v_add_u32_e32 v27, v34, v27
	v_mul_lo_u32 v35, s0, v3
	v_add_u32_e32 v27, v27, v33
	v_mul_lo_u32 v34, v3, v27
	v_mul_hi_u32 v44, v3, v35
	v_mul_hi_u32 v33, v3, v27
	v_add_co_u32_e32 v34, vcc, v44, v34
	v_addc_co_u32_e32 v33, vcc, 0, v33, vcc
	v_mul_hi_u32 v45, v26, v35
	v_mul_lo_u32 v35, v26, v35
	v_add_co_u32_e32 v34, vcc, v34, v35
	v_mul_hi_u32 v44, v26, v27
	v_addc_co_u32_e32 v33, vcc, v33, v45, vcc
	v_addc_co_u32_e32 v34, vcc, 0, v44, vcc
	v_mul_lo_u32 v27, v26, v27
	v_add_co_u32_e32 v27, vcc, v33, v27
	v_addc_co_u32_e32 v33, vcc, 0, v34, vcc
	v_add_co_u32_e32 v3, vcc, v3, v27
	v_addc_co_u32_e32 v26, vcc, v26, v33, vcc
	v_mul_lo_u32 v27, s0, v26
	v_mul_hi_u32 v33, s0, v3
	v_add_u32_e32 v27, v33, v27
	v_mul_lo_u32 v33, s1, v3
	v_add_u32_e32 v27, v27, v33
	v_mul_lo_u32 v34, s0, v3
	v_mul_hi_u32 v35, v26, v34
	v_mul_lo_u32 v44, v26, v34
	v_mul_lo_u32 v46, v3, v27
	v_mul_hi_u32 v34, v3, v34
	v_mul_hi_u32 v45, v3, v27
	v_add_co_u32_e32 v34, vcc, v34, v46
	v_addc_co_u32_e32 v45, vcc, 0, v45, vcc
	v_add_co_u32_e32 v34, vcc, v34, v44
	v_mul_hi_u32 v33, v26, v27
	v_addc_co_u32_e32 v34, vcc, v45, v35, vcc
	v_addc_co_u32_e32 v33, vcc, 0, v33, vcc
	v_mul_lo_u32 v27, v26, v27
	v_add_co_u32_e32 v27, vcc, v34, v27
	v_addc_co_u32_e32 v33, vcc, 0, v33, vcc
	v_add_co_u32_e32 v3, vcc, v3, v27
	v_addc_co_u32_e32 v33, vcc, v26, v33, vcc
	;; [unrolled: 2-line block ×3, first 2 shown]
	v_xor_b32_e32 v45, v26, v31
	v_xor_b32_e32 v44, v27, v31
	v_mad_u64_u32 v[26:27], s[0:1], v45, v33, 0
	v_mul_hi_u32 v34, v45, v3
	v_add_co_u32_e32 v46, vcc, v34, v26
	v_addc_co_u32_e32 v47, vcc, 0, v27, vcc
	v_mad_u64_u32 v[34:35], s[0:1], v44, v3, 0
	v_add_co_u32_e32 v3, vcc, v46, v34
	v_mad_u64_u32 v[26:27], s[0:1], v44, v33, 0
	v_addc_co_u32_e32 v3, vcc, v47, v35, vcc
	v_addc_co_u32_e32 v27, vcc, 0, v27, vcc
	v_add_co_u32_e32 v3, vcc, v3, v26
	v_addc_co_u32_e32 v33, vcc, 0, v27, vcc
	v_mul_lo_u32 v34, s73, v3
	v_mul_lo_u32 v35, s72, v33
	v_mad_u64_u32 v[26:27], s[0:1], s72, v3, 0
	v_add3_u32 v27, v27, v35, v34
	v_sub_u32_e32 v34, v44, v27
	v_mov_b32_e32 v35, s73
	v_sub_co_u32_e32 v26, vcc, v45, v26
	v_subb_co_u32_e64 v34, s[0:1], v34, v35, vcc
	v_subrev_co_u32_e64 v35, s[0:1], s72, v26
	v_subbrev_co_u32_e64 v34, s[0:1], 0, v34, s[0:1]
	v_cmp_le_u32_e64 s[0:1], s73, v34
	v_cndmask_b32_e64 v45, 0, -1, s[0:1]
	v_cmp_le_u32_e64 s[0:1], s72, v35
	v_cndmask_b32_e64 v35, 0, -1, s[0:1]
	v_cmp_eq_u32_e64 s[0:1], s73, v34
	v_cndmask_b32_e64 v34, v45, v35, s[0:1]
	v_add_co_u32_e64 v35, s[0:1], 2, v3
	v_subb_co_u32_e32 v27, vcc, v44, v27, vcc
	v_addc_co_u32_e64 v45, s[0:1], 0, v33, s[0:1]
	v_cmp_le_u32_e32 vcc, s73, v27
	v_add_co_u32_e64 v46, s[0:1], 1, v3
	v_cndmask_b32_e64 v44, 0, -1, vcc
	v_cmp_le_u32_e32 vcc, s72, v26
	v_addc_co_u32_e64 v47, s[0:1], 0, v33, s[0:1]
	v_cndmask_b32_e64 v26, 0, -1, vcc
	v_cmp_eq_u32_e32 vcc, s73, v27
	v_cmp_ne_u32_e64 s[0:1], 0, v34
	v_cndmask_b32_e32 v26, v44, v26, vcc
	v_cmp_ne_u32_e32 vcc, 0, v26
	v_cndmask_b32_e64 v27, v46, v35, s[0:1]
	v_cndmask_b32_e64 v34, v47, v45, s[0:1]
	v_cndmask_b32_e32 v3, v3, v27, vcc
	v_xor_b32_e32 v27, s70, v31
	v_cndmask_b32_e32 v26, v33, v34, vcc
	v_xor_b32_e32 v3, v3, v27
	v_xor_b32_e32 v33, v26, v27
	v_sub_co_u32_e32 v26, vcc, v3, v27
	v_subb_co_u32_e32 v27, vcc, v33, v27, vcc
                                        ; implicit-def: $vgpr33
.LBB7_37:                               ;   in Loop: Header=BB7_3 Depth=1
	s_andn2_saveexec_b64 s[0:1], s[68:69]
	s_cbranch_execz .LBB7_39
; %bb.38:                               ;   in Loop: Header=BB7_3 Depth=1
	v_rcp_iflag_f32_e32 v3, v33
	s_sub_i32 s68, 0, s64
	v_mul_f32_e32 v3, 0x4f7ffffe, v3
	v_cvt_u32_f32_e32 v3, v3
	v_mul_lo_u32 v26, s68, v3
	v_mul_hi_u32 v26, v3, v26
	v_add_u32_e32 v3, v3, v26
	v_mul_hi_u32 v3, v24, v3
	v_mul_lo_u32 v26, v3, s64
	v_sub_u32_e32 v26, v24, v26
	v_add_u32_e32 v27, 1, v3
	v_subrev_u32_e32 v33, s64, v26
	v_cmp_le_u32_e32 vcc, s64, v26
	v_cndmask_b32_e32 v26, v26, v33, vcc
	v_cndmask_b32_e32 v3, v3, v27, vcc
	v_add_u32_e32 v27, 1, v3
	v_cmp_le_u32_e32 vcc, s64, v26
	v_cndmask_b32_e32 v26, v3, v27, vcc
	v_mov_b32_e32 v27, v2
.LBB7_39:                               ;   in Loop: Header=BB7_3 Depth=1
	s_or_b64 exec, exec, s[0:1]
	v_mul_lo_u32 v3, v27, s64
	v_mul_lo_u32 v33, v26, s65
	v_mad_u64_u32 v[34:35], s[0:1], v26, s64, 0
	v_add3_u32 v3, v35, v33, v3
	v_sub_co_u32_e32 v33, vcc, v14, v34
	v_subb_co_u32_e32 v3, vcc, v15, v3, vcc
	v_add_co_u32_e32 v33, vcc, v0, v33
	v_addc_co_u32_e32 v3, vcc, v1, v3, vcc
	v_mul_lo_u32 v3, v3, s30
	v_mul_lo_u32 v44, v33, s31
	v_mad_u64_u32 v[34:35], s[0:1], v33, s30, 0
	v_add3_u32 v35, v35, v44, v3
	v_mul_lo_u32 v3, v27, s28
	v_mul_lo_u32 v33, v26, s29
	v_mad_u64_u32 v[26:27], s[0:1], v26, s28, 0
	v_add3_u32 v27, v27, v33, v3
	v_lshlrev_b64 v[26:27], 2, v[26:27]
	v_mov_b32_e32 v3, s37
	v_add_co_u32_e32 v33, vcc, s36, v26
	v_addc_co_u32_e32 v3, vcc, v3, v27, vcc
	v_lshlrev_b64 v[26:27], 2, v[34:35]
	v_add_co_u32_e32 v26, vcc, v33, v26
	v_addc_co_u32_e32 v27, vcc, v3, v27, vcc
	global_load_dword v44, v[26:27], off
	v_or_b32_e32 v3, s61, v19
	v_cmp_ne_u64_e32 vcc, 0, v[2:3]
                                        ; implicit-def: $vgpr26_vgpr27
	s_and_saveexec_b64 s[0:1], vcc
	s_xor_b64 s[68:69], exec, s[0:1]
	s_cbranch_execz .LBB7_41
; %bb.40:                               ;   in Loop: Header=BB7_3 Depth=1
	s_ashr_i32 s70, s61, 31
	s_add_u32 s0, s60, s70
	s_mov_b32 s71, s70
	s_addc_u32 s1, s61, s70
	s_xor_b64 s[72:73], s[0:1], s[70:71]
	v_cvt_f32_u32_e32 v3, s72
	v_cvt_f32_u32_e32 v26, s73
	s_sub_u32 s0, 0, s72
	s_subb_u32 s1, 0, s73
	v_mac_f32_e32 v3, 0x4f800000, v26
	v_rcp_f32_e32 v3, v3
	v_mul_f32_e32 v3, 0x5f7ffffc, v3
	v_mul_f32_e32 v26, 0x2f800000, v3
	v_trunc_f32_e32 v26, v26
	v_mac_f32_e32 v3, 0xcf800000, v26
	v_cvt_u32_f32_e32 v26, v26
	v_cvt_u32_f32_e32 v3, v3
	v_mul_lo_u32 v27, s0, v26
	v_mul_hi_u32 v34, s0, v3
	v_mul_lo_u32 v33, s1, v3
	v_add_u32_e32 v27, v34, v27
	v_mul_lo_u32 v35, s0, v3
	v_add_u32_e32 v27, v27, v33
	v_mul_lo_u32 v34, v3, v27
	v_mul_hi_u32 v45, v3, v35
	v_mul_hi_u32 v33, v3, v27
	v_add_co_u32_e32 v34, vcc, v45, v34
	v_addc_co_u32_e32 v33, vcc, 0, v33, vcc
	v_mul_hi_u32 v46, v26, v35
	v_mul_lo_u32 v35, v26, v35
	v_add_co_u32_e32 v34, vcc, v34, v35
	v_mul_hi_u32 v45, v26, v27
	v_addc_co_u32_e32 v33, vcc, v33, v46, vcc
	v_addc_co_u32_e32 v34, vcc, 0, v45, vcc
	v_mul_lo_u32 v27, v26, v27
	v_add_co_u32_e32 v27, vcc, v33, v27
	v_addc_co_u32_e32 v33, vcc, 0, v34, vcc
	v_add_co_u32_e32 v3, vcc, v3, v27
	v_addc_co_u32_e32 v26, vcc, v26, v33, vcc
	v_mul_lo_u32 v27, s0, v26
	v_mul_hi_u32 v33, s0, v3
	v_add_u32_e32 v27, v33, v27
	v_mul_lo_u32 v33, s1, v3
	v_add_u32_e32 v27, v27, v33
	v_mul_lo_u32 v34, s0, v3
	v_mul_hi_u32 v35, v26, v34
	v_mul_lo_u32 v45, v26, v34
	v_mul_lo_u32 v47, v3, v27
	v_mul_hi_u32 v34, v3, v34
	v_mul_hi_u32 v46, v3, v27
	v_add_co_u32_e32 v34, vcc, v34, v47
	v_addc_co_u32_e32 v46, vcc, 0, v46, vcc
	v_add_co_u32_e32 v34, vcc, v34, v45
	v_mul_hi_u32 v33, v26, v27
	v_addc_co_u32_e32 v34, vcc, v46, v35, vcc
	v_addc_co_u32_e32 v33, vcc, 0, v33, vcc
	v_mul_lo_u32 v27, v26, v27
	v_add_co_u32_e32 v27, vcc, v34, v27
	v_addc_co_u32_e32 v33, vcc, 0, v33, vcc
	v_add_co_u32_e32 v3, vcc, v3, v27
	v_addc_co_u32_e32 v26, vcc, v26, v33, vcc
	;; [unrolled: 2-line block ×3, first 2 shown]
	v_xor_b32_e32 v34, v18, v28
	v_xor_b32_e32 v33, v19, v28
	v_mad_u64_u32 v[18:19], s[0:1], v34, v26, 0
	v_mul_hi_u32 v27, v34, v3
	v_add_co_u32_e32 v35, vcc, v27, v18
	v_addc_co_u32_e32 v45, vcc, 0, v19, vcc
	v_mad_u64_u32 v[18:19], s[0:1], v33, v26, 0
	v_mad_u64_u32 v[26:27], s[0:1], v33, v3, 0
	v_add_co_u32_e32 v3, vcc, v35, v26
	v_addc_co_u32_e32 v3, vcc, v45, v27, vcc
	v_addc_co_u32_e32 v19, vcc, 0, v19, vcc
	v_add_co_u32_e32 v3, vcc, v3, v18
	v_addc_co_u32_e32 v26, vcc, 0, v19, vcc
	v_mul_lo_u32 v27, s73, v3
	v_mul_lo_u32 v35, s72, v26
	v_mad_u64_u32 v[18:19], s[0:1], s72, v3, 0
	v_add3_u32 v19, v19, v35, v27
	v_sub_u32_e32 v27, v33, v19
	v_mov_b32_e32 v35, s73
	v_sub_co_u32_e32 v18, vcc, v34, v18
	v_subb_co_u32_e64 v27, s[0:1], v27, v35, vcc
	v_subrev_co_u32_e64 v34, s[0:1], s72, v18
	v_subbrev_co_u32_e64 v27, s[0:1], 0, v27, s[0:1]
	v_cmp_le_u32_e64 s[0:1], s73, v27
	v_cndmask_b32_e64 v35, 0, -1, s[0:1]
	v_cmp_le_u32_e64 s[0:1], s72, v34
	v_cndmask_b32_e64 v34, 0, -1, s[0:1]
	v_cmp_eq_u32_e64 s[0:1], s73, v27
	v_cndmask_b32_e64 v27, v35, v34, s[0:1]
	v_add_co_u32_e64 v34, s[0:1], 2, v3
	v_subb_co_u32_e32 v19, vcc, v33, v19, vcc
	v_addc_co_u32_e64 v35, s[0:1], 0, v26, s[0:1]
	v_cmp_le_u32_e32 vcc, s73, v19
	v_add_co_u32_e64 v45, s[0:1], 1, v3
	v_cndmask_b32_e64 v33, 0, -1, vcc
	v_cmp_le_u32_e32 vcc, s72, v18
	v_addc_co_u32_e64 v46, s[0:1], 0, v26, s[0:1]
	v_cndmask_b32_e64 v18, 0, -1, vcc
	v_cmp_eq_u32_e32 vcc, s73, v19
	v_cmp_ne_u32_e64 s[0:1], 0, v27
	v_cndmask_b32_e32 v18, v33, v18, vcc
	v_cmp_ne_u32_e32 vcc, 0, v18
	v_cndmask_b32_e64 v19, v45, v34, s[0:1]
	v_cndmask_b32_e64 v27, v46, v35, s[0:1]
	v_cndmask_b32_e32 v3, v3, v19, vcc
	v_xor_b32_e32 v19, s70, v28
	v_cndmask_b32_e32 v18, v26, v27, vcc
	v_xor_b32_e32 v3, v3, v19
	v_xor_b32_e32 v18, v18, v19
	v_sub_co_u32_e32 v26, vcc, v3, v19
	v_subb_co_u32_e32 v27, vcc, v18, v19, vcc
                                        ; implicit-def: $vgpr18_vgpr19
.LBB7_41:                               ;   in Loop: Header=BB7_3 Depth=1
	s_or_saveexec_b64 s[0:1], s[68:69]
	v_cvt_f32_u32_e32 v28, s60
	s_xor_b64 exec, exec, s[0:1]
	s_cbranch_execz .LBB7_43
; %bb.42:                               ;   in Loop: Header=BB7_3 Depth=1
	v_rcp_iflag_f32_e32 v3, v28
	s_sub_i32 s68, 0, s60
	v_mov_b32_e32 v27, v2
	v_mul_f32_e32 v3, 0x4f7ffffe, v3
	v_cvt_u32_f32_e32 v3, v3
	v_mul_lo_u32 v19, s68, v3
	v_mul_hi_u32 v19, v3, v19
	v_add_u32_e32 v3, v3, v19
	v_mul_hi_u32 v3, v18, v3
	v_mul_lo_u32 v19, v3, s60
	v_sub_u32_e32 v18, v18, v19
	v_add_u32_e32 v26, 1, v3
	v_subrev_u32_e32 v19, s60, v18
	v_cmp_le_u32_e32 vcc, s60, v18
	v_cndmask_b32_e32 v18, v18, v19, vcc
	v_cndmask_b32_e32 v3, v3, v26, vcc
	v_add_u32_e32 v19, 1, v3
	v_cmp_le_u32_e32 vcc, s60, v18
	v_cndmask_b32_e32 v26, v3, v19, vcc
.LBB7_43:                               ;   in Loop: Header=BB7_3 Depth=1
	s_or_b64 exec, exec, s[0:1]
	v_or_b32_e32 v3, s61, v21
	v_cmp_ne_u64_e32 vcc, 0, v[2:3]
                                        ; implicit-def: $vgpr18_vgpr19
	s_and_saveexec_b64 s[0:1], vcc
	s_xor_b64 s[68:69], exec, s[0:1]
	s_cbranch_execz .LBB7_45
; %bb.44:                               ;   in Loop: Header=BB7_3 Depth=1
	s_ashr_i32 s70, s61, 31
	s_add_u32 s0, s60, s70
	s_mov_b32 s71, s70
	s_addc_u32 s1, s61, s70
	s_xor_b64 s[72:73], s[0:1], s[70:71]
	v_cvt_f32_u32_e32 v3, s72
	v_cvt_f32_u32_e32 v18, s73
	s_sub_u32 s0, 0, s72
	s_subb_u32 s1, 0, s73
	v_mac_f32_e32 v3, 0x4f800000, v18
	v_rcp_f32_e32 v3, v3
	v_mul_f32_e32 v3, 0x5f7ffffc, v3
	v_mul_f32_e32 v18, 0x2f800000, v3
	v_trunc_f32_e32 v18, v18
	v_mac_f32_e32 v3, 0xcf800000, v18
	v_cvt_u32_f32_e32 v18, v18
	v_cvt_u32_f32_e32 v3, v3
	v_mul_lo_u32 v19, s0, v18
	v_mul_hi_u32 v34, s0, v3
	v_mul_lo_u32 v33, s1, v3
	v_add_u32_e32 v19, v34, v19
	v_mul_lo_u32 v35, s0, v3
	v_add_u32_e32 v19, v19, v33
	v_mul_lo_u32 v34, v3, v19
	v_mul_hi_u32 v45, v3, v35
	v_mul_hi_u32 v33, v3, v19
	v_add_co_u32_e32 v34, vcc, v45, v34
	v_addc_co_u32_e32 v33, vcc, 0, v33, vcc
	v_mul_hi_u32 v46, v18, v35
	v_mul_lo_u32 v35, v18, v35
	v_add_co_u32_e32 v34, vcc, v34, v35
	v_mul_hi_u32 v45, v18, v19
	v_addc_co_u32_e32 v33, vcc, v33, v46, vcc
	v_addc_co_u32_e32 v34, vcc, 0, v45, vcc
	v_mul_lo_u32 v19, v18, v19
	v_add_co_u32_e32 v19, vcc, v33, v19
	v_addc_co_u32_e32 v33, vcc, 0, v34, vcc
	v_add_co_u32_e32 v3, vcc, v3, v19
	v_addc_co_u32_e32 v18, vcc, v18, v33, vcc
	v_mul_lo_u32 v19, s0, v18
	v_mul_hi_u32 v33, s0, v3
	v_add_u32_e32 v19, v33, v19
	v_mul_lo_u32 v33, s1, v3
	v_add_u32_e32 v19, v19, v33
	v_mul_lo_u32 v34, s0, v3
	v_mul_hi_u32 v35, v18, v34
	v_mul_lo_u32 v45, v18, v34
	v_mul_lo_u32 v47, v3, v19
	v_mul_hi_u32 v34, v3, v34
	v_mul_hi_u32 v46, v3, v19
	v_add_co_u32_e32 v34, vcc, v34, v47
	v_addc_co_u32_e32 v46, vcc, 0, v46, vcc
	v_add_co_u32_e32 v34, vcc, v34, v45
	v_mul_hi_u32 v33, v18, v19
	v_addc_co_u32_e32 v34, vcc, v46, v35, vcc
	v_addc_co_u32_e32 v33, vcc, 0, v33, vcc
	v_mul_lo_u32 v19, v18, v19
	v_add_co_u32_e32 v19, vcc, v34, v19
	v_addc_co_u32_e32 v33, vcc, 0, v33, vcc
	v_add_co_u32_e32 v3, vcc, v3, v19
	v_addc_co_u32_e32 v33, vcc, v18, v33, vcc
	;; [unrolled: 2-line block ×3, first 2 shown]
	v_xor_b32_e32 v35, v18, v29
	v_xor_b32_e32 v34, v19, v29
	v_mad_u64_u32 v[18:19], s[0:1], v35, v33, 0
	v_mul_hi_u32 v20, v35, v3
	v_add_co_u32_e32 v45, vcc, v20, v18
	v_addc_co_u32_e32 v46, vcc, 0, v19, vcc
	v_mad_u64_u32 v[20:21], s[0:1], v34, v3, 0
	v_add_co_u32_e32 v3, vcc, v45, v20
	v_mad_u64_u32 v[18:19], s[0:1], v34, v33, 0
	v_addc_co_u32_e32 v3, vcc, v46, v21, vcc
	v_addc_co_u32_e32 v19, vcc, 0, v19, vcc
	v_add_co_u32_e32 v3, vcc, v3, v18
	v_addc_co_u32_e32 v20, vcc, 0, v19, vcc
	v_mul_lo_u32 v21, s73, v3
	v_mul_lo_u32 v33, s72, v20
	v_mad_u64_u32 v[18:19], s[0:1], s72, v3, 0
	v_add3_u32 v19, v19, v33, v21
	v_sub_u32_e32 v21, v34, v19
	v_mov_b32_e32 v33, s73
	v_sub_co_u32_e32 v18, vcc, v35, v18
	v_subb_co_u32_e64 v21, s[0:1], v21, v33, vcc
	v_subrev_co_u32_e64 v33, s[0:1], s72, v18
	v_subbrev_co_u32_e64 v21, s[0:1], 0, v21, s[0:1]
	v_cmp_le_u32_e64 s[0:1], s73, v21
	v_cndmask_b32_e64 v35, 0, -1, s[0:1]
	v_cmp_le_u32_e64 s[0:1], s72, v33
	v_cndmask_b32_e64 v33, 0, -1, s[0:1]
	v_cmp_eq_u32_e64 s[0:1], s73, v21
	v_cndmask_b32_e64 v21, v35, v33, s[0:1]
	v_add_co_u32_e64 v33, s[0:1], 2, v3
	v_subb_co_u32_e32 v19, vcc, v34, v19, vcc
	v_addc_co_u32_e64 v35, s[0:1], 0, v20, s[0:1]
	v_cmp_le_u32_e32 vcc, s73, v19
	v_add_co_u32_e64 v45, s[0:1], 1, v3
	v_cndmask_b32_e64 v34, 0, -1, vcc
	v_cmp_le_u32_e32 vcc, s72, v18
	v_addc_co_u32_e64 v46, s[0:1], 0, v20, s[0:1]
	v_cndmask_b32_e64 v18, 0, -1, vcc
	v_cmp_eq_u32_e32 vcc, s73, v19
	v_cmp_ne_u32_e64 s[0:1], 0, v21
	v_cndmask_b32_e32 v18, v34, v18, vcc
	v_cmp_ne_u32_e32 vcc, 0, v18
	v_cndmask_b32_e64 v19, v45, v33, s[0:1]
	v_cndmask_b32_e64 v21, v46, v35, s[0:1]
	v_cndmask_b32_e32 v3, v3, v19, vcc
	v_xor_b32_e32 v19, s70, v29
	v_cndmask_b32_e32 v18, v20, v21, vcc
	v_xor_b32_e32 v3, v3, v19
	v_xor_b32_e32 v20, v18, v19
	v_sub_co_u32_e32 v18, vcc, v3, v19
	v_subb_co_u32_e32 v19, vcc, v20, v19, vcc
                                        ; implicit-def: $vgpr20_vgpr21
.LBB7_45:                               ;   in Loop: Header=BB7_3 Depth=1
	s_andn2_saveexec_b64 s[0:1], s[68:69]
	s_cbranch_execz .LBB7_47
; %bb.46:                               ;   in Loop: Header=BB7_3 Depth=1
	v_rcp_iflag_f32_e32 v3, v28
	s_sub_i32 s68, 0, s60
	v_mul_f32_e32 v3, 0x4f7ffffe, v3
	v_cvt_u32_f32_e32 v3, v3
	v_mul_lo_u32 v18, s68, v3
	v_mul_hi_u32 v18, v3, v18
	v_add_u32_e32 v3, v3, v18
	v_mul_hi_u32 v3, v20, v3
	v_mul_lo_u32 v18, v3, s60
	v_sub_u32_e32 v18, v20, v18
	v_add_u32_e32 v19, 1, v3
	v_subrev_u32_e32 v20, s60, v18
	v_cmp_le_u32_e32 vcc, s60, v18
	v_cndmask_b32_e32 v18, v18, v20, vcc
	v_cndmask_b32_e32 v3, v3, v19, vcc
	v_add_u32_e32 v19, 1, v3
	v_cmp_le_u32_e32 vcc, s60, v18
	v_cndmask_b32_e32 v18, v3, v19, vcc
	v_mov_b32_e32 v19, v2
.LBB7_47:                               ;   in Loop: Header=BB7_3 Depth=1
	s_or_b64 exec, exec, s[0:1]
	v_or_b32_e32 v3, s61, v23
	v_cmp_ne_u64_e32 vcc, 0, v[2:3]
                                        ; implicit-def: $vgpr20_vgpr21
	s_and_saveexec_b64 s[0:1], vcc
	s_xor_b64 s[68:69], exec, s[0:1]
	s_cbranch_execz .LBB7_49
; %bb.48:                               ;   in Loop: Header=BB7_3 Depth=1
	s_ashr_i32 s70, s61, 31
	s_add_u32 s0, s60, s70
	s_mov_b32 s71, s70
	s_addc_u32 s1, s61, s70
	s_xor_b64 s[72:73], s[0:1], s[70:71]
	v_cvt_f32_u32_e32 v3, s72
	v_cvt_f32_u32_e32 v20, s73
	s_sub_u32 s0, 0, s72
	s_subb_u32 s1, 0, s73
	v_mac_f32_e32 v3, 0x4f800000, v20
	v_rcp_f32_e32 v3, v3
	v_mul_f32_e32 v3, 0x5f7ffffc, v3
	v_mul_f32_e32 v20, 0x2f800000, v3
	v_trunc_f32_e32 v20, v20
	v_mac_f32_e32 v3, 0xcf800000, v20
	v_cvt_u32_f32_e32 v20, v20
	v_cvt_u32_f32_e32 v3, v3
	v_mul_lo_u32 v21, s0, v20
	v_mul_hi_u32 v33, s0, v3
	v_mul_lo_u32 v29, s1, v3
	v_add_u32_e32 v21, v33, v21
	v_mul_lo_u32 v34, s0, v3
	v_add_u32_e32 v21, v21, v29
	v_mul_lo_u32 v33, v3, v21
	v_mul_hi_u32 v35, v3, v34
	v_mul_hi_u32 v29, v3, v21
	v_add_co_u32_e32 v33, vcc, v35, v33
	v_addc_co_u32_e32 v29, vcc, 0, v29, vcc
	v_mul_hi_u32 v45, v20, v34
	v_mul_lo_u32 v34, v20, v34
	v_add_co_u32_e32 v33, vcc, v33, v34
	v_mul_hi_u32 v35, v20, v21
	v_addc_co_u32_e32 v29, vcc, v29, v45, vcc
	v_addc_co_u32_e32 v33, vcc, 0, v35, vcc
	v_mul_lo_u32 v21, v20, v21
	v_add_co_u32_e32 v21, vcc, v29, v21
	v_addc_co_u32_e32 v29, vcc, 0, v33, vcc
	v_add_co_u32_e32 v3, vcc, v3, v21
	v_addc_co_u32_e32 v20, vcc, v20, v29, vcc
	v_mul_lo_u32 v21, s0, v20
	v_mul_hi_u32 v29, s0, v3
	v_add_u32_e32 v21, v29, v21
	v_mul_lo_u32 v29, s1, v3
	v_add_u32_e32 v21, v21, v29
	v_mul_lo_u32 v33, s0, v3
	v_mul_hi_u32 v34, v20, v33
	v_mul_lo_u32 v35, v20, v33
	v_mul_lo_u32 v46, v3, v21
	v_mul_hi_u32 v33, v3, v33
	v_mul_hi_u32 v45, v3, v21
	v_add_co_u32_e32 v33, vcc, v33, v46
	v_addc_co_u32_e32 v45, vcc, 0, v45, vcc
	v_add_co_u32_e32 v33, vcc, v33, v35
	v_mul_hi_u32 v29, v20, v21
	v_addc_co_u32_e32 v33, vcc, v45, v34, vcc
	v_addc_co_u32_e32 v29, vcc, 0, v29, vcc
	v_mul_lo_u32 v21, v20, v21
	v_add_co_u32_e32 v21, vcc, v33, v21
	v_addc_co_u32_e32 v29, vcc, 0, v29, vcc
	v_add_co_u32_e32 v3, vcc, v3, v21
	v_addc_co_u32_e32 v29, vcc, v20, v29, vcc
	;; [unrolled: 2-line block ×3, first 2 shown]
	v_xor_b32_e32 v34, v20, v30
	v_xor_b32_e32 v33, v21, v30
	v_mad_u64_u32 v[20:21], s[0:1], v34, v29, 0
	v_mul_hi_u32 v22, v34, v3
	v_add_co_u32_e32 v35, vcc, v22, v20
	v_addc_co_u32_e32 v45, vcc, 0, v21, vcc
	v_mad_u64_u32 v[22:23], s[0:1], v33, v3, 0
	v_add_co_u32_e32 v3, vcc, v35, v22
	v_mad_u64_u32 v[20:21], s[0:1], v33, v29, 0
	v_addc_co_u32_e32 v3, vcc, v45, v23, vcc
	v_addc_co_u32_e32 v21, vcc, 0, v21, vcc
	v_add_co_u32_e32 v3, vcc, v3, v20
	v_addc_co_u32_e32 v22, vcc, 0, v21, vcc
	v_mul_lo_u32 v23, s73, v3
	v_mul_lo_u32 v29, s72, v22
	v_mad_u64_u32 v[20:21], s[0:1], s72, v3, 0
	v_add3_u32 v21, v21, v29, v23
	v_sub_u32_e32 v23, v33, v21
	v_mov_b32_e32 v29, s73
	v_sub_co_u32_e32 v20, vcc, v34, v20
	v_subb_co_u32_e64 v23, s[0:1], v23, v29, vcc
	v_subrev_co_u32_e64 v29, s[0:1], s72, v20
	v_subbrev_co_u32_e64 v23, s[0:1], 0, v23, s[0:1]
	v_cmp_le_u32_e64 s[0:1], s73, v23
	v_cndmask_b32_e64 v34, 0, -1, s[0:1]
	v_cmp_le_u32_e64 s[0:1], s72, v29
	v_cndmask_b32_e64 v29, 0, -1, s[0:1]
	v_cmp_eq_u32_e64 s[0:1], s73, v23
	v_cndmask_b32_e64 v23, v34, v29, s[0:1]
	v_add_co_u32_e64 v29, s[0:1], 2, v3
	v_subb_co_u32_e32 v21, vcc, v33, v21, vcc
	v_addc_co_u32_e64 v34, s[0:1], 0, v22, s[0:1]
	v_cmp_le_u32_e32 vcc, s73, v21
	v_add_co_u32_e64 v35, s[0:1], 1, v3
	v_cndmask_b32_e64 v33, 0, -1, vcc
	v_cmp_le_u32_e32 vcc, s72, v20
	v_addc_co_u32_e64 v45, s[0:1], 0, v22, s[0:1]
	v_cndmask_b32_e64 v20, 0, -1, vcc
	v_cmp_eq_u32_e32 vcc, s73, v21
	v_cmp_ne_u32_e64 s[0:1], 0, v23
	v_cndmask_b32_e32 v20, v33, v20, vcc
	v_cmp_ne_u32_e32 vcc, 0, v20
	v_cndmask_b32_e64 v21, v35, v29, s[0:1]
	v_cndmask_b32_e64 v23, v45, v34, s[0:1]
	v_cndmask_b32_e32 v3, v3, v21, vcc
	v_xor_b32_e32 v21, s70, v30
	v_cndmask_b32_e32 v20, v22, v23, vcc
	v_xor_b32_e32 v3, v3, v21
	v_xor_b32_e32 v22, v20, v21
	v_sub_co_u32_e32 v20, vcc, v3, v21
	v_subb_co_u32_e32 v21, vcc, v22, v21, vcc
                                        ; implicit-def: $vgpr22_vgpr23
.LBB7_49:                               ;   in Loop: Header=BB7_3 Depth=1
	s_andn2_saveexec_b64 s[0:1], s[68:69]
	s_cbranch_execz .LBB7_51
; %bb.50:                               ;   in Loop: Header=BB7_3 Depth=1
	v_rcp_iflag_f32_e32 v3, v28
	s_sub_i32 s68, 0, s60
	v_mul_f32_e32 v3, 0x4f7ffffe, v3
	v_cvt_u32_f32_e32 v3, v3
	v_mul_lo_u32 v20, s68, v3
	v_mul_hi_u32 v20, v3, v20
	v_add_u32_e32 v3, v3, v20
	v_mul_hi_u32 v3, v22, v3
	v_mul_lo_u32 v20, v3, s60
	v_sub_u32_e32 v20, v22, v20
	v_add_u32_e32 v21, 1, v3
	v_subrev_u32_e32 v22, s60, v20
	v_cmp_le_u32_e32 vcc, s60, v20
	v_cndmask_b32_e32 v20, v20, v22, vcc
	v_cndmask_b32_e32 v3, v3, v21, vcc
	v_add_u32_e32 v21, 1, v3
	v_cmp_le_u32_e32 vcc, s60, v20
	v_cndmask_b32_e32 v20, v3, v21, vcc
	v_mov_b32_e32 v21, v2
.LBB7_51:                               ;   in Loop: Header=BB7_3 Depth=1
	s_or_b64 exec, exec, s[0:1]
	v_or_b32_e32 v3, s61, v25
	v_cmp_ne_u64_e32 vcc, 0, v[2:3]
                                        ; implicit-def: $vgpr22_vgpr23
	s_and_saveexec_b64 s[0:1], vcc
	s_xor_b64 s[68:69], exec, s[0:1]
	s_cbranch_execz .LBB7_53
; %bb.52:                               ;   in Loop: Header=BB7_3 Depth=1
	s_ashr_i32 s70, s61, 31
	s_add_u32 s0, s60, s70
	s_mov_b32 s71, s70
	s_addc_u32 s1, s61, s70
	s_xor_b64 s[72:73], s[0:1], s[70:71]
	v_cvt_f32_u32_e32 v3, s72
	v_cvt_f32_u32_e32 v22, s73
	s_sub_u32 s0, 0, s72
	s_subb_u32 s1, 0, s73
	v_mac_f32_e32 v3, 0x4f800000, v22
	v_rcp_f32_e32 v3, v3
	v_mul_f32_e32 v3, 0x5f7ffffc, v3
	v_mul_f32_e32 v22, 0x2f800000, v3
	v_trunc_f32_e32 v22, v22
	v_mac_f32_e32 v3, 0xcf800000, v22
	v_cvt_u32_f32_e32 v22, v22
	v_cvt_u32_f32_e32 v3, v3
	v_mul_lo_u32 v23, s0, v22
	v_mul_hi_u32 v29, s0, v3
	v_mul_lo_u32 v28, s1, v3
	v_add_u32_e32 v23, v29, v23
	v_mul_lo_u32 v30, s0, v3
	v_add_u32_e32 v23, v23, v28
	v_mul_lo_u32 v29, v3, v23
	v_mul_hi_u32 v33, v3, v30
	v_mul_hi_u32 v28, v3, v23
	v_add_co_u32_e32 v29, vcc, v33, v29
	v_addc_co_u32_e32 v28, vcc, 0, v28, vcc
	v_mul_hi_u32 v34, v22, v30
	v_mul_lo_u32 v30, v22, v30
	v_add_co_u32_e32 v29, vcc, v29, v30
	v_mul_hi_u32 v33, v22, v23
	v_addc_co_u32_e32 v28, vcc, v28, v34, vcc
	v_addc_co_u32_e32 v29, vcc, 0, v33, vcc
	v_mul_lo_u32 v23, v22, v23
	v_add_co_u32_e32 v23, vcc, v28, v23
	v_addc_co_u32_e32 v28, vcc, 0, v29, vcc
	v_add_co_u32_e32 v3, vcc, v3, v23
	v_addc_co_u32_e32 v22, vcc, v22, v28, vcc
	v_mul_lo_u32 v23, s0, v22
	v_mul_hi_u32 v28, s0, v3
	v_add_u32_e32 v23, v28, v23
	v_mul_lo_u32 v28, s1, v3
	v_add_u32_e32 v23, v23, v28
	v_mul_lo_u32 v29, s0, v3
	v_mul_hi_u32 v30, v22, v29
	v_mul_lo_u32 v33, v22, v29
	v_mul_lo_u32 v35, v3, v23
	v_mul_hi_u32 v29, v3, v29
	v_mul_hi_u32 v34, v3, v23
	v_add_co_u32_e32 v29, vcc, v29, v35
	v_addc_co_u32_e32 v34, vcc, 0, v34, vcc
	v_add_co_u32_e32 v29, vcc, v29, v33
	v_mul_hi_u32 v28, v22, v23
	v_addc_co_u32_e32 v29, vcc, v34, v30, vcc
	v_addc_co_u32_e32 v28, vcc, 0, v28, vcc
	v_mul_lo_u32 v23, v22, v23
	v_add_co_u32_e32 v23, vcc, v29, v23
	v_addc_co_u32_e32 v28, vcc, 0, v28, vcc
	v_add_co_u32_e32 v3, vcc, v3, v23
	v_addc_co_u32_e32 v28, vcc, v22, v28, vcc
	;; [unrolled: 2-line block ×3, first 2 shown]
	v_xor_b32_e32 v30, v22, v31
	v_xor_b32_e32 v29, v23, v31
	v_mad_u64_u32 v[22:23], s[0:1], v30, v28, 0
	v_mul_hi_u32 v24, v30, v3
	v_add_co_u32_e32 v33, vcc, v24, v22
	v_addc_co_u32_e32 v34, vcc, 0, v23, vcc
	v_mad_u64_u32 v[24:25], s[0:1], v29, v3, 0
	v_add_co_u32_e32 v3, vcc, v33, v24
	v_mad_u64_u32 v[22:23], s[0:1], v29, v28, 0
	v_addc_co_u32_e32 v3, vcc, v34, v25, vcc
	v_addc_co_u32_e32 v23, vcc, 0, v23, vcc
	v_add_co_u32_e32 v3, vcc, v3, v22
	v_addc_co_u32_e32 v24, vcc, 0, v23, vcc
	v_mul_lo_u32 v25, s73, v3
	v_mul_lo_u32 v28, s72, v24
	v_mad_u64_u32 v[22:23], s[0:1], s72, v3, 0
	v_add3_u32 v23, v23, v28, v25
	v_sub_u32_e32 v25, v29, v23
	v_mov_b32_e32 v28, s73
	v_sub_co_u32_e32 v22, vcc, v30, v22
	v_subb_co_u32_e64 v25, s[0:1], v25, v28, vcc
	v_subrev_co_u32_e64 v28, s[0:1], s72, v22
	v_subbrev_co_u32_e64 v25, s[0:1], 0, v25, s[0:1]
	v_cmp_le_u32_e64 s[0:1], s73, v25
	v_cndmask_b32_e64 v30, 0, -1, s[0:1]
	v_cmp_le_u32_e64 s[0:1], s72, v28
	v_cndmask_b32_e64 v28, 0, -1, s[0:1]
	v_cmp_eq_u32_e64 s[0:1], s73, v25
	v_cndmask_b32_e64 v25, v30, v28, s[0:1]
	v_add_co_u32_e64 v28, s[0:1], 2, v3
	v_subb_co_u32_e32 v23, vcc, v29, v23, vcc
	v_addc_co_u32_e64 v30, s[0:1], 0, v24, s[0:1]
	v_cmp_le_u32_e32 vcc, s73, v23
	v_add_co_u32_e64 v33, s[0:1], 1, v3
	v_cndmask_b32_e64 v29, 0, -1, vcc
	v_cmp_le_u32_e32 vcc, s72, v22
	v_addc_co_u32_e64 v34, s[0:1], 0, v24, s[0:1]
	v_cndmask_b32_e64 v22, 0, -1, vcc
	v_cmp_eq_u32_e32 vcc, s73, v23
	v_cmp_ne_u32_e64 s[0:1], 0, v25
	v_cndmask_b32_e32 v22, v29, v22, vcc
	v_cmp_ne_u32_e32 vcc, 0, v22
	v_cndmask_b32_e64 v23, v33, v28, s[0:1]
	v_cndmask_b32_e64 v25, v34, v30, s[0:1]
	v_cndmask_b32_e32 v3, v3, v23, vcc
	v_xor_b32_e32 v23, s70, v31
	v_cndmask_b32_e32 v22, v24, v25, vcc
	v_xor_b32_e32 v3, v3, v23
	v_xor_b32_e32 v24, v22, v23
	v_sub_co_u32_e32 v22, vcc, v3, v23
	v_subb_co_u32_e32 v23, vcc, v24, v23, vcc
                                        ; implicit-def: $vgpr28
                                        ; implicit-def: $vgpr24_vgpr25
.LBB7_53:                               ;   in Loop: Header=BB7_3 Depth=1
	s_andn2_saveexec_b64 s[0:1], s[68:69]
	s_cbranch_execz .LBB7_55
; %bb.54:                               ;   in Loop: Header=BB7_3 Depth=1
	v_rcp_iflag_f32_e32 v3, v28
	s_sub_i32 s68, 0, s60
	v_mul_f32_e32 v3, 0x4f7ffffe, v3
	v_cvt_u32_f32_e32 v3, v3
	v_mul_lo_u32 v22, s68, v3
	v_mul_hi_u32 v22, v3, v22
	v_add_u32_e32 v3, v3, v22
	v_mul_hi_u32 v3, v24, v3
	v_mul_lo_u32 v22, v3, s60
	v_sub_u32_e32 v22, v24, v22
	v_add_u32_e32 v23, 1, v3
	v_subrev_u32_e32 v24, s60, v22
	v_cmp_le_u32_e32 vcc, s60, v22
	v_cndmask_b32_e32 v22, v22, v24, vcc
	v_cndmask_b32_e32 v3, v3, v23, vcc
	v_add_u32_e32 v23, 1, v3
	v_cmp_le_u32_e32 vcc, s60, v22
	v_cndmask_b32_e32 v22, v3, v23, vcc
	v_mov_b32_e32 v23, v2
.LBB7_55:                               ;   in Loop: Header=BB7_3 Depth=1
	s_or_b64 exec, exec, s[0:1]
	v_or_b32_e32 v3, s49, v1
	v_cmp_ne_u64_e32 vcc, 0, v[2:3]
                                        ; implicit-def: $vgpr24_vgpr25
	s_and_saveexec_b64 s[0:1], vcc
	s_xor_b64 s[68:69], exec, s[0:1]
	s_cbranch_execz .LBB7_57
; %bb.56:                               ;   in Loop: Header=BB7_3 Depth=1
	s_ashr_i32 s70, s49, 31
	s_add_u32 s0, s48, s70
	s_mov_b32 s71, s70
	s_addc_u32 s1, s49, s70
	s_xor_b64 s[72:73], s[0:1], s[70:71]
	v_cvt_f32_u32_e32 v3, s72
	v_cvt_f32_u32_e32 v24, s73
	s_sub_u32 s0, 0, s72
	s_subb_u32 s1, 0, s73
	v_mac_f32_e32 v3, 0x4f800000, v24
	v_rcp_f32_e32 v3, v3
	v_mul_f32_e32 v3, 0x5f7ffffc, v3
	v_mul_f32_e32 v24, 0x2f800000, v3
	v_trunc_f32_e32 v24, v24
	v_mac_f32_e32 v3, 0xcf800000, v24
	v_cvt_u32_f32_e32 v24, v24
	v_cvt_u32_f32_e32 v3, v3
	v_mul_lo_u32 v25, s0, v24
	v_mul_hi_u32 v29, s0, v3
	v_mul_lo_u32 v28, s1, v3
	v_add_u32_e32 v25, v29, v25
	v_mul_lo_u32 v30, s0, v3
	v_add_u32_e32 v25, v25, v28
	v_mul_lo_u32 v29, v3, v25
	v_mul_hi_u32 v31, v3, v30
	v_mul_hi_u32 v28, v3, v25
	v_add_co_u32_e32 v29, vcc, v31, v29
	v_addc_co_u32_e32 v28, vcc, 0, v28, vcc
	v_mul_hi_u32 v33, v24, v30
	v_mul_lo_u32 v30, v24, v30
	v_add_co_u32_e32 v29, vcc, v29, v30
	v_mul_hi_u32 v31, v24, v25
	v_addc_co_u32_e32 v28, vcc, v28, v33, vcc
	v_addc_co_u32_e32 v29, vcc, 0, v31, vcc
	v_mul_lo_u32 v25, v24, v25
	v_add_co_u32_e32 v25, vcc, v28, v25
	v_addc_co_u32_e32 v28, vcc, 0, v29, vcc
	v_add_co_u32_e32 v3, vcc, v3, v25
	v_addc_co_u32_e32 v24, vcc, v24, v28, vcc
	v_mul_lo_u32 v25, s0, v24
	v_mul_hi_u32 v28, s0, v3
	v_add_u32_e32 v25, v28, v25
	v_mul_lo_u32 v28, s1, v3
	v_add_u32_e32 v25, v25, v28
	v_mul_lo_u32 v29, s0, v3
	v_mul_hi_u32 v30, v24, v29
	v_mul_lo_u32 v31, v24, v29
	v_mul_lo_u32 v34, v3, v25
	v_mul_hi_u32 v29, v3, v29
	v_mul_hi_u32 v33, v3, v25
	v_add_co_u32_e32 v29, vcc, v29, v34
	v_addc_co_u32_e32 v33, vcc, 0, v33, vcc
	v_add_co_u32_e32 v29, vcc, v29, v31
	v_mul_hi_u32 v28, v24, v25
	v_addc_co_u32_e32 v29, vcc, v33, v30, vcc
	v_addc_co_u32_e32 v28, vcc, 0, v28, vcc
	v_mul_lo_u32 v25, v24, v25
	v_add_co_u32_e32 v25, vcc, v29, v25
	v_addc_co_u32_e32 v28, vcc, 0, v28, vcc
	v_add_co_u32_e32 v3, vcc, v3, v25
	v_addc_co_u32_e32 v28, vcc, v24, v28, vcc
	;; [unrolled: 2-line block ×3, first 2 shown]
	v_xor_b32_e32 v31, v24, v32
	v_xor_b32_e32 v30, v25, v32
	v_mad_u64_u32 v[24:25], s[0:1], v31, v28, 0
	v_mul_hi_u32 v29, v31, v3
	v_add_co_u32_e32 v33, vcc, v29, v24
	v_addc_co_u32_e32 v34, vcc, 0, v25, vcc
	v_mad_u64_u32 v[24:25], s[0:1], v30, v28, 0
	v_mad_u64_u32 v[28:29], s[0:1], v30, v3, 0
	v_add_co_u32_e32 v3, vcc, v33, v28
	v_addc_co_u32_e32 v3, vcc, v34, v29, vcc
	v_addc_co_u32_e32 v25, vcc, 0, v25, vcc
	v_add_co_u32_e32 v3, vcc, v3, v24
	v_addc_co_u32_e32 v28, vcc, 0, v25, vcc
	v_mul_lo_u32 v29, s73, v3
	v_mul_lo_u32 v33, s72, v28
	v_mad_u64_u32 v[24:25], s[0:1], s72, v3, 0
	v_add3_u32 v25, v25, v33, v29
	v_sub_u32_e32 v29, v30, v25
	v_mov_b32_e32 v33, s73
	v_sub_co_u32_e32 v24, vcc, v31, v24
	v_subb_co_u32_e64 v29, s[0:1], v29, v33, vcc
	v_subrev_co_u32_e64 v31, s[0:1], s72, v24
	v_subbrev_co_u32_e64 v29, s[0:1], 0, v29, s[0:1]
	v_cmp_le_u32_e64 s[0:1], s73, v29
	v_cndmask_b32_e64 v33, 0, -1, s[0:1]
	v_cmp_le_u32_e64 s[0:1], s72, v31
	v_cndmask_b32_e64 v31, 0, -1, s[0:1]
	v_cmp_eq_u32_e64 s[0:1], s73, v29
	v_cndmask_b32_e64 v29, v33, v31, s[0:1]
	v_add_co_u32_e64 v31, s[0:1], 2, v3
	v_subb_co_u32_e32 v25, vcc, v30, v25, vcc
	v_addc_co_u32_e64 v33, s[0:1], 0, v28, s[0:1]
	v_cmp_le_u32_e32 vcc, s73, v25
	v_add_co_u32_e64 v34, s[0:1], 1, v3
	v_cndmask_b32_e64 v30, 0, -1, vcc
	v_cmp_le_u32_e32 vcc, s72, v24
	v_addc_co_u32_e64 v35, s[0:1], 0, v28, s[0:1]
	v_cndmask_b32_e64 v24, 0, -1, vcc
	v_cmp_eq_u32_e32 vcc, s73, v25
	v_cmp_ne_u32_e64 s[0:1], 0, v29
	v_cndmask_b32_e32 v24, v30, v24, vcc
	v_cmp_ne_u32_e32 vcc, 0, v24
	v_cndmask_b32_e64 v25, v34, v31, s[0:1]
	v_cndmask_b32_e64 v29, v35, v33, s[0:1]
	v_cndmask_b32_e32 v3, v3, v25, vcc
	v_xor_b32_e32 v25, s70, v32
	v_cndmask_b32_e32 v24, v28, v29, vcc
	v_xor_b32_e32 v3, v3, v25
	v_xor_b32_e32 v28, v24, v25
	v_sub_co_u32_e32 v24, vcc, v3, v25
	v_subb_co_u32_e32 v25, vcc, v28, v25, vcc
.LBB7_57:                               ;   in Loop: Header=BB7_3 Depth=1
	s_andn2_saveexec_b64 s[0:1], s[68:69]
	s_cbranch_execz .LBB7_59
; %bb.58:                               ;   in Loop: Header=BB7_3 Depth=1
	v_cvt_f32_u32_e32 v3, s48
	s_sub_i32 s68, 0, s48
	v_rcp_iflag_f32_e32 v3, v3
	v_mul_f32_e32 v3, 0x4f7ffffe, v3
	v_cvt_u32_f32_e32 v3, v3
	v_mul_lo_u32 v24, s68, v3
	v_mul_hi_u32 v24, v3, v24
	v_add_u32_e32 v3, v3, v24
	v_mul_hi_u32 v3, v0, v3
	v_mul_lo_u32 v24, v3, s48
	v_sub_u32_e32 v24, v0, v24
	v_add_u32_e32 v25, 1, v3
	v_subrev_u32_e32 v28, s48, v24
	v_cmp_le_u32_e32 vcc, s48, v24
	v_cndmask_b32_e32 v24, v24, v28, vcc
	v_cndmask_b32_e32 v3, v3, v25, vcc
	v_add_u32_e32 v25, 1, v3
	v_cmp_le_u32_e32 vcc, s48, v24
	v_cndmask_b32_e32 v24, v3, v25, vcc
	v_mov_b32_e32 v25, v2
.LBB7_59:                               ;   in Loop: Header=BB7_3 Depth=1
	s_or_b64 exec, exec, s[0:1]
	v_mad_u64_u32 v[28:29], s[0:1], s79, v24, v[0:1]
	v_mul_lo_u32 v3, s79, v25
	v_mul_lo_u32 v30, s80, v24
	v_add3_u32 v3, v30, v29, v3
	v_mul_lo_u32 v30, v28, s19
	v_mul_lo_u32 v3, v3, s18
	v_mad_u64_u32 v[28:29], s[0:1], v28, s18, 0
	v_add3_u32 v29, v29, v30, v3
	v_mul_lo_u32 v3, v25, s16
	v_mul_lo_u32 v30, v24, s17
	v_mad_u64_u32 v[24:25], s[0:1], v24, s16, 0
	v_add3_u32 v25, v25, v30, v3
	v_lshlrev_b64 v[24:25], 2, v[24:25]
	v_mov_b32_e32 v3, s47
	v_add_co_u32_e32 v30, vcc, s46, v24
	v_addc_co_u32_e32 v3, vcc, v3, v25, vcc
	v_lshlrev_b64 v[24:25], 2, v[28:29]
	v_add_co_u32_e32 v24, vcc, v30, v24
	v_addc_co_u32_e32 v25, vcc, v3, v25, vcc
	global_load_dword v24, v[24:25], off
	v_or_b32_e32 v3, s53, v1
	v_cmp_ne_u64_e32 vcc, 0, v[2:3]
                                        ; implicit-def: $vgpr28_vgpr29
	s_and_saveexec_b64 s[0:1], vcc
	s_xor_b64 s[68:69], exec, s[0:1]
	s_cbranch_execz .LBB7_61
; %bb.60:                               ;   in Loop: Header=BB7_3 Depth=1
	s_ashr_i32 s70, s53, 31
	s_add_u32 s0, s52, s70
	s_mov_b32 s71, s70
	s_addc_u32 s1, s53, s70
	s_xor_b64 s[72:73], s[0:1], s[70:71]
	v_cvt_f32_u32_e32 v3, s72
	v_cvt_f32_u32_e32 v25, s73
	s_sub_u32 s0, 0, s72
	s_subb_u32 s1, 0, s73
	v_mac_f32_e32 v3, 0x4f800000, v25
	v_rcp_f32_e32 v3, v3
	v_mul_f32_e32 v3, 0x5f7ffffc, v3
	v_mul_f32_e32 v25, 0x2f800000, v3
	v_trunc_f32_e32 v25, v25
	v_mac_f32_e32 v3, 0xcf800000, v25
	v_cvt_u32_f32_e32 v25, v25
	v_cvt_u32_f32_e32 v3, v3
	v_mul_lo_u32 v28, s0, v25
	v_mul_hi_u32 v30, s0, v3
	v_mul_lo_u32 v29, s1, v3
	v_add_u32_e32 v28, v30, v28
	v_mul_lo_u32 v31, s0, v3
	v_add_u32_e32 v28, v28, v29
	v_mul_lo_u32 v30, v3, v28
	v_mul_hi_u32 v33, v3, v31
	v_mul_hi_u32 v29, v3, v28
	v_add_co_u32_e32 v30, vcc, v33, v30
	v_addc_co_u32_e32 v29, vcc, 0, v29, vcc
	v_mul_hi_u32 v34, v25, v31
	v_mul_lo_u32 v31, v25, v31
	v_add_co_u32_e32 v30, vcc, v30, v31
	v_mul_hi_u32 v33, v25, v28
	v_addc_co_u32_e32 v29, vcc, v29, v34, vcc
	v_addc_co_u32_e32 v30, vcc, 0, v33, vcc
	v_mul_lo_u32 v28, v25, v28
	v_add_co_u32_e32 v28, vcc, v29, v28
	v_addc_co_u32_e32 v29, vcc, 0, v30, vcc
	v_add_co_u32_e32 v3, vcc, v3, v28
	v_addc_co_u32_e32 v25, vcc, v25, v29, vcc
	v_mul_lo_u32 v28, s0, v25
	v_mul_hi_u32 v29, s0, v3
	v_add_u32_e32 v28, v29, v28
	v_mul_lo_u32 v29, s1, v3
	v_add_u32_e32 v28, v28, v29
	v_mul_lo_u32 v30, s0, v3
	v_mul_hi_u32 v31, v25, v30
	v_mul_lo_u32 v33, v25, v30
	v_mul_lo_u32 v35, v3, v28
	v_mul_hi_u32 v30, v3, v30
	v_mul_hi_u32 v34, v3, v28
	v_add_co_u32_e32 v30, vcc, v30, v35
	v_addc_co_u32_e32 v34, vcc, 0, v34, vcc
	v_add_co_u32_e32 v30, vcc, v30, v33
	v_mul_hi_u32 v29, v25, v28
	v_addc_co_u32_e32 v30, vcc, v34, v31, vcc
	v_addc_co_u32_e32 v29, vcc, 0, v29, vcc
	v_mul_lo_u32 v28, v25, v28
	v_add_co_u32_e32 v28, vcc, v30, v28
	v_addc_co_u32_e32 v29, vcc, 0, v29, vcc
	v_add_co_u32_e32 v3, vcc, v3, v28
	v_addc_co_u32_e32 v25, vcc, v25, v29, vcc
	;; [unrolled: 2-line block ×3, first 2 shown]
	v_xor_b32_e32 v34, v28, v32
	v_xor_b32_e32 v33, v29, v32
	v_mad_u64_u32 v[28:29], s[0:1], v34, v25, 0
	v_mul_hi_u32 v30, v34, v3
	v_add_co_u32_e32 v35, vcc, v30, v28
	v_addc_co_u32_e32 v45, vcc, 0, v29, vcc
	v_mad_u64_u32 v[30:31], s[0:1], v33, v3, 0
	v_add_co_u32_e32 v3, vcc, v35, v30
	v_mad_u64_u32 v[28:29], s[0:1], v33, v25, 0
	v_addc_co_u32_e32 v3, vcc, v45, v31, vcc
	v_addc_co_u32_e32 v25, vcc, 0, v29, vcc
	v_add_co_u32_e32 v3, vcc, v3, v28
	v_addc_co_u32_e32 v25, vcc, 0, v25, vcc
	v_mul_lo_u32 v30, s73, v3
	v_mul_lo_u32 v31, s72, v25
	v_mad_u64_u32 v[28:29], s[0:1], s72, v3, 0
	v_add3_u32 v29, v29, v31, v30
	v_sub_u32_e32 v30, v33, v29
	v_mov_b32_e32 v31, s73
	v_sub_co_u32_e32 v28, vcc, v34, v28
	v_subb_co_u32_e64 v30, s[0:1], v30, v31, vcc
	v_subrev_co_u32_e64 v31, s[0:1], s72, v28
	v_subbrev_co_u32_e64 v30, s[0:1], 0, v30, s[0:1]
	v_cmp_le_u32_e64 s[0:1], s73, v30
	v_cndmask_b32_e64 v34, 0, -1, s[0:1]
	v_cmp_le_u32_e64 s[0:1], s72, v31
	v_cndmask_b32_e64 v31, 0, -1, s[0:1]
	v_cmp_eq_u32_e64 s[0:1], s73, v30
	v_cndmask_b32_e64 v30, v34, v31, s[0:1]
	v_add_co_u32_e64 v31, s[0:1], 2, v3
	v_subb_co_u32_e32 v29, vcc, v33, v29, vcc
	v_addc_co_u32_e64 v34, s[0:1], 0, v25, s[0:1]
	v_cmp_le_u32_e32 vcc, s73, v29
	v_add_co_u32_e64 v35, s[0:1], 1, v3
	v_cndmask_b32_e64 v33, 0, -1, vcc
	v_cmp_le_u32_e32 vcc, s72, v28
	v_addc_co_u32_e64 v45, s[0:1], 0, v25, s[0:1]
	v_cndmask_b32_e64 v28, 0, -1, vcc
	v_cmp_eq_u32_e32 vcc, s73, v29
	v_cmp_ne_u32_e64 s[0:1], 0, v30
	v_cndmask_b32_e32 v28, v33, v28, vcc
	v_cmp_ne_u32_e32 vcc, 0, v28
	v_cndmask_b32_e64 v28, v35, v31, s[0:1]
	v_cndmask_b32_e64 v30, v45, v34, s[0:1]
	v_cndmask_b32_e32 v3, v3, v28, vcc
	v_xor_b32_e32 v29, s70, v32
	v_cndmask_b32_e32 v25, v25, v30, vcc
	v_xor_b32_e32 v3, v3, v29
	v_xor_b32_e32 v25, v25, v29
	v_sub_co_u32_e32 v28, vcc, v3, v29
	v_subb_co_u32_e32 v29, vcc, v25, v29, vcc
.LBB7_61:                               ;   in Loop: Header=BB7_3 Depth=1
	s_andn2_saveexec_b64 s[0:1], s[68:69]
	s_cbranch_execz .LBB7_63
; %bb.62:                               ;   in Loop: Header=BB7_3 Depth=1
	v_cvt_f32_u32_e32 v3, s52
	s_sub_i32 s68, 0, s52
	v_rcp_iflag_f32_e32 v3, v3
	v_mul_f32_e32 v3, 0x4f7ffffe, v3
	v_cvt_u32_f32_e32 v3, v3
	v_mul_lo_u32 v25, s68, v3
	v_mul_hi_u32 v25, v3, v25
	v_add_u32_e32 v3, v3, v25
	v_mul_hi_u32 v3, v0, v3
	v_mul_lo_u32 v25, v3, s52
	v_sub_u32_e32 v25, v0, v25
	v_add_u32_e32 v28, 1, v3
	v_subrev_u32_e32 v29, s52, v25
	v_cmp_le_u32_e32 vcc, s52, v25
	v_cndmask_b32_e32 v25, v25, v29, vcc
	v_cndmask_b32_e32 v3, v3, v28, vcc
	v_add_u32_e32 v28, 1, v3
	v_cmp_le_u32_e32 vcc, s52, v25
	v_cndmask_b32_e32 v28, v3, v28, vcc
	v_mov_b32_e32 v29, v2
.LBB7_63:                               ;   in Loop: Header=BB7_3 Depth=1
	s_or_b64 exec, exec, s[0:1]
	v_or_b32_e32 v3, s57, v1
	v_cmp_ne_u64_e32 vcc, 0, v[2:3]
                                        ; implicit-def: $vgpr30_vgpr31
	s_and_saveexec_b64 s[0:1], vcc
	s_xor_b64 s[68:69], exec, s[0:1]
	s_cbranch_execz .LBB7_65
; %bb.64:                               ;   in Loop: Header=BB7_3 Depth=1
	s_ashr_i32 s70, s57, 31
	s_add_u32 s0, s56, s70
	s_mov_b32 s71, s70
	s_addc_u32 s1, s57, s70
	s_xor_b64 s[72:73], s[0:1], s[70:71]
	v_cvt_f32_u32_e32 v3, s72
	v_cvt_f32_u32_e32 v25, s73
	s_sub_u32 s0, 0, s72
	s_subb_u32 s1, 0, s73
	v_mac_f32_e32 v3, 0x4f800000, v25
	v_rcp_f32_e32 v3, v3
	v_mul_f32_e32 v3, 0x5f7ffffc, v3
	v_mul_f32_e32 v25, 0x2f800000, v3
	v_trunc_f32_e32 v25, v25
	v_mac_f32_e32 v3, 0xcf800000, v25
	v_cvt_u32_f32_e32 v25, v25
	v_cvt_u32_f32_e32 v3, v3
	v_mul_lo_u32 v30, s0, v25
	v_mul_hi_u32 v33, s0, v3
	v_mul_lo_u32 v31, s1, v3
	v_add_u32_e32 v30, v33, v30
	v_mul_lo_u32 v34, s0, v3
	v_add_u32_e32 v30, v30, v31
	v_mul_lo_u32 v33, v3, v30
	v_mul_hi_u32 v35, v3, v34
	v_mul_hi_u32 v31, v3, v30
	v_add_co_u32_e32 v33, vcc, v35, v33
	v_addc_co_u32_e32 v31, vcc, 0, v31, vcc
	v_mul_hi_u32 v45, v25, v34
	v_mul_lo_u32 v34, v25, v34
	v_add_co_u32_e32 v33, vcc, v33, v34
	v_mul_hi_u32 v35, v25, v30
	v_addc_co_u32_e32 v31, vcc, v31, v45, vcc
	v_addc_co_u32_e32 v33, vcc, 0, v35, vcc
	v_mul_lo_u32 v30, v25, v30
	v_add_co_u32_e32 v30, vcc, v31, v30
	v_addc_co_u32_e32 v31, vcc, 0, v33, vcc
	v_add_co_u32_e32 v3, vcc, v3, v30
	v_addc_co_u32_e32 v25, vcc, v25, v31, vcc
	v_mul_lo_u32 v30, s0, v25
	v_mul_hi_u32 v31, s0, v3
	v_add_u32_e32 v30, v31, v30
	v_mul_lo_u32 v31, s1, v3
	v_add_u32_e32 v30, v30, v31
	v_mul_lo_u32 v33, s0, v3
	v_mul_hi_u32 v34, v25, v33
	v_mul_lo_u32 v35, v25, v33
	v_mul_lo_u32 v46, v3, v30
	v_mul_hi_u32 v33, v3, v33
	v_mul_hi_u32 v45, v3, v30
	v_add_co_u32_e32 v33, vcc, v33, v46
	v_addc_co_u32_e32 v45, vcc, 0, v45, vcc
	v_add_co_u32_e32 v33, vcc, v33, v35
	v_mul_hi_u32 v31, v25, v30
	v_addc_co_u32_e32 v33, vcc, v45, v34, vcc
	v_addc_co_u32_e32 v31, vcc, 0, v31, vcc
	v_mul_lo_u32 v30, v25, v30
	v_add_co_u32_e32 v30, vcc, v33, v30
	v_addc_co_u32_e32 v31, vcc, 0, v31, vcc
	v_add_co_u32_e32 v3, vcc, v3, v30
	v_addc_co_u32_e32 v25, vcc, v25, v31, vcc
	v_add_co_u32_e32 v30, vcc, v0, v32
	v_addc_co_u32_e32 v31, vcc, v1, v32, vcc
	v_xor_b32_e32 v45, v30, v32
	v_xor_b32_e32 v33, v31, v32
	v_mad_u64_u32 v[30:31], s[0:1], v45, v25, 0
	v_mul_hi_u32 v34, v45, v3
	v_add_co_u32_e32 v46, vcc, v34, v30
	v_addc_co_u32_e32 v47, vcc, 0, v31, vcc
	v_mad_u64_u32 v[34:35], s[0:1], v33, v3, 0
	v_add_co_u32_e32 v3, vcc, v46, v34
	v_mad_u64_u32 v[30:31], s[0:1], v33, v25, 0
	v_addc_co_u32_e32 v3, vcc, v47, v35, vcc
	v_addc_co_u32_e32 v25, vcc, 0, v31, vcc
	v_add_co_u32_e32 v3, vcc, v3, v30
	v_addc_co_u32_e32 v25, vcc, 0, v25, vcc
	v_mul_lo_u32 v34, s73, v3
	v_mul_lo_u32 v35, s72, v25
	v_mad_u64_u32 v[30:31], s[0:1], s72, v3, 0
	v_add3_u32 v31, v31, v35, v34
	v_sub_u32_e32 v34, v33, v31
	v_mov_b32_e32 v35, s73
	v_sub_co_u32_e32 v30, vcc, v45, v30
	v_subb_co_u32_e64 v34, s[0:1], v34, v35, vcc
	v_subrev_co_u32_e64 v35, s[0:1], s72, v30
	v_subbrev_co_u32_e64 v34, s[0:1], 0, v34, s[0:1]
	v_cmp_le_u32_e64 s[0:1], s73, v34
	v_cndmask_b32_e64 v45, 0, -1, s[0:1]
	v_cmp_le_u32_e64 s[0:1], s72, v35
	v_cndmask_b32_e64 v35, 0, -1, s[0:1]
	v_cmp_eq_u32_e64 s[0:1], s73, v34
	v_cndmask_b32_e64 v34, v45, v35, s[0:1]
	v_add_co_u32_e64 v35, s[0:1], 2, v3
	v_subb_co_u32_e32 v31, vcc, v33, v31, vcc
	v_addc_co_u32_e64 v45, s[0:1], 0, v25, s[0:1]
	v_cmp_le_u32_e32 vcc, s73, v31
	v_add_co_u32_e64 v46, s[0:1], 1, v3
	v_cndmask_b32_e64 v33, 0, -1, vcc
	v_cmp_le_u32_e32 vcc, s72, v30
	v_addc_co_u32_e64 v47, s[0:1], 0, v25, s[0:1]
	v_cndmask_b32_e64 v30, 0, -1, vcc
	v_cmp_eq_u32_e32 vcc, s73, v31
	v_cmp_ne_u32_e64 s[0:1], 0, v34
	v_cndmask_b32_e32 v30, v33, v30, vcc
	v_cmp_ne_u32_e32 vcc, 0, v30
	v_cndmask_b32_e64 v30, v46, v35, s[0:1]
	v_cndmask_b32_e64 v34, v47, v45, s[0:1]
	v_cndmask_b32_e32 v3, v3, v30, vcc
	v_xor_b32_e32 v31, s70, v32
	v_cndmask_b32_e32 v25, v25, v34, vcc
	v_xor_b32_e32 v3, v3, v31
	v_xor_b32_e32 v25, v25, v31
	v_sub_co_u32_e32 v30, vcc, v3, v31
	v_subb_co_u32_e32 v31, vcc, v25, v31, vcc
.LBB7_65:                               ;   in Loop: Header=BB7_3 Depth=1
	s_andn2_saveexec_b64 s[0:1], s[68:69]
	s_cbranch_execz .LBB7_67
; %bb.66:                               ;   in Loop: Header=BB7_3 Depth=1
	v_cvt_f32_u32_e32 v3, s56
	s_sub_i32 s68, 0, s56
	v_rcp_iflag_f32_e32 v3, v3
	v_mul_f32_e32 v3, 0x4f7ffffe, v3
	v_cvt_u32_f32_e32 v3, v3
	v_mul_lo_u32 v25, s68, v3
	v_mul_hi_u32 v25, v3, v25
	v_add_u32_e32 v3, v3, v25
	v_mul_hi_u32 v3, v0, v3
	v_mul_lo_u32 v25, v3, s56
	v_sub_u32_e32 v25, v0, v25
	v_add_u32_e32 v30, 1, v3
	v_subrev_u32_e32 v31, s56, v25
	v_cmp_le_u32_e32 vcc, s56, v25
	v_cndmask_b32_e32 v25, v25, v31, vcc
	v_cndmask_b32_e32 v3, v3, v30, vcc
	v_add_u32_e32 v30, 1, v3
	v_cmp_le_u32_e32 vcc, s56, v25
	v_cndmask_b32_e32 v30, v3, v30, vcc
	v_mov_b32_e32 v31, v2
.LBB7_67:                               ;   in Loop: Header=BB7_3 Depth=1
	s_or_b64 exec, exec, s[0:1]
	s_andn2_b64 vcc, exec, s[62:63]
	v_mov_b32_e32 v46, 0
	v_mov_b32_e32 v45, 0
	;; [unrolled: 1-line block ×8, first 2 shown]
	s_cbranch_vccnz .LBB7_69
; %bb.68:                               ;   in Loop: Header=BB7_3 Depth=1
	v_mad_u64_u32 v[34:35], s[0:1], s77, v6, v[0:1]
	v_mul_lo_u32 v3, s77, v7
	v_mul_lo_u32 v25, s78, v6
	v_add3_u32 v35, v25, v35, v3
	v_mul_lo_u32 v3, v34, s41
	v_mul_lo_u32 v25, v35, s40
	v_mad_u64_u32 v[32:33], s[0:1], v34, s40, 0
	v_add3_u32 v33, v33, v3, v25
	v_lshlrev_b64 v[32:33], 2, v[32:33]
	v_mov_b32_e32 v3, s39
	v_add_co_u32_e32 v32, vcc, s38, v32
	v_addc_co_u32_e32 v33, vcc, v3, v33, vcc
	v_sub_co_u32_e32 v25, vcc, 1, v6
	v_subb_co_u32_e32 v45, vcc, 0, v7, vcc
	v_mul_lo_u32 v45, s8, v45
	v_mul_lo_u32 v48, s9, v25
	v_mad_u64_u32 v[46:47], s[0:1], s8, v25, v[0:1]
	v_add3_u32 v45, v48, v47, v45
	v_mul_lo_u32 v25, v45, s40
	v_mul_lo_u32 v47, v46, s41
	v_mad_u64_u32 v[48:49], s[0:1], v46, s40, 0
	v_add3_u32 v49, v49, v47, v25
	v_lshlrev_b64 v[48:49], 2, v[48:49]
	v_add_co_u32_e32 v48, vcc, s38, v48
	v_addc_co_u32_e32 v49, vcc, v3, v49, vcc
	v_sub_co_u32_e32 v25, vcc, 2, v6
	v_subb_co_u32_e32 v47, vcc, 0, v7, vcc
	v_mul_lo_u32 v47, s8, v47
	v_mul_lo_u32 v52, s9, v25
	v_mad_u64_u32 v[50:51], s[0:1], s8, v25, v[0:1]
	v_add3_u32 v51, v52, v51, v47
	v_mul_lo_u32 v25, v51, s40
	v_mul_lo_u32 v47, v50, s41
	v_mad_u64_u32 v[52:53], s[0:1], v50, s40, 0
	v_add3_u32 v53, v53, v47, v25
	v_lshlrev_b64 v[52:53], 2, v[52:53]
	;; [unrolled: 13-line block ×3, first 2 shown]
	v_add_co_u32_e32 v54, vcc, s38, v54
	v_addc_co_u32_e32 v55, vcc, v3, v55, vcc
	global_load_dword v33, v[32:33], off
	s_nop 0
	global_load_dword v32, v[48:49], off
	global_load_dword v25, v[52:53], off
	;; [unrolled: 1-line block ×3, first 2 shown]
	v_mul_lo_u32 v47, v34, s45
	v_mul_lo_u32 v48, v35, s44
	v_mad_u64_u32 v[34:35], s[0:1], v34, s44, 0
	v_add3_u32 v35, v35, v47, v48
	v_lshlrev_b64 v[34:35], 2, v[34:35]
	v_mul_lo_u32 v45, v45, s44
	v_mul_lo_u32 v48, v46, s45
	v_mad_u64_u32 v[46:47], s[0:1], v46, s44, 0
	v_mov_b32_e32 v52, s43
	v_add_co_u32_e32 v34, vcc, s42, v34
	v_add3_u32 v47, v47, v48, v45
	v_addc_co_u32_e32 v35, vcc, v52, v35, vcc
	v_lshlrev_b64 v[46:47], 2, v[46:47]
	v_mul_lo_u32 v45, v51, s44
	v_mul_lo_u32 v51, v50, s45
	v_mad_u64_u32 v[48:49], s[0:1], v50, s44, 0
	v_add_co_u32_e32 v46, vcc, s42, v46
	v_add3_u32 v49, v49, v51, v45
	v_addc_co_u32_e32 v47, vcc, v52, v47, vcc
	v_lshlrev_b64 v[48:49], 2, v[48:49]
	v_mul_lo_u32 v45, v7, s44
	v_mul_lo_u32 v50, v6, s45
	v_mad_u64_u32 v[6:7], s[0:1], v6, s44, 0
	v_add_co_u32_e32 v48, vcc, s42, v48
	v_add3_u32 v7, v7, v50, v45
	v_addc_co_u32_e32 v49, vcc, v52, v49, vcc
	v_lshlrev_b64 v[6:7], 2, v[6:7]
	v_add_co_u32_e32 v6, vcc, s42, v6
	v_addc_co_u32_e32 v7, vcc, v52, v7, vcc
	global_load_dword v35, v[34:35], off
	s_nop 0
	global_load_dword v34, v[46:47], off
	s_nop 0
	global_load_dword v46, v[48:49], off
	global_load_dword v45, v[6:7], off
.LBB7_69:                               ;   in Loop: Header=BB7_3 Depth=1
	s_waitcnt vmcnt(2)
	v_add_f32_e32 v6, v41, v43
	v_add_f32_e32 v6, v6, v25
	s_waitcnt vmcnt(1)
	v_add_f32_e32 v25, v46, v6
	v_cmp_nlt_f32_e64 s[0:1], |v25|, s85
                                        ; implicit-def: $vgpr41
	s_and_saveexec_b64 s[68:69], s[0:1]
	s_xor_b64 s[0:1], exec, s[68:69]
	s_cbranch_execz .LBB7_71
; %bb.70:                               ;   in Loop: Header=BB7_3 Depth=1
	v_add_f32_e64 v6, |v25|, |v25|
	v_mul_f32_e32 v7, 0x3fb8aa3b, v6
	v_rndne_f32_e32 v41, v7
	v_sub_f32_e32 v43, v7, v41
	v_fma_f32 v7, v6, s86, -v7
	v_fmac_f32_e32 v7, 0x32a5705f, v6
	v_add_f32_e32 v7, v43, v7
	v_cvt_i32_f32_e32 v41, v41
	v_exp_f32_e32 v7, v7
	v_cmp_ngt_f32_e32 vcc, s87, v6
	v_ldexp_f32 v7, v7, v41
	v_cndmask_b32_e32 v7, 0, v7, vcc
	v_cmp_nlt_f32_e32 vcc, s88, v6
	v_cndmask_b32_e32 v6, v40, v7, vcc
	v_add_f32_e32 v6, 1.0, v6
	v_rcp_f32_e32 v6, v6
	v_fma_f32 v41, v6, -2.0, 1.0
.LBB7_71:                               ;   in Loop: Header=BB7_3 Depth=1
	s_andn2_saveexec_b64 s[0:1], s[0:1]
; %bb.72:                               ;   in Loop: Header=BB7_3 Depth=1
	v_mul_f32_e32 v6, v25, v25
	v_mov_b32_e32 v7, 0x3ca908c9
	v_fmac_f32_e32 v7, 0xbbbac73d, v6
	v_fma_f32 v7, v6, v7, v36
	v_fma_f32 v7, v6, v7, v37
	;; [unrolled: 1-line block ×3, first 2 shown]
	v_mul_f32_e64 v7, |v25|, v7
	v_fma_f32 v41, v6, v7, |v25|
; %bb.73:                               ;   in Loop: Header=BB7_3 Depth=1
	s_or_b64 exec, exec, s[0:1]
	v_pk_add_f32 v[6:7], v[10:11], v[16:17]
	v_pk_add_f32 v[6:7], v[6:7], v[32:33]
	;; [unrolled: 1-line block ×3, first 2 shown]
	v_mul_f32_e32 v10, 0xbfb8aa3b, v7
	v_fma_f32 v11, v7, s89, -v10
	v_rndne_f32_e32 v16, v10
	v_fmac_f32_e32 v11, 0xb2a5705f, v7
	v_sub_f32_e32 v10, v10, v16
	v_add_f32_e32 v10, v10, v11
	v_cvt_i32_f32_e32 v11, v16
	v_exp_f32_e32 v10, v10
	v_cmp_nlt_f32_e32 vcc, s90, v7
	v_bfi_b32 v25, s92, v41, v25
	v_ldexp_f32 v10, v10, v11
	v_mul_f32_e32 v11, 0xbfb8aa3b, v6
	v_fma_f32 v16, v6, s89, -v11
	v_rndne_f32_e32 v17, v11
	v_fmac_f32_e32 v16, 0xb2a5705f, v6
	v_sub_f32_e32 v11, v11, v17
	v_add_f32_e32 v11, v11, v16
	v_exp_f32_e32 v11, v11
	v_cvt_i32_f32_e32 v16, v17
	v_cndmask_b32_e32 v10, 0, v10, vcc
	v_cmp_ngt_f32_e32 vcc, s91, v7
	v_cndmask_b32_e32 v7, v40, v10, vcc
	v_ldexp_f32 v10, v11, v16
	v_cmp_nlt_f32_e32 vcc, s90, v6
	v_cndmask_b32_e32 v10, 0, v10, vcc
	v_cmp_ngt_f32_e32 vcc, s91, v6
	v_cndmask_b32_e32 v6, v40, v10, vcc
	v_pk_add_f32 v[6:7], v[6:7], 1.0 op_sel_hi:[1,0]
	v_div_scale_f32 v10, s[0:1], v7, v7, 1.0
	v_rcp_f32_e32 v11, v10
	v_fma_f32 v16, -v10, v11, 1.0
	v_fmac_f32_e32 v11, v16, v11
	v_div_scale_f32 v16, vcc, 1.0, v7, 1.0
	v_mul_f32_e32 v17, v16, v11
	v_fma_f32 v32, -v10, v17, v16
	v_fmac_f32_e32 v17, v32, v11
	v_fma_f32 v10, -v10, v17, v16
	v_div_scale_f32 v16, s[0:1], v6, v6, 1.0
	v_rcp_f32_e32 v32, v16
	v_div_fmas_f32 v10, v10, v11, v17
	v_div_fixup_f32 v7, v10, v7, 1.0
	v_fma_f32 v10, -v16, v32, 1.0
	v_fmac_f32_e32 v32, v10, v32
	v_div_scale_f32 v10, vcc, 1.0, v6, 1.0
	v_mul_f32_e32 v11, v10, v32
	v_fma_f32 v17, -v16, v11, v10
	v_fmac_f32_e32 v11, v17, v32
	v_fma_f32 v10, -v16, v11, v10
	v_div_fmas_f32 v10, v10, v32, v11
	v_div_fixup_f32 v6, v10, v6, 1.0
	s_waitcnt vmcnt(0)
	v_pk_mul_f32 v[10:11], v[24:25], v[6:7]
	v_mov_b32_e32 v10, v11
	v_pk_fma_f32 v[10:11], v[24:25], v[6:7], v[10:11]
	v_cmp_nlt_f32_e64 s[0:1], |v10|, s85
                                        ; implicit-def: $vgpr11
	s_and_saveexec_b64 s[68:69], s[0:1]
	s_xor_b64 s[0:1], exec, s[68:69]
	s_cbranch_execz .LBB7_75
; %bb.74:                               ;   in Loop: Header=BB7_3 Depth=1
	v_add_f32_e64 v11, |v10|, |v10|
	v_mul_f32_e32 v16, 0x3fb8aa3b, v11
	v_rndne_f32_e32 v17, v16
	v_sub_f32_e32 v24, v16, v17
	v_fma_f32 v16, v11, s86, -v16
	v_fmac_f32_e32 v16, 0x32a5705f, v11
	v_add_f32_e32 v16, v24, v16
	v_cvt_i32_f32_e32 v17, v17
	v_exp_f32_e32 v16, v16
	v_cmp_ngt_f32_e32 vcc, s87, v11
	v_ldexp_f32 v16, v16, v17
	v_cndmask_b32_e32 v16, 0, v16, vcc
	v_cmp_nlt_f32_e32 vcc, s88, v11
	v_cndmask_b32_e32 v11, v40, v16, vcc
	v_add_f32_e32 v11, 1.0, v11
	v_rcp_f32_e32 v11, v11
	v_fma_f32 v11, v11, -2.0, 1.0
.LBB7_75:                               ;   in Loop: Header=BB7_3 Depth=1
	s_andn2_saveexec_b64 s[0:1], s[0:1]
	s_cbranch_execz .LBB7_2
; %bb.76:                               ;   in Loop: Header=BB7_3 Depth=1
	v_mul_f32_e32 v11, v10, v10
	v_mov_b32_e32 v16, 0x3ca908c9
	v_fmac_f32_e32 v16, 0xbbbac73d, v11
	v_fma_f32 v16, v11, v16, v36
	v_fma_f32 v16, v11, v16, v37
	;; [unrolled: 1-line block ×3, first 2 shown]
	v_mul_f32_e64 v16, |v10|, v16
	v_fma_f32 v11, v11, v16, |v10|
	s_branch .LBB7_2
.LBB7_77:
	s_endpgm
	.section	.rodata,"a",@progbits
	.p2align	6, 0x0
	.amdhsa_kernel _ZN2at6native12_GLOBAL__N_16kernel17lstm_cell_forwardIfflLi2EEEvNS_4cuda6detail10TensorInfoIT_T1_EES9_S9_S9_S9_S9_S9_S9_S8_S8_
		.amdhsa_group_segment_fixed_size 0
		.amdhsa_private_segment_fixed_size 0
		.amdhsa_kernarg_size 3600
		.amdhsa_user_sgpr_count 6
		.amdhsa_user_sgpr_private_segment_buffer 1
		.amdhsa_user_sgpr_dispatch_ptr 0
		.amdhsa_user_sgpr_queue_ptr 0
		.amdhsa_user_sgpr_kernarg_segment_ptr 1
		.amdhsa_user_sgpr_dispatch_id 0
		.amdhsa_user_sgpr_flat_scratch_init 0
		.amdhsa_user_sgpr_kernarg_preload_length 0
		.amdhsa_user_sgpr_kernarg_preload_offset 0
		.amdhsa_user_sgpr_private_segment_size 0
		.amdhsa_uses_dynamic_stack 0
		.amdhsa_system_sgpr_private_segment_wavefront_offset 0
		.amdhsa_system_sgpr_workgroup_id_x 1
		.amdhsa_system_sgpr_workgroup_id_y 0
		.amdhsa_system_sgpr_workgroup_id_z 0
		.amdhsa_system_sgpr_workgroup_info 0
		.amdhsa_system_vgpr_workitem_id 0
		.amdhsa_next_free_vgpr 56
		.amdhsa_next_free_sgpr 93
		.amdhsa_accum_offset 56
		.amdhsa_reserve_vcc 1
		.amdhsa_reserve_flat_scratch 0
		.amdhsa_float_round_mode_32 0
		.amdhsa_float_round_mode_16_64 0
		.amdhsa_float_denorm_mode_32 3
		.amdhsa_float_denorm_mode_16_64 3
		.amdhsa_dx10_clamp 1
		.amdhsa_ieee_mode 1
		.amdhsa_fp16_overflow 0
		.amdhsa_tg_split 0
		.amdhsa_exception_fp_ieee_invalid_op 0
		.amdhsa_exception_fp_denorm_src 0
		.amdhsa_exception_fp_ieee_div_zero 0
		.amdhsa_exception_fp_ieee_overflow 0
		.amdhsa_exception_fp_ieee_underflow 0
		.amdhsa_exception_fp_ieee_inexact 0
		.amdhsa_exception_int_div_zero 0
	.end_amdhsa_kernel
	.section	.text._ZN2at6native12_GLOBAL__N_16kernel17lstm_cell_forwardIfflLi2EEEvNS_4cuda6detail10TensorInfoIT_T1_EES9_S9_S9_S9_S9_S9_S9_S8_S8_,"axG",@progbits,_ZN2at6native12_GLOBAL__N_16kernel17lstm_cell_forwardIfflLi2EEEvNS_4cuda6detail10TensorInfoIT_T1_EES9_S9_S9_S9_S9_S9_S9_S8_S8_,comdat
.Lfunc_end7:
	.size	_ZN2at6native12_GLOBAL__N_16kernel17lstm_cell_forwardIfflLi2EEEvNS_4cuda6detail10TensorInfoIT_T1_EES9_S9_S9_S9_S9_S9_S9_S8_S8_, .Lfunc_end7-_ZN2at6native12_GLOBAL__N_16kernel17lstm_cell_forwardIfflLi2EEEvNS_4cuda6detail10TensorInfoIT_T1_EES9_S9_S9_S9_S9_S9_S9_S8_S8_
                                        ; -- End function
	.section	.AMDGPU.csdata,"",@progbits
; Kernel info:
; codeLenInByte = 17280
; NumSgprs: 97
; NumVgprs: 56
; NumAgprs: 0
; TotalNumVgprs: 56
; ScratchSize: 0
; MemoryBound: 0
; FloatMode: 240
; IeeeMode: 1
; LDSByteSize: 0 bytes/workgroup (compile time only)
; SGPRBlocks: 12
; VGPRBlocks: 6
; NumSGPRsForWavesPerEU: 97
; NumVGPRsForWavesPerEU: 56
; AccumOffset: 56
; Occupancy: 8
; WaveLimiterHint : 1
; COMPUTE_PGM_RSRC2:SCRATCH_EN: 0
; COMPUTE_PGM_RSRC2:USER_SGPR: 6
; COMPUTE_PGM_RSRC2:TRAP_HANDLER: 0
; COMPUTE_PGM_RSRC2:TGID_X_EN: 1
; COMPUTE_PGM_RSRC2:TGID_Y_EN: 0
; COMPUTE_PGM_RSRC2:TGID_Z_EN: 0
; COMPUTE_PGM_RSRC2:TIDIG_COMP_CNT: 0
; COMPUTE_PGM_RSRC3_GFX90A:ACCUM_OFFSET: 13
; COMPUTE_PGM_RSRC3_GFX90A:TG_SPLIT: 0
	.section	.text._ZN2at6native12_GLOBAL__N_16kernel17lstm_cell_forwardIN3c104HalfEfiLi1EEEvNS_4cuda6detail10TensorInfoIT_T1_EESB_SB_SB_SB_SB_SB_SB_SA_SA_,"axG",@progbits,_ZN2at6native12_GLOBAL__N_16kernel17lstm_cell_forwardIN3c104HalfEfiLi1EEEvNS_4cuda6detail10TensorInfoIT_T1_EESB_SB_SB_SB_SB_SB_SB_SA_SA_,comdat
	.globl	_ZN2at6native12_GLOBAL__N_16kernel17lstm_cell_forwardIN3c104HalfEfiLi1EEEvNS_4cuda6detail10TensorInfoIT_T1_EESB_SB_SB_SB_SB_SB_SB_SA_SA_ ; -- Begin function _ZN2at6native12_GLOBAL__N_16kernel17lstm_cell_forwardIN3c104HalfEfiLi1EEEvNS_4cuda6detail10TensorInfoIT_T1_EESB_SB_SB_SB_SB_SB_SB_SA_SA_
	.p2align	8
	.type	_ZN2at6native12_GLOBAL__N_16kernel17lstm_cell_forwardIN3c104HalfEfiLi1EEEvNS_4cuda6detail10TensorInfoIT_T1_EESB_SB_SB_SB_SB_SB_SB_SA_SA_,@function
_ZN2at6native12_GLOBAL__N_16kernel17lstm_cell_forwardIN3c104HalfEfiLi1EEEvNS_4cuda6detail10TensorInfoIT_T1_EESB_SB_SB_SB_SB_SB_SB_SA_SA_: ; @_ZN2at6native12_GLOBAL__N_16kernel17lstm_cell_forwardIN3c104HalfEfiLi1EEEvNS_4cuda6detail10TensorInfoIT_T1_EESB_SB_SB_SB_SB_SB_SB_SA_SA_
; %bb.0:
	s_load_dword s2, s[4:5], 0x6d4
	s_load_dwordx2 s[8:9], s[4:5], 0x6c0
	s_add_u32 s0, s4, 0x6c8
	s_addc_u32 s1, s5, 0
	s_waitcnt lgkmcnt(0)
	s_and_b32 s2, s2, 0xffff
	s_mul_i32 s6, s6, s2
	v_add_u32_e32 v0, s6, v0
	v_cmp_gt_i32_e32 vcc, s9, v0
	s_and_saveexec_b64 s[6:7], vcc
	s_cbranch_execz .LBB8_13
; %bb.1:
	s_load_dwordx2 s[6:7], s[4:5], 0x1b0
	s_load_dwordx2 s[10:11], s[4:5], 0x0
	s_load_dword s24, s[4:5], 0x6c
	s_load_dwordx2 s[12:13], s[4:5], 0xd8
	s_load_dword s25, s[4:5], 0x144
	s_load_dword s26, s[4:5], 0x21c
	s_load_dwordx2 s[14:15], s[4:5], 0x288
	s_load_dword s27, s[4:5], 0x2f4
	s_waitcnt lgkmcnt(0)
	s_cmp_lg_u64 s[6:7], 0
	s_cselect_b64 s[38:39], -1, 0
	s_abs_i32 s28, s8
	v_cvt_f32_u32_e32 v1, s28
	s_load_dwordx2 s[16:17], s[4:5], 0x360
	s_load_dword s3, s[4:5], 0x3cc
	s_load_dwordx2 s[18:19], s[4:5], 0x438
	s_load_dword s36, s[4:5], 0x4a4
	s_load_dword s30, s[0:1], 0x0
	s_load_dwordx2 s[20:21], s[4:5], 0x510
	s_nop 0
	s_load_dword s0, s[4:5], 0x57c
	s_load_dwordx2 s[22:23], s[4:5], 0x5e8
	s_load_dword s29, s[4:5], 0x654
	s_sub_i32 s1, 0, s28
	v_rcp_iflag_f32_e32 v1, v1
	v_cndmask_b32_e64 v3, 0, 1, s[38:39]
	s_waitcnt lgkmcnt(0)
	s_mul_i32 s30, s30, s2
	s_mov_b64 s[4:5], 0
	v_mul_f32_e32 v1, 0x4f7ffffe, v1
	v_cvt_u32_f32_e32 v1, v1
	s_ashr_i32 s31, s8, 31
	s_mul_i32 s33, s8, 3
	s_sub_i32 s34, 0, s8
	v_mul_lo_u32 v2, s1, v1
	v_mul_hi_u32 v2, v1, v2
	v_add_u32_e32 v1, v1, v2
	v_mul_lo_u32 v2, v0, s3
	s_mul_i32 s35, s30, s3
	v_mul_lo_u32 v4, v0, s36
	s_mul_i32 s36, s30, s36
	;; [unrolled: 2-line block ×3, first 2 shown]
	v_mov_b32_e32 v14, s11
	v_mov_b32_e32 v15, s13
	;; [unrolled: 1-line block ×3, first 2 shown]
	v_cmp_ne_u32_e64 s[0:1], 1, v3
	s_mov_b32 s11, 0x3f200000
	s_mov_b32 s13, 0x3fb8aa3b
	;; [unrolled: 1-line block ×4, first 2 shown]
	v_mov_b32_e32 v17, 0xbd5c1c4e
	v_mov_b32_e32 v18, 0x3e088382
	;; [unrolled: 1-line block ×3, first 2 shown]
	s_mov_b32 s39, 0xbfb8aa3b
	s_mov_b32 s40, 0x42ce8ed0
	;; [unrolled: 1-line block ×3, first 2 shown]
	s_brev_b32 s42, -2
	v_mov_b32_e32 v20, 0x7f800000
	s_branch .LBB8_3
.LBB8_2:                                ;   in Loop: Header=BB8_3 Depth=1
	s_or_b64 exec, exec, s[2:3]
	v_cvt_f32_f16_e32 v7, v7
	v_cvt_f32_f16_e32 v9, v9
	;; [unrolled: 1-line block ×4, first 2 shown]
	v_mul_lo_u32 v8, v8, s29
	v_add_f32_e32 v7, v7, v9
	v_add_f32_e32 v7, v7, v13
	;; [unrolled: 1-line block ×3, first 2 shown]
	v_mul_f32_e32 v9, 0xbfb8aa3b, v7
	v_fma_f32 v13, v7, s39, -v9
	v_rndne_f32_e32 v23, v9
	v_fmac_f32_e32 v13, 0xb2a5705f, v7
	v_sub_f32_e32 v9, v9, v23
	v_add_f32_e32 v9, v9, v13
	v_cvt_i32_f32_e32 v13, v23
	v_exp_f32_e32 v9, v9
	v_cmp_nlt_f32_e32 vcc, s40, v7
	v_mul_lo_u32 v28, v10, s29
	v_ashrrev_i32_e32 v29, 31, v28
	v_ldexp_f32 v9, v9, v13
	v_cndmask_b32_e32 v9, 0, v9, vcc
	v_cmp_ngt_f32_e32 vcc, s41, v7
	v_cndmask_b32_e32 v7, v20, v9, vcc
	v_add_f32_e32 v7, 1.0, v7
	v_div_scale_f32 v9, s[2:3], v7, v7, 1.0
	v_rcp_f32_e32 v13, v9
	v_lshlrev_b64 v[28:29], 1, v[28:29]
	v_mul_lo_u32 v12, v12, s29
	v_add_u32_e32 v0, s30, v0
	v_fma_f32 v23, -v9, v13, 1.0
	v_fmac_f32_e32 v13, v23, v13
	v_div_scale_f32 v23, vcc, 1.0, v7, 1.0
	v_mul_f32_e32 v25, v23, v13
	v_fma_f32 v26, -v9, v25, v23
	v_fmac_f32_e32 v25, v26, v13
	v_fma_f32 v9, -v9, v25, v23
	v_div_fmas_f32 v9, v9, v13, v25
	v_div_fixup_f32 v23, v9, v7, 1.0
	v_ashrrev_i32_e32 v9, 31, v8
	v_lshlrev_b64 v[8:9], 1, v[8:9]
	v_mul_lo_u32 v26, v5, s29
	v_mov_b32_e32 v7, s23
	v_add_co_u32_e32 v8, vcc, s22, v8
	v_ashrrev_i32_e32 v27, 31, v26
	v_addc_co_u32_e32 v9, vcc, v7, v9, vcc
	v_lshlrev_b64 v[26:27], 1, v[26:27]
	v_add_co_u32_e32 v26, vcc, s22, v26
	v_addc_co_u32_e32 v27, vcc, v7, v27, vcc
	v_add_co_u32_e32 v28, vcc, s22, v28
	v_ashrrev_i32_e32 v13, 31, v12
	v_addc_co_u32_e32 v29, vcc, v7, v29, vcc
	v_lshlrev_b64 v[12:13], 1, v[12:13]
	v_add_co_u32_e32 v12, vcc, s22, v12
	v_ashrrev_i32_e32 v5, 31, v4
	v_addc_co_u32_e32 v13, vcc, v7, v13, vcc
	v_lshlrev_b64 v[30:31], 1, v[4:5]
	v_mov_b32_e32 v5, s19
	v_add_co_u32_e32 v30, vcc, s18, v30
	v_ashrrev_i32_e32 v7, 31, v6
	v_addc_co_u32_e32 v31, vcc, v5, v31, vcc
	v_lshlrev_b64 v[32:33], 1, v[6:7]
	v_mov_b32_e32 v5, s21
	v_add_co_u32_e32 v32, vcc, s20, v32
	v_addc_co_u32_e32 v33, vcc, v5, v33, vcc
	v_cvt_f16_f32_e32 v5, v3
	v_bfi_b32 v3, s42, v24, v3
	v_fma_mixlo_f16 v3, v23, v3, 0
	global_store_short v[30:31], v3, off
	global_store_short v[32:33], v5, off
	v_cvt_f16_f32_e32 v3, v11
	v_cvt_f16_f32_e32 v5, v22
	;; [unrolled: 1-line block ×3, first 2 shown]
	v_cmp_le_i32_e32 vcc, s9, v0
	v_cvt_f16_f32_e32 v10, v23
	v_add_u32_e32 v2, s35, v2
	v_add_u32_e32 v4, s36, v4
	s_or_b64 s[4:5], vcc, s[4:5]
	v_add_u32_e32 v6, s37, v6
	global_store_short v[8:9], v3, off
	global_store_short v[26:27], v5, off
	;; [unrolled: 1-line block ×4, first 2 shown]
	s_andn2_b64 exec, exec, s[4:5]
	s_cbranch_execz .LBB8_13
.LBB8_3:                                ; =>This Inner Loop Header: Depth=1
	v_ashrrev_i32_e32 v3, 31, v0
	v_xor_b32_e32 v27, s31, v3
	v_sub_u32_e32 v3, 0, v0
	v_max_i32_e32 v3, v0, v3
	v_mul_hi_u32 v5, v3, v1
	v_mul_lo_u32 v7, v5, s28
	v_sub_u32_e32 v3, v3, v7
	v_add_u32_e32 v7, 1, v5
	v_cmp_le_u32_e32 vcc, s28, v3
	v_cndmask_b32_e32 v5, v5, v7, vcc
	v_subrev_u32_e32 v7, s28, v3
	v_cndmask_b32_e32 v3, v3, v7, vcc
	v_add_u32_e32 v7, 1, v5
	v_cmp_le_u32_e32 vcc, s28, v3
	v_cndmask_b32_e32 v3, v5, v7, vcc
	v_xor_b32_e32 v29, v3, v27
	v_sub_u32_e32 v32, v29, v27
	v_mad_u64_u32 v[8:9], s[2:3], s33, v32, v[0:1]
	v_lshl_add_u32 v3, v29, 1, v29
	v_mul_i32_i24_e32 v5, 3, v27
	v_mul_lo_u32 v10, v8, s24
	v_sub_u32_e32 v3, v3, v5
	v_ashrrev_i32_e32 v11, 31, v10
	v_mul_lo_u32 v5, s8, v3
	v_lshlrev_b64 v[10:11], 1, v[10:11]
	v_add3_u32 v5, v5, s8, v0
	v_add_co_u32_e32 v22, vcc, s10, v10
	v_mul_lo_u32 v10, v5, s24
	v_addc_co_u32_e32 v23, vcc, v14, v11, vcc
	v_ashrrev_i32_e32 v11, 31, v10
	v_lshlrev_b64 v[10:11], 1, v[10:11]
	v_add_co_u32_e32 v30, vcc, s10, v10
	v_add_u32_e32 v7, 2, v3
	v_addc_co_u32_e32 v31, vcc, v14, v11, vcc
	v_mad_u64_u32 v[10:11], s[2:3], s8, v7, v[0:1]
	v_mul_lo_u32 v12, v10, s24
	v_ashrrev_i32_e32 v13, 31, v12
	v_lshlrev_b64 v[12:13], 1, v[12:13]
	v_add_co_u32_e32 v34, vcc, s10, v12
	v_add_u32_e32 v3, 3, v3
	v_addc_co_u32_e32 v35, vcc, v14, v13, vcc
	v_mad_u64_u32 v[12:13], s[2:3], s8, v3, v[0:1]
	v_mul_lo_u32 v24, v12, s24
	v_ashrrev_i32_e32 v25, 31, v24
	v_lshlrev_b64 v[24:25], 1, v[24:25]
	v_add_co_u32_e32 v36, vcc, s10, v24
	v_addc_co_u32_e32 v37, vcc, v14, v25, vcc
	global_load_ushort v21, v[22:23], off
	global_load_ushort v11, v[30:31], off
	;; [unrolled: 1-line block ×4, first 2 shown]
	v_mul_lo_u32 v22, v8, s25
	v_ashrrev_i32_e32 v23, 31, v22
	v_lshlrev_b64 v[22:23], 1, v[22:23]
	v_add_co_u32_e32 v30, vcc, s12, v22
	v_mul_lo_u32 v22, v5, s25
	v_addc_co_u32_e32 v31, vcc, v15, v23, vcc
	v_ashrrev_i32_e32 v23, 31, v22
	v_lshlrev_b64 v[22:23], 1, v[22:23]
	v_add_co_u32_e32 v34, vcc, s12, v22
	v_mul_lo_u32 v22, v10, s25
	v_addc_co_u32_e32 v35, vcc, v15, v23, vcc
	;; [unrolled: 5-line block ×3, first 2 shown]
	v_ashrrev_i32_e32 v23, 31, v22
	v_lshlrev_b64 v[22:23], 1, v[22:23]
	v_add_co_u32_e32 v38, vcc, s12, v22
	v_ashrrev_i32_e32 v3, 31, v2
	v_addc_co_u32_e32 v39, vcc, v15, v23, vcc
	global_load_ushort v24, v[30:31], off
	global_load_ushort v22, v[34:35], off
	;; [unrolled: 1-line block ×4, first 2 shown]
	v_lshlrev_b64 v[30:31], 1, v[2:3]
	v_add_co_u32_e32 v30, vcc, s16, v30
	v_addc_co_u32_e32 v31, vcc, v16, v31, vcc
	global_load_ushort v3, v[30:31], off
	s_and_b64 vcc, exec, s[0:1]
	v_mov_b32_e32 v23, 0
	v_mov_b32_e32 v35, 0
	;; [unrolled: 1-line block ×8, first 2 shown]
	s_cbranch_vccnz .LBB8_5
; %bb.4:                                ;   in Loop: Header=BB8_3 Depth=1
	v_mad_u64_u32 v[32:33], s[2:3], s34, v32, v[0:1]
	v_sub_u32_e32 v23, v27, v29
	v_mul_lo_u32 v30, v32, s26
	v_mul_lo_u32 v26, s8, v23
	v_ashrrev_i32_e32 v31, 31, v30
	v_add3_u32 v29, v26, s8, v0
	v_lshlrev_b64 v[30:31], 1, v[30:31]
	v_mul_lo_u32 v26, v29, s26
	v_mov_b32_e32 v13, s7
	v_add_co_u32_e32 v36, vcc, s6, v30
	v_ashrrev_i32_e32 v27, 31, v26
	v_addc_co_u32_e32 v37, vcc, v13, v31, vcc
	v_lshlrev_b64 v[26:27], 1, v[26:27]
	v_add_co_u32_e32 v38, vcc, s6, v26
	v_add_u32_e32 v26, 2, v23
	v_mad_u64_u32 v[40:41], s[2:3], s8, v26, v[0:1]
	v_mul_lo_u32 v26, v40, s26
	v_addc_co_u32_e32 v39, vcc, v13, v27, vcc
	v_ashrrev_i32_e32 v27, 31, v26
	v_add_u32_e32 v23, 3, v23
	v_lshlrev_b64 v[26:27], 1, v[26:27]
	v_mad_u64_u32 v[44:45], s[2:3], s8, v23, v[0:1]
	v_add_co_u32_e32 v42, vcc, s6, v26
	v_mul_lo_u32 v26, v44, s26
	v_addc_co_u32_e32 v43, vcc, v13, v27, vcc
	v_ashrrev_i32_e32 v27, 31, v26
	v_lshlrev_b64 v[26:27], 1, v[26:27]
	v_mul_lo_u32 v32, v32, s27
	v_add_co_u32_e32 v46, vcc, s6, v26
	v_ashrrev_i32_e32 v33, 31, v32
	v_addc_co_u32_e32 v47, vcc, v13, v27, vcc
	v_lshlrev_b64 v[32:33], 1, v[32:33]
	global_load_ushort v30, v[36:37], off
	global_load_ushort v26, v[38:39], off
	;; [unrolled: 1-line block ×4, first 2 shown]
	v_mov_b32_e32 v23, s15
	v_add_co_u32_e32 v36, vcc, s14, v32
	v_mul_lo_u32 v32, v29, s27
	v_addc_co_u32_e32 v37, vcc, v23, v33, vcc
	v_ashrrev_i32_e32 v33, 31, v32
	v_lshlrev_b64 v[32:33], 1, v[32:33]
	v_add_co_u32_e32 v38, vcc, s14, v32
	v_mul_lo_u32 v32, v40, s27
	v_addc_co_u32_e32 v39, vcc, v23, v33, vcc
	v_ashrrev_i32_e32 v33, 31, v32
	v_lshlrev_b64 v[32:33], 1, v[32:33]
	;; [unrolled: 5-line block ×3, first 2 shown]
	v_add_co_u32_e32 v42, vcc, s14, v32
	v_addc_co_u32_e32 v43, vcc, v23, v33, vcc
	global_load_ushort v33, v[36:37], off
	global_load_ushort v31, v[38:39], off
	;; [unrolled: 1-line block ×4, first 2 shown]
.LBB8_5:                                ;   in Loop: Header=BB8_3 Depth=1
	s_waitcnt vmcnt(6)
	v_cvt_f32_f16_e32 v25, v25
	s_waitcnt vmcnt(2)
	v_cvt_f32_f16_e32 v27, v28
	v_cvt_f32_f16_e32 v28, v34
	s_waitcnt vmcnt(1)
	v_cvt_f32_f16_e32 v29, v35
	v_add_f32_e32 v25, v25, v27
	v_add_f32_e32 v25, v25, v28
	;; [unrolled: 1-line block ×3, first 2 shown]
	v_cmp_nlt_f32_e64 s[2:3], |v25|, s11
                                        ; implicit-def: $vgpr27
	s_and_saveexec_b64 s[44:45], s[2:3]
	s_xor_b64 s[2:3], exec, s[44:45]
	s_cbranch_execz .LBB8_7
; %bb.6:                                ;   in Loop: Header=BB8_3 Depth=1
	v_add_f32_e64 v27, |v25|, |v25|
	v_mul_f32_e32 v28, 0x3fb8aa3b, v27
	v_rndne_f32_e32 v29, v28
	v_sub_f32_e32 v32, v28, v29
	v_fma_f32 v28, v27, s13, -v28
	v_fmac_f32_e32 v28, 0x32a5705f, v27
	v_add_f32_e32 v28, v32, v28
	v_cvt_i32_f32_e32 v29, v29
	v_exp_f32_e32 v28, v28
	v_cmp_ngt_f32_e32 vcc, s17, v27
	v_ldexp_f32 v28, v28, v29
	v_cndmask_b32_e32 v28, 0, v28, vcc
	v_cmp_nlt_f32_e32 vcc, s38, v27
	v_cndmask_b32_e32 v27, v20, v28, vcc
	v_add_f32_e32 v27, 1.0, v27
	v_rcp_f32_e32 v27, v27
	v_fma_f32 v27, v27, -2.0, 1.0
.LBB8_7:                                ;   in Loop: Header=BB8_3 Depth=1
	s_andn2_saveexec_b64 s[2:3], s[2:3]
; %bb.8:                                ;   in Loop: Header=BB8_3 Depth=1
	v_mul_f32_e32 v27, v25, v25
	v_mov_b32_e32 v28, 0x3ca908c9
	v_fmac_f32_e32 v28, 0xbbbac73d, v27
	v_fma_f32 v28, v27, v28, v17
	v_fma_f32 v28, v27, v28, v18
	v_fma_f32 v28, v27, v28, v19
	v_mul_f32_e64 v28, |v25|, v28
	v_fma_f32 v27, v27, v28, |v25|
; %bb.9:                                ;   in Loop: Header=BB8_3 Depth=1
	s_or_b64 exec, exec, s[2:3]
	v_cvt_f32_f16_e32 v21, v21
	v_cvt_f32_f16_e32 v24, v24
	;; [unrolled: 1-line block ×5, first 2 shown]
	v_add_f32_e32 v21, v21, v24
	v_add_f32_e32 v21, v21, v28
	;; [unrolled: 1-line block ×3, first 2 shown]
	v_mul_f32_e32 v24, 0xbfb8aa3b, v21
	v_fma_f32 v28, v21, s39, -v24
	v_rndne_f32_e32 v29, v24
	v_fmac_f32_e32 v28, 0xb2a5705f, v21
	v_sub_f32_e32 v24, v24, v29
	v_cvt_f32_f16_e32 v22, v22
	v_add_f32_e32 v24, v24, v28
	v_cvt_f32_f16_e32 v26, v26
	v_cvt_i32_f32_e32 v28, v29
	v_exp_f32_e32 v24, v24
	v_cvt_f32_f16_e32 v30, v31
	v_add_f32_e32 v11, v11, v22
	v_add_f32_e32 v11, v11, v26
	v_ldexp_f32 v24, v24, v28
	v_cmp_nlt_f32_e32 vcc, s40, v21
	v_add_f32_e32 v11, v11, v30
	v_cndmask_b32_e32 v24, 0, v24, vcc
	v_cmp_ngt_f32_e32 vcc, s41, v21
	v_mul_f32_e32 v22, 0xbfb8aa3b, v11
	v_cndmask_b32_e32 v21, v20, v24, vcc
	v_fma_f32 v26, v11, s39, -v22
	v_rndne_f32_e32 v30, v22
	v_add_f32_e32 v21, 1.0, v21
	v_fmac_f32_e32 v26, 0xb2a5705f, v11
	v_sub_f32_e32 v22, v22, v30
	v_div_scale_f32 v24, s[2:3], v21, v21, 1.0
	v_add_f32_e32 v22, v22, v26
	v_rcp_f32_e32 v28, v24
	v_exp_f32_e32 v22, v22
	v_cvt_i32_f32_e32 v26, v30
	v_cmp_nlt_f32_e64 s[2:3], s40, v11
	v_fma_f32 v29, -v24, v28, 1.0
	v_fmac_f32_e32 v28, v29, v28
	v_ldexp_f32 v22, v22, v26
	v_div_scale_f32 v29, vcc, 1.0, v21, 1.0
	v_cndmask_b32_e64 v22, 0, v22, s[2:3]
	v_cmp_ngt_f32_e64 s[2:3], s41, v11
	v_mul_f32_e32 v31, v29, v28
	v_cndmask_b32_e64 v11, v20, v22, s[2:3]
	v_fma_f32 v30, -v24, v31, v29
	v_add_f32_e32 v22, 1.0, v11
	v_fmac_f32_e32 v31, v30, v28
	v_div_scale_f32 v26, s[2:3], v22, v22, 1.0
	v_fma_f32 v24, -v24, v31, v29
	v_rcp_f32_e32 v29, v26
	v_div_fmas_f32 v11, v24, v28, v31
	v_div_fixup_f32 v11, v11, v21, 1.0
	v_fma_f32 v21, -v26, v29, 1.0
	v_fmac_f32_e32 v29, v21, v29
	v_div_scale_f32 v21, vcc, 1.0, v22, 1.0
	v_mul_f32_e32 v24, v21, v29
	v_fma_f32 v28, -v26, v24, v21
	v_fmac_f32_e32 v24, v28, v29
	v_fma_f32 v21, -v26, v24, v21
	v_div_fmas_f32 v21, v21, v29, v24
	v_div_fixup_f32 v22, v21, v22, 1.0
	v_bfi_b32 v21, s42, v27, v25
	v_mul_f32_e32 v24, v11, v21
	s_waitcnt vmcnt(0)
	v_fma_mix_f32 v3, v22, v3, v24 op_sel_hi:[0,1,0]
	v_cmp_nlt_f32_e64 s[2:3], |v3|, s11
                                        ; implicit-def: $vgpr24
	s_and_saveexec_b64 s[44:45], s[2:3]
	s_xor_b64 s[2:3], exec, s[44:45]
	s_cbranch_execz .LBB8_11
; %bb.10:                               ;   in Loop: Header=BB8_3 Depth=1
	v_add_f32_e64 v24, |v3|, |v3|
	v_mul_f32_e32 v25, 0x3fb8aa3b, v24
	v_rndne_f32_e32 v26, v25
	v_sub_f32_e32 v27, v25, v26
	v_fma_f32 v25, v24, s13, -v25
	v_fmac_f32_e32 v25, 0x32a5705f, v24
	v_add_f32_e32 v25, v27, v25
	v_cvt_i32_f32_e32 v26, v26
	v_exp_f32_e32 v25, v25
	v_cmp_ngt_f32_e32 vcc, s17, v24
	v_ldexp_f32 v25, v25, v26
	v_cndmask_b32_e32 v25, 0, v25, vcc
	v_cmp_nlt_f32_e32 vcc, s38, v24
	v_cndmask_b32_e32 v24, v20, v25, vcc
	v_add_f32_e32 v24, 1.0, v24
	v_rcp_f32_e32 v24, v24
	v_fma_f32 v24, v24, -2.0, 1.0
.LBB8_11:                               ;   in Loop: Header=BB8_3 Depth=1
	s_andn2_saveexec_b64 s[2:3], s[2:3]
	s_cbranch_execz .LBB8_2
; %bb.12:                               ;   in Loop: Header=BB8_3 Depth=1
	v_mul_f32_e32 v24, v3, v3
	v_mov_b32_e32 v25, 0x3ca908c9
	v_fmac_f32_e32 v25, 0xbbbac73d, v24
	v_fma_f32 v25, v24, v25, v17
	v_fma_f32 v25, v24, v25, v18
	;; [unrolled: 1-line block ×3, first 2 shown]
	v_mul_f32_e64 v25, |v3|, v25
	v_fma_f32 v24, v24, v25, |v3|
	s_branch .LBB8_2
.LBB8_13:
	s_endpgm
	.section	.rodata,"a",@progbits
	.p2align	6, 0x0
	.amdhsa_kernel _ZN2at6native12_GLOBAL__N_16kernel17lstm_cell_forwardIN3c104HalfEfiLi1EEEvNS_4cuda6detail10TensorInfoIT_T1_EESB_SB_SB_SB_SB_SB_SB_SA_SA_
		.amdhsa_group_segment_fixed_size 0
		.amdhsa_private_segment_fixed_size 0
		.amdhsa_kernarg_size 1992
		.amdhsa_user_sgpr_count 6
		.amdhsa_user_sgpr_private_segment_buffer 1
		.amdhsa_user_sgpr_dispatch_ptr 0
		.amdhsa_user_sgpr_queue_ptr 0
		.amdhsa_user_sgpr_kernarg_segment_ptr 1
		.amdhsa_user_sgpr_dispatch_id 0
		.amdhsa_user_sgpr_flat_scratch_init 0
		.amdhsa_user_sgpr_kernarg_preload_length 0
		.amdhsa_user_sgpr_kernarg_preload_offset 0
		.amdhsa_user_sgpr_private_segment_size 0
		.amdhsa_uses_dynamic_stack 0
		.amdhsa_system_sgpr_private_segment_wavefront_offset 0
		.amdhsa_system_sgpr_workgroup_id_x 1
		.amdhsa_system_sgpr_workgroup_id_y 0
		.amdhsa_system_sgpr_workgroup_id_z 0
		.amdhsa_system_sgpr_workgroup_info 0
		.amdhsa_system_vgpr_workitem_id 0
		.amdhsa_next_free_vgpr 48
		.amdhsa_next_free_sgpr 46
		.amdhsa_accum_offset 48
		.amdhsa_reserve_vcc 1
		.amdhsa_reserve_flat_scratch 0
		.amdhsa_float_round_mode_32 0
		.amdhsa_float_round_mode_16_64 0
		.amdhsa_float_denorm_mode_32 3
		.amdhsa_float_denorm_mode_16_64 3
		.amdhsa_dx10_clamp 1
		.amdhsa_ieee_mode 1
		.amdhsa_fp16_overflow 0
		.amdhsa_tg_split 0
		.amdhsa_exception_fp_ieee_invalid_op 0
		.amdhsa_exception_fp_denorm_src 0
		.amdhsa_exception_fp_ieee_div_zero 0
		.amdhsa_exception_fp_ieee_overflow 0
		.amdhsa_exception_fp_ieee_underflow 0
		.amdhsa_exception_fp_ieee_inexact 0
		.amdhsa_exception_int_div_zero 0
	.end_amdhsa_kernel
	.section	.text._ZN2at6native12_GLOBAL__N_16kernel17lstm_cell_forwardIN3c104HalfEfiLi1EEEvNS_4cuda6detail10TensorInfoIT_T1_EESB_SB_SB_SB_SB_SB_SB_SA_SA_,"axG",@progbits,_ZN2at6native12_GLOBAL__N_16kernel17lstm_cell_forwardIN3c104HalfEfiLi1EEEvNS_4cuda6detail10TensorInfoIT_T1_EESB_SB_SB_SB_SB_SB_SB_SA_SA_,comdat
.Lfunc_end8:
	.size	_ZN2at6native12_GLOBAL__N_16kernel17lstm_cell_forwardIN3c104HalfEfiLi1EEEvNS_4cuda6detail10TensorInfoIT_T1_EESB_SB_SB_SB_SB_SB_SB_SA_SA_, .Lfunc_end8-_ZN2at6native12_GLOBAL__N_16kernel17lstm_cell_forwardIN3c104HalfEfiLi1EEEvNS_4cuda6detail10TensorInfoIT_T1_EESB_SB_SB_SB_SB_SB_SB_SA_SA_
                                        ; -- End function
	.section	.AMDGPU.csdata,"",@progbits
; Kernel info:
; codeLenInByte = 2536
; NumSgprs: 50
; NumVgprs: 48
; NumAgprs: 0
; TotalNumVgprs: 48
; ScratchSize: 0
; MemoryBound: 0
; FloatMode: 240
; IeeeMode: 1
; LDSByteSize: 0 bytes/workgroup (compile time only)
; SGPRBlocks: 6
; VGPRBlocks: 5
; NumSGPRsForWavesPerEU: 50
; NumVGPRsForWavesPerEU: 48
; AccumOffset: 48
; Occupancy: 8
; WaveLimiterHint : 1
; COMPUTE_PGM_RSRC2:SCRATCH_EN: 0
; COMPUTE_PGM_RSRC2:USER_SGPR: 6
; COMPUTE_PGM_RSRC2:TRAP_HANDLER: 0
; COMPUTE_PGM_RSRC2:TGID_X_EN: 1
; COMPUTE_PGM_RSRC2:TGID_Y_EN: 0
; COMPUTE_PGM_RSRC2:TGID_Z_EN: 0
; COMPUTE_PGM_RSRC2:TIDIG_COMP_CNT: 0
; COMPUTE_PGM_RSRC3_GFX90A:ACCUM_OFFSET: 11
; COMPUTE_PGM_RSRC3_GFX90A:TG_SPLIT: 0
	.section	.text._ZN2at6native12_GLOBAL__N_16kernel17lstm_cell_forwardIN3c104HalfEfiLi2EEEvNS_4cuda6detail10TensorInfoIT_T1_EESB_SB_SB_SB_SB_SB_SB_SA_SA_,"axG",@progbits,_ZN2at6native12_GLOBAL__N_16kernel17lstm_cell_forwardIN3c104HalfEfiLi2EEEvNS_4cuda6detail10TensorInfoIT_T1_EESB_SB_SB_SB_SB_SB_SB_SA_SA_,comdat
	.globl	_ZN2at6native12_GLOBAL__N_16kernel17lstm_cell_forwardIN3c104HalfEfiLi2EEEvNS_4cuda6detail10TensorInfoIT_T1_EESB_SB_SB_SB_SB_SB_SB_SA_SA_ ; -- Begin function _ZN2at6native12_GLOBAL__N_16kernel17lstm_cell_forwardIN3c104HalfEfiLi2EEEvNS_4cuda6detail10TensorInfoIT_T1_EESB_SB_SB_SB_SB_SB_SB_SA_SA_
	.p2align	8
	.type	_ZN2at6native12_GLOBAL__N_16kernel17lstm_cell_forwardIN3c104HalfEfiLi2EEEvNS_4cuda6detail10TensorInfoIT_T1_EESB_SB_SB_SB_SB_SB_SB_SA_SA_,@function
_ZN2at6native12_GLOBAL__N_16kernel17lstm_cell_forwardIN3c104HalfEfiLi2EEEvNS_4cuda6detail10TensorInfoIT_T1_EESB_SB_SB_SB_SB_SB_SB_SA_SA_: ; @_ZN2at6native12_GLOBAL__N_16kernel17lstm_cell_forwardIN3c104HalfEfiLi2EEEvNS_4cuda6detail10TensorInfoIT_T1_EESB_SB_SB_SB_SB_SB_SB_SA_SA_
; %bb.0:
	s_load_dword s7, s[4:5], 0x6d4
	s_load_dwordx2 s[2:3], s[4:5], 0x6c0
	s_add_u32 s0, s4, 0x6c8
	s_addc_u32 s1, s5, 0
	s_waitcnt lgkmcnt(0)
	s_and_b32 s43, s7, 0xffff
	s_mul_i32 s6, s6, s43
	v_add_u32_e32 v0, s6, v0
	v_cmp_gt_i32_e32 vcc, s3, v0
	s_and_saveexec_b64 s[6:7], vcc
	s_cbranch_execz .LBB9_13
; %bb.1:
	s_load_dwordx2 s[6:7], s[4:5], 0x0
	s_load_dword s33, s[4:5], 0xc
	s_load_dwordx2 s[8:9], s[4:5], 0x6c
	s_load_dwordx2 s[10:11], s[4:5], 0xd8
	s_load_dword s38, s[4:5], 0xe4
	s_load_dwordx2 s[12:13], s[4:5], 0x144
	;; [unrolled: 3-line block ×3, first 2 shown]
	s_load_dword s40, s[4:5], 0x2f4
	s_load_dwordx2 s[18:19], s[4:5], 0x360
	s_load_dword s59, s[4:5], 0x36c
	s_load_dwordx2 s[20:21], s[4:5], 0x3cc
	s_load_dwordx2 s[22:23], s[4:5], 0x438
	s_load_dword s60, s[4:5], 0x444
	s_load_dwordx2 s[24:25], s[4:5], 0x4a4
	s_waitcnt lgkmcnt(0)
	s_cmp_lg_u64 s[14:15], 0
	s_cselect_b64 s[26:27], -1, 0
	s_abs_i32 s41, s2
	v_cvt_f32_u32_e32 v1, s41
	s_load_dwordx2 s[28:29], s[4:5], 0x510
	s_load_dword s61, s[4:5], 0x51c
	s_load_dwordx2 s[30:31], s[4:5], 0x57c
	s_load_dwordx2 s[34:35], s[4:5], 0x5e8
	s_load_dword s44, s[0:1], 0x0
	s_sub_i32 s0, 0, s41
	s_abs_i32 s46, s38
	v_rcp_iflag_f32_e32 v1, v1
	s_load_dword s42, s[4:5], 0x5f4
	s_load_dwordx2 s[36:37], s[4:5], 0x654
	s_waitcnt lgkmcnt(0)
	s_mul_i32 s43, s44, s43
	s_abs_i32 s44, s33
	v_mul_f32_e32 v1, 0x4f7ffffe, v1
	v_cvt_f32_u32_e32 v2, s44
	v_cvt_u32_f32_e32 v1, v1
	s_abs_i32 s48, s42
	s_abs_i32 s50, s59
	v_rcp_iflag_f32_e32 v2, v2
	v_mul_lo_u32 v3, s0, v1
	v_mul_hi_u32 v3, v1, v3
	v_add_u32_e32 v1, v1, v3
	v_cvt_f32_u32_e32 v3, s46
	v_mul_f32_e32 v2, 0x4f7ffffe, v2
	v_cvt_u32_f32_e32 v2, v2
	s_sub_i32 s0, 0, s44
	v_rcp_iflag_f32_e32 v3, v3
	s_abs_i32 s53, s60
	v_mul_lo_u32 v4, s0, v2
	v_mul_hi_u32 v4, v2, v4
	v_add_u32_e32 v6, v2, v4
	v_mul_f32_e32 v2, 0x4f7ffffe, v3
	v_cvt_f32_u32_e32 v3, s48
	v_cvt_u32_f32_e32 v2, v2
	s_sub_i32 s0, 0, s46
	s_abs_i32 s54, s61
	v_rcp_iflag_f32_e32 v3, v3
	v_mul_lo_u32 v4, s0, v2
	v_mul_hi_u32 v4, v2, v4
	v_add_u32_e32 v7, v2, v4
	v_mul_f32_e32 v2, 0x4f7ffffe, v3
	v_cvt_f32_u32_e32 v3, s50
	v_cvt_u32_f32_e32 v2, v2
	s_sub_i32 s0, 0, s48
	s_mov_b64 s[4:5], 0
	v_rcp_iflag_f32_e32 v3, v3
	v_mul_lo_u32 v4, s0, v2
	v_mul_hi_u32 v4, v2, v4
	v_add_u32_e32 v8, v2, v4
	v_mul_f32_e32 v2, 0x4f7ffffe, v3
	v_cvt_u32_f32_e32 v2, v2
	s_sub_i32 s0, 0, s50
	v_cvt_f32_u32_e32 v3, s53
	s_ashr_i32 s45, s2, 31
	v_mul_lo_u32 v4, s0, v2
	v_mul_hi_u32 v4, v2, v4
	v_add_u32_e32 v9, v2, v4
	v_cvt_f32_u32_e32 v2, s54
	v_rcp_iflag_f32_e32 v3, v3
	s_sub_i32 s0, 0, s53
	s_ashr_i32 s47, s33, 31
	v_rcp_iflag_f32_e32 v2, v2
	v_mul_f32_e32 v3, 0x4f7ffffe, v3
	v_cvt_u32_f32_e32 v3, v3
	s_ashr_i32 s49, s38, 31
	v_mul_f32_e32 v2, 0x4f7ffffe, v2
	v_cvt_u32_f32_e32 v2, v2
	v_mul_lo_u32 v4, s0, v3
	v_mul_hi_u32 v4, v3, v4
	s_sub_i32 s0, 0, s54
	v_add_u32_e32 v10, v3, v4
	v_mul_lo_u32 v3, s0, v2
	v_mul_hi_u32 v3, v2, v3
	s_ashr_i32 s51, s42, 31
	s_ashr_i32 s52, s59, 31
	;; [unrolled: 1-line block ×4, first 2 shown]
	v_add_u32_e32 v11, v2, v3
	s_mul_i32 s57, s2, 3
	s_sub_i32 s58, 0, s2
	s_sub_i32 s59, 0, s59
	;; [unrolled: 1-line block ×4, first 2 shown]
	v_mov_b32_e32 v12, s7
	v_mov_b32_e32 v13, s11
	;; [unrolled: 1-line block ×3, first 2 shown]
	s_mov_b32 s7, 0x3f200000
	s_mov_b32 s11, 0x3fb8aa3b
	;; [unrolled: 1-line block ×4, first 2 shown]
	v_mov_b32_e32 v15, 0xbd5c1c4e
	v_mov_b32_e32 v16, 0x3e088382
	;; [unrolled: 1-line block ×3, first 2 shown]
	s_mov_b32 s63, 0xbfb8aa3b
	s_mov_b32 s64, 0x42ce8ed0
	;; [unrolled: 1-line block ×3, first 2 shown]
	s_brev_b32 s66, -2
	v_mov_b32_e32 v18, 0x7f800000
	s_branch .LBB9_3
.LBB9_2:                                ;   in Loop: Header=BB9_3 Depth=1
	s_or_b64 exec, exec, s[0:1]
	v_cvt_f32_f16_e32 v29, v29
	v_cvt_f32_f16_e32 v31, v31
	;; [unrolled: 1-line block ×4, first 2 shown]
	v_xor_b32_e32 v3, s51, v3
	v_add_f32_e32 v29, v29, v31
	v_add_f32_e32 v29, v29, v36
	;; [unrolled: 1-line block ×3, first 2 shown]
	v_mul_f32_e32 v31, 0xbfb8aa3b, v29
	v_fma_f32 v36, v29, s63, -v31
	v_rndne_f32_e32 v37, v31
	v_fmac_f32_e32 v36, 0xb2a5705f, v29
	v_sub_f32_e32 v31, v31, v37
	v_add_f32_e32 v31, v31, v36
	v_cvt_i32_f32_e32 v36, v37
	v_exp_f32_e32 v31, v31
	v_cmp_nlt_f32_e32 vcc, s64, v29
	v_ldexp_f32 v31, v31, v36
	v_cndmask_b32_e32 v31, 0, v31, vcc
	v_cmp_ngt_f32_e32 vcc, s65, v29
	v_cndmask_b32_e32 v29, v18, v31, vcc
	v_add_f32_e32 v29, 1.0, v29
	v_div_scale_f32 v31, s[0:1], v29, v29, 1.0
	v_rcp_f32_e32 v36, v31
	v_fma_f32 v37, -v31, v36, 1.0
	v_fmac_f32_e32 v36, v37, v36
	v_div_scale_f32 v37, vcc, 1.0, v29, 1.0
	v_mul_f32_e32 v38, v37, v36
	v_fma_f32 v39, -v31, v38, v37
	v_fmac_f32_e32 v38, v39, v36
	v_fma_f32 v31, -v31, v38, v37
	v_div_fmas_f32 v31, v31, v36, v38
	v_div_fixup_f32 v29, v31, v29, 1.0
	v_mul_hi_u32 v31, v5, v8
	v_mul_lo_u32 v36, v31, s48
	v_sub_u32_e32 v5, v5, v36
	v_add_u32_e32 v36, 1, v31
	v_cmp_le_u32_e32 vcc, s48, v5
	v_cndmask_b32_e32 v31, v31, v36, vcc
	v_subrev_u32_e32 v36, s48, v5
	v_cndmask_b32_e32 v5, v5, v36, vcc
	v_add_u32_e32 v36, 1, v31
	v_cmp_le_u32_e32 vcc, s48, v5
	v_cndmask_b32_e32 v5, v31, v36, vcc
	v_xor_b32_e32 v5, v5, v3
	v_sub_u32_e32 v3, v5, v3
	v_mul_lo_u32 v5, v3, s42
	v_sub_u32_e32 v2, v2, v5
	v_add_u32_e32 v2, v0, v2
	v_mul_lo_u32 v2, v2, s37
	v_mad_u64_u32 v[2:3], s[0:1], v3, s36, v[2:3]
	v_ashrrev_i32_e32 v3, 31, v2
	v_lshlrev_b64 v[2:3], 1, v[2:3]
	v_xor_b32_e32 v5, s51, v23
	v_mul_hi_u32 v23, v24, v8
	v_mov_b32_e32 v31, s35
	v_add_co_u32_e32 v2, vcc, s34, v2
	v_mul_lo_u32 v36, v23, s48
	v_addc_co_u32_e32 v3, vcc, v31, v3, vcc
	v_sub_u32_e32 v24, v24, v36
	v_add_u32_e32 v36, 1, v23
	v_cmp_le_u32_e32 vcc, s48, v24
	v_cndmask_b32_e32 v23, v23, v36, vcc
	v_subrev_u32_e32 v36, s48, v24
	v_cndmask_b32_e32 v24, v24, v36, vcc
	v_add_u32_e32 v36, 1, v23
	v_cmp_le_u32_e32 vcc, s48, v24
	v_cndmask_b32_e32 v23, v23, v36, vcc
	v_xor_b32_e32 v23, v23, v5
	v_sub_u32_e32 v5, v23, v5
	v_mul_lo_u32 v23, v5, s42
	v_sub_u32_e32 v4, v4, v23
	v_add_u32_e32 v4, v0, v4
	v_mul_lo_u32 v4, v4, s37
	v_mad_u64_u32 v[4:5], s[0:1], v5, s36, v[4:5]
	v_ashrrev_i32_e32 v5, 31, v4
	v_lshlrev_b64 v[4:5], 1, v[4:5]
	v_mul_hi_u32 v24, v26, v8
	v_add_co_u32_e32 v4, vcc, s34, v4
	v_xor_b32_e32 v23, s51, v25
	v_mul_lo_u32 v25, v24, s48
	v_addc_co_u32_e32 v5, vcc, v31, v5, vcc
	v_sub_u32_e32 v25, v26, v25
	v_add_u32_e32 v26, 1, v24
	v_cmp_le_u32_e32 vcc, s48, v25
	v_cndmask_b32_e32 v24, v24, v26, vcc
	v_subrev_u32_e32 v26, s48, v25
	v_cndmask_b32_e32 v25, v25, v26, vcc
	v_add_u32_e32 v26, 1, v24
	v_cmp_le_u32_e32 vcc, s48, v25
	v_cndmask_b32_e32 v24, v24, v26, vcc
	v_xor_b32_e32 v24, v24, v23
	v_sub_u32_e32 v23, v24, v23
	v_mul_lo_u32 v24, v23, s42
	v_sub_u32_e32 v21, v21, v24
	v_add_u32_e32 v21, v0, v21
	v_mul_lo_u32 v24, v21, s37
	v_mad_u64_u32 v[24:25], s[0:1], v23, s36, v[24:25]
	v_ashrrev_i32_e32 v25, 31, v24
	v_lshlrev_b64 v[24:25], 1, v[24:25]
	v_mul_hi_u32 v23, v28, v8
	v_add_co_u32_e32 v24, vcc, s34, v24
	v_mul_lo_u32 v26, v23, s48
	v_addc_co_u32_e32 v25, vcc, v31, v25, vcc
	v_sub_u32_e32 v26, v28, v26
	v_xor_b32_e32 v21, s51, v27
	v_add_u32_e32 v27, 1, v23
	v_cmp_le_u32_e32 vcc, s48, v26
	v_cndmask_b32_e32 v23, v23, v27, vcc
	v_subrev_u32_e32 v27, s48, v26
	v_cndmask_b32_e32 v26, v26, v27, vcc
	v_add_u32_e32 v27, 1, v23
	v_cmp_le_u32_e32 vcc, s48, v26
	v_cndmask_b32_e32 v23, v23, v27, vcc
	v_xor_b32_e32 v23, v23, v21
	v_sub_u32_e32 v21, v23, v21
	v_mul_lo_u32 v23, v21, s42
	v_sub_u32_e32 v22, v22, v23
	v_add_u32_e32 v22, v0, v22
	v_mul_lo_u32 v22, v22, s37
	v_mad_u64_u32 v[22:23], s[0:1], v21, s36, v[22:23]
	v_ashrrev_i32_e32 v23, 31, v22
	v_lshlrev_b64 v[22:23], 1, v[22:23]
	v_mul_hi_u32 v26, v20, v10
	v_add_co_u32_e32 v22, vcc, s34, v22
	v_mul_lo_u32 v27, v26, s53
	v_addc_co_u32_e32 v23, vcc, v31, v23, vcc
	v_sub_u32_e32 v27, v20, v27
	v_add_u32_e32 v28, 1, v26
	v_cmp_le_u32_e32 vcc, s53, v27
	v_cndmask_b32_e32 v26, v26, v28, vcc
	v_subrev_u32_e32 v28, s53, v27
	v_cndmask_b32_e32 v27, v27, v28, vcc
	v_add_u32_e32 v28, 1, v26
	v_cmp_le_u32_e32 vcc, s53, v27
	v_xor_b32_e32 v21, s55, v19
	v_cndmask_b32_e32 v26, v26, v28, vcc
	v_xor_b32_e32 v26, v26, v21
	v_sub_u32_e32 v21, v26, v21
	v_mad_u64_u32 v[26:27], s[0:1], s60, v21, v[0:1]
	v_mul_lo_u32 v26, v26, s25
	v_mad_u64_u32 v[26:27], s[0:1], v21, s24, v[26:27]
	v_ashrrev_i32_e32 v27, 31, v26
	v_lshlrev_b64 v[26:27], 1, v[26:27]
	v_mov_b32_e32 v21, s23
	v_add_co_u32_e32 v26, vcc, s22, v26
	v_addc_co_u32_e32 v27, vcc, v21, v27, vcc
	v_mul_hi_u32 v21, v20, v11
	v_mul_lo_u32 v28, v21, s54
	v_sub_u32_e32 v20, v20, v28
	v_add_u32_e32 v28, 1, v21
	v_cmp_le_u32_e32 vcc, s54, v20
	v_cndmask_b32_e32 v21, v21, v28, vcc
	v_subrev_u32_e32 v28, s54, v20
	v_cndmask_b32_e32 v20, v20, v28, vcc
	v_add_u32_e32 v28, 1, v21
	v_cmp_le_u32_e32 vcc, s54, v20
	v_xor_b32_e32 v19, s56, v19
	v_cndmask_b32_e32 v20, v21, v28, vcc
	v_xor_b32_e32 v20, v20, v19
	v_sub_u32_e32 v19, v20, v19
	v_mad_u64_u32 v[20:21], s[0:1], s61, v19, v[0:1]
	v_mul_lo_u32 v20, v20, s31
	v_mad_u64_u32 v[20:21], s[0:1], v19, s30, v[20:21]
	v_ashrrev_i32_e32 v21, 31, v20
	v_lshlrev_b64 v[20:21], 1, v[20:21]
	v_mov_b32_e32 v19, s29
	v_add_co_u32_e32 v20, vcc, s28, v20
	v_addc_co_u32_e32 v21, vcc, v19, v21, vcc
	v_bfi_b32 v19, s66, v35, v34
	v_fma_mixlo_f16 v19, v29, v19, 0
	global_store_short v[26:27], v19, off
	v_cvt_f16_f32_e32 v19, v34
	v_cvt_f16_f32_e32 v26, v30
	;; [unrolled: 1-line block ×4, first 2 shown]
	global_store_short v[20:21], v19, off
	global_store_short v[2:3], v26, off
	;; [unrolled: 1-line block ×4, first 2 shown]
	v_cvt_f16_f32_e32 v2, v29
	v_add_u32_e32 v0, s43, v0
	v_cmp_le_i32_e32 vcc, s3, v0
	s_or_b64 s[4:5], vcc, s[4:5]
	global_store_short v[22:23], v2, off
	s_andn2_b64 exec, exec, s[4:5]
	s_cbranch_execz .LBB9_13
.LBB9_3:                                ; =>This Inner Loop Header: Depth=1
	v_sub_u32_e32 v2, 0, v0
	v_max_i32_e32 v20, v0, v2
	v_mul_hi_u32 v2, v20, v1
	v_mul_lo_u32 v3, v2, s41
	v_sub_u32_e32 v3, v20, v3
	v_add_u32_e32 v4, 1, v2
	v_cmp_le_u32_e32 vcc, s41, v3
	v_cndmask_b32_e32 v2, v2, v4, vcc
	v_subrev_u32_e32 v4, s41, v3
	v_cndmask_b32_e32 v3, v3, v4, vcc
	v_ashrrev_i32_e32 v19, 31, v0
	v_add_u32_e32 v4, 1, v2
	v_cmp_le_u32_e32 vcc, s41, v3
	v_xor_b32_e32 v32, s45, v19
	v_cndmask_b32_e32 v2, v2, v4, vcc
	v_xor_b32_e32 v34, v2, v32
	v_sub_u32_e32 v35, v34, v32
	v_mul_lo_u32 v2, s57, v35
	v_add_u32_e32 v3, v0, v2
	v_ashrrev_i32_e32 v3, 31, v3
	v_add3_u32 v5, v3, v2, v0
	v_xor_b32_e32 v5, v5, v3
	v_mul_hi_u32 v21, v5, v6
	v_mul_lo_u32 v22, v21, s44
	v_sub_u32_e32 v22, v5, v22
	v_add_u32_e32 v23, 1, v21
	v_cmp_le_u32_e32 vcc, s44, v22
	v_cndmask_b32_e32 v21, v21, v23, vcc
	v_subrev_u32_e32 v23, s44, v22
	v_cndmask_b32_e32 v22, v22, v23, vcc
	v_add_u32_e32 v23, 1, v21
	v_cmp_le_u32_e32 vcc, s44, v22
	v_xor_b32_e32 v4, s47, v3
	v_cndmask_b32_e32 v21, v21, v23, vcc
	v_xor_b32_e32 v21, v21, v4
	v_sub_u32_e32 v21, v21, v4
	v_mul_lo_u32 v4, v21, s33
	v_sub_u32_e32 v4, v2, v4
	v_add_u32_e32 v4, v0, v4
	v_mul_lo_u32 v4, v4, s9
	v_mad_u64_u32 v[22:23], s[0:1], v21, s8, v[4:5]
	v_lshl_add_u32 v4, v34, 1, v34
	v_mul_i32_i24_e32 v21, 3, v32
	v_sub_u32_e32 v33, v4, v21
	v_ashrrev_i32_e32 v23, 31, v22
	v_mul_lo_u32 v4, s2, v33
	v_lshlrev_b64 v[22:23], 1, v[22:23]
	v_add_u32_e32 v4, s2, v4
	v_add_co_u32_e32 v30, vcc, s6, v22
	v_add_u32_e32 v21, v0, v4
	v_addc_co_u32_e32 v31, vcc, v12, v23, vcc
	v_ashrrev_i32_e32 v23, 31, v21
	v_add3_u32 v22, v23, v4, v0
	v_xor_b32_e32 v24, v22, v23
	v_mul_hi_u32 v22, v24, v6
	v_mul_lo_u32 v25, v22, s44
	v_sub_u32_e32 v25, v24, v25
	v_add_u32_e32 v26, 1, v22
	v_cmp_le_u32_e32 vcc, s44, v25
	v_cndmask_b32_e32 v22, v22, v26, vcc
	v_subrev_u32_e32 v26, s44, v25
	v_cndmask_b32_e32 v25, v25, v26, vcc
	v_add_u32_e32 v26, 1, v22
	v_cmp_le_u32_e32 vcc, s44, v25
	v_xor_b32_e32 v21, s47, v23
	v_cndmask_b32_e32 v22, v22, v26, vcc
	v_xor_b32_e32 v22, v22, v21
	v_sub_u32_e32 v21, v22, v21
	v_mul_lo_u32 v22, v21, s33
	v_sub_u32_e32 v22, v4, v22
	v_add_u32_e32 v22, v0, v22
	v_mul_lo_u32 v22, v22, s9
	v_mad_u64_u32 v[26:27], s[0:1], v21, s8, v[22:23]
	v_add_u32_e32 v21, 2, v33
	v_mul_lo_u32 v21, s2, v21
	v_ashrrev_i32_e32 v27, 31, v26
	v_add_u32_e32 v22, v0, v21
	v_lshlrev_b64 v[26:27], 1, v[26:27]
	v_ashrrev_i32_e32 v25, 31, v22
	v_add_co_u32_e32 v36, vcc, s6, v26
	v_add3_u32 v26, v25, v21, v0
	v_xor_b32_e32 v26, v26, v25
	v_addc_co_u32_e32 v37, vcc, v12, v27, vcc
	v_mul_hi_u32 v27, v26, v6
	v_mul_lo_u32 v28, v27, s44
	v_sub_u32_e32 v28, v26, v28
	v_add_u32_e32 v29, 1, v27
	v_cmp_le_u32_e32 vcc, s44, v28
	v_cndmask_b32_e32 v27, v27, v29, vcc
	v_subrev_u32_e32 v29, s44, v28
	v_cndmask_b32_e32 v28, v28, v29, vcc
	v_add_u32_e32 v29, 1, v27
	v_cmp_le_u32_e32 vcc, s44, v28
	v_xor_b32_e32 v22, s47, v25
	v_cndmask_b32_e32 v27, v27, v29, vcc
	v_xor_b32_e32 v27, v27, v22
	v_sub_u32_e32 v27, v27, v22
	v_mul_lo_u32 v22, v27, s33
	v_sub_u32_e32 v22, v21, v22
	v_add_u32_e32 v22, v0, v22
	v_mul_lo_u32 v22, v22, s9
	v_mad_u64_u32 v[28:29], s[0:1], v27, s8, v[22:23]
	v_add_u32_e32 v22, 3, v33
	v_mul_lo_u32 v22, s2, v22
	v_ashrrev_i32_e32 v29, 31, v28
	v_add_u32_e32 v27, v0, v22
	v_lshlrev_b64 v[28:29], 1, v[28:29]
	v_ashrrev_i32_e32 v27, 31, v27
	v_add_co_u32_e32 v38, vcc, s6, v28
	v_add3_u32 v28, v27, v22, v0
	v_xor_b32_e32 v28, v28, v27
	v_mul_hi_u32 v33, v28, v6
	v_mul_lo_u32 v40, v33, s44
	v_addc_co_u32_e32 v39, vcc, v12, v29, vcc
	v_sub_u32_e32 v40, v28, v40
	v_add_u32_e32 v41, 1, v33
	v_cmp_le_u32_e32 vcc, s44, v40
	v_cndmask_b32_e32 v33, v33, v41, vcc
	v_subrev_u32_e32 v41, s44, v40
	v_cndmask_b32_e32 v40, v40, v41, vcc
	v_add_u32_e32 v41, 1, v33
	v_cmp_le_u32_e32 vcc, s44, v40
	v_xor_b32_e32 v29, s47, v27
	v_cndmask_b32_e32 v33, v33, v41, vcc
	v_xor_b32_e32 v33, v33, v29
	v_sub_u32_e32 v29, v33, v29
	v_mul_lo_u32 v33, v29, s33
	v_sub_u32_e32 v33, v22, v33
	v_add_u32_e32 v33, v0, v33
	v_mul_lo_u32 v40, v33, s9
	v_mad_u64_u32 v[40:41], s[0:1], v29, s8, v[40:41]
	v_ashrrev_i32_e32 v41, 31, v40
	v_lshlrev_b64 v[40:41], 1, v[40:41]
	v_add_co_u32_e32 v40, vcc, s6, v40
	v_addc_co_u32_e32 v41, vcc, v12, v41, vcc
	global_load_ushort v33, v[30:31], off
	s_nop 0
	global_load_ushort v30, v[36:37], off
	s_nop 0
	global_load_ushort v36, v[38:39], off
	global_load_ushort v29, v[40:41], off
	v_mul_hi_u32 v37, v5, v7
	v_mul_lo_u32 v38, v37, s46
	v_sub_u32_e32 v38, v5, v38
	v_add_u32_e32 v39, 1, v37
	v_cmp_le_u32_e32 vcc, s46, v38
	v_cndmask_b32_e32 v37, v37, v39, vcc
	v_subrev_u32_e32 v39, s46, v38
	v_cndmask_b32_e32 v38, v38, v39, vcc
	v_add_u32_e32 v39, 1, v37
	v_cmp_le_u32_e32 vcc, s46, v38
	v_xor_b32_e32 v31, s49, v3
	v_cndmask_b32_e32 v37, v37, v39, vcc
	v_xor_b32_e32 v37, v37, v31
	v_sub_u32_e32 v31, v37, v31
	v_mul_lo_u32 v37, v31, s38
	v_sub_u32_e32 v37, v2, v37
	v_add_u32_e32 v37, v0, v37
	v_mul_lo_u32 v38, v37, s13
	v_mad_u64_u32 v[38:39], s[0:1], v31, s12, v[38:39]
	v_ashrrev_i32_e32 v39, 31, v38
	v_lshlrev_b64 v[38:39], 1, v[38:39]
	v_mul_hi_u32 v37, v24, v7
	v_add_co_u32_e32 v38, vcc, s10, v38
	v_mul_lo_u32 v40, v37, s46
	v_addc_co_u32_e32 v39, vcc, v13, v39, vcc
	v_sub_u32_e32 v40, v24, v40
	v_add_u32_e32 v41, 1, v37
	v_cmp_le_u32_e32 vcc, s46, v40
	v_cndmask_b32_e32 v37, v37, v41, vcc
	v_subrev_u32_e32 v41, s46, v40
	v_cndmask_b32_e32 v40, v40, v41, vcc
	v_add_u32_e32 v41, 1, v37
	v_cmp_le_u32_e32 vcc, s46, v40
	v_xor_b32_e32 v31, s49, v23
	v_cndmask_b32_e32 v37, v37, v41, vcc
	v_xor_b32_e32 v37, v37, v31
	v_sub_u32_e32 v31, v37, v31
	v_mul_lo_u32 v37, v31, s38
	v_sub_u32_e32 v37, v4, v37
	v_add_u32_e32 v37, v0, v37
	v_mul_lo_u32 v40, v37, s13
	v_mad_u64_u32 v[40:41], s[0:1], v31, s12, v[40:41]
	v_ashrrev_i32_e32 v41, 31, v40
	v_lshlrev_b64 v[40:41], 1, v[40:41]
	v_mul_hi_u32 v37, v26, v7
	v_add_co_u32_e32 v42, vcc, s10, v40
	v_mul_lo_u32 v40, v37, s46
	v_addc_co_u32_e32 v43, vcc, v13, v41, vcc
	;; [unrolled: 23-line block ×3, first 2 shown]
	v_sub_u32_e32 v40, v28, v40
	v_add_u32_e32 v41, 1, v37
	v_cmp_le_u32_e32 vcc, s46, v40
	v_cndmask_b32_e32 v37, v37, v41, vcc
	v_subrev_u32_e32 v41, s46, v40
	v_cndmask_b32_e32 v40, v40, v41, vcc
	v_add_u32_e32 v41, 1, v37
	v_cmp_le_u32_e32 vcc, s46, v40
	v_xor_b32_e32 v31, s49, v27
	v_cndmask_b32_e32 v37, v37, v41, vcc
	v_xor_b32_e32 v37, v37, v31
	v_sub_u32_e32 v31, v37, v31
	v_mul_lo_u32 v37, v31, s38
	v_sub_u32_e32 v37, v22, v37
	v_add_u32_e32 v37, v0, v37
	v_mul_lo_u32 v40, v37, s13
	v_mad_u64_u32 v[40:41], s[0:1], v31, s12, v[40:41]
	v_ashrrev_i32_e32 v41, 31, v40
	v_lshlrev_b64 v[40:41], 1, v[40:41]
	v_add_co_u32_e32 v46, vcc, s10, v40
	v_addc_co_u32_e32 v47, vcc, v13, v41, vcc
	global_load_ushort v41, v[38:39], off
	s_nop 0
	global_load_ushort v39, v[42:43], off
	s_nop 0
	global_load_ushort v43, v[44:45], off
	global_load_ushort v31, v[46:47], off
	v_mul_hi_u32 v38, v20, v9
	v_mul_lo_u32 v40, v38, s50
	v_sub_u32_e32 v40, v20, v40
	v_add_u32_e32 v42, 1, v38
	v_cmp_le_u32_e32 vcc, s50, v40
	v_cndmask_b32_e32 v38, v38, v42, vcc
	v_subrev_u32_e32 v42, s50, v40
	v_cndmask_b32_e32 v40, v40, v42, vcc
	v_add_u32_e32 v42, 1, v38
	v_cmp_le_u32_e32 vcc, s50, v40
	v_xor_b32_e32 v37, s52, v19
	v_cndmask_b32_e32 v38, v38, v42, vcc
	v_xor_b32_e32 v38, v38, v37
	v_sub_u32_e32 v37, v38, v37
	v_mad_u64_u32 v[44:45], s[0:1], s59, v37, v[0:1]
	v_mul_lo_u32 v38, v44, s21
	v_mov_b32_e32 v40, 0
	v_mov_b32_e32 v48, 0
	;; [unrolled: 1-line block ×5, first 2 shown]
	s_waitcnt vmcnt(2)
	v_mad_u64_u32 v[44:45], s[0:1], v37, s20, v[38:39]
	v_ashrrev_i32_e32 v45, 31, v44
	v_lshlrev_b64 v[44:45], 1, v[44:45]
	v_add_co_u32_e32 v44, vcc, s18, v44
	v_addc_co_u32_e32 v45, vcc, v14, v45, vcc
	global_load_ushort v37, v[44:45], off
	s_andn2_b64 vcc, exec, s[26:27]
	v_mov_b32_e32 v44, 0
	v_mov_b32_e32 v38, 0
	;; [unrolled: 1-line block ×3, first 2 shown]
	s_cbranch_vccnz .LBB9_5
; %bb.4:                                ;   in Loop: Header=BB9_3 Depth=1
	v_mad_u64_u32 v[44:45], s[0:1], s58, v35, v[0:1]
	v_sub_u32_e32 v32, v32, v34
	v_mul_lo_u32 v46, v44, s39
	v_mul_lo_u32 v34, s2, v32
	v_ashrrev_i32_e32 v47, 31, v46
	v_add3_u32 v40, v34, s2, v0
	v_lshlrev_b64 v[46:47], 1, v[46:47]
	v_mul_lo_u32 v34, v40, s39
	v_add_u32_e32 v42, 2, v32
	v_mov_b32_e32 v38, s15
	v_add_co_u32_e32 v46, vcc, s14, v46
	v_ashrrev_i32_e32 v35, 31, v34
	v_mad_u64_u32 v[48:49], s[0:1], s2, v42, v[0:1]
	v_addc_co_u32_e32 v47, vcc, v38, v47, vcc
	v_lshlrev_b64 v[34:35], 1, v[34:35]
	v_mul_lo_u32 v50, v48, s39
	v_add_u32_e32 v32, 3, v32
	v_add_co_u32_e32 v34, vcc, s14, v34
	v_ashrrev_i32_e32 v51, 31, v50
	v_mad_u64_u32 v[52:53], s[0:1], s2, v32, v[0:1]
	v_addc_co_u32_e32 v35, vcc, v38, v35, vcc
	v_lshlrev_b64 v[50:51], 1, v[50:51]
	v_mul_lo_u32 v54, v52, s39
	v_add_co_u32_e32 v50, vcc, s14, v50
	v_ashrrev_i32_e32 v55, 31, v54
	v_addc_co_u32_e32 v51, vcc, v38, v51, vcc
	v_lshlrev_b64 v[54:55], 1, v[54:55]
	v_add_co_u32_e32 v54, vcc, s14, v54
	v_addc_co_u32_e32 v55, vcc, v38, v55, vcc
	global_load_ushort v45, v[46:47], off
	global_load_ushort v42, v[34:35], off
	s_nop 0
	global_load_ushort v47, v[50:51], off
	global_load_ushort v38, v[54:55], off
	v_mul_lo_u32 v34, v44, s40
	v_ashrrev_i32_e32 v35, 31, v34
	v_lshlrev_b64 v[34:35], 1, v[34:35]
	v_mul_lo_u32 v50, v40, s40
	v_mov_b32_e32 v32, s17
	v_add_co_u32_e32 v34, vcc, s16, v34
	v_ashrrev_i32_e32 v51, 31, v50
	v_addc_co_u32_e32 v35, vcc, v32, v35, vcc
	v_lshlrev_b64 v[50:51], 1, v[50:51]
	v_mul_lo_u32 v48, v48, s40
	v_add_co_u32_e32 v50, vcc, s16, v50
	v_ashrrev_i32_e32 v49, 31, v48
	v_addc_co_u32_e32 v51, vcc, v32, v51, vcc
	v_lshlrev_b64 v[48:49], 1, v[48:49]
	v_mul_lo_u32 v52, v52, s40
	v_add_co_u32_e32 v48, vcc, s16, v48
	v_ashrrev_i32_e32 v53, 31, v52
	v_addc_co_u32_e32 v49, vcc, v32, v49, vcc
	v_lshlrev_b64 v[52:53], 1, v[52:53]
	v_add_co_u32_e32 v52, vcc, s16, v52
	v_addc_co_u32_e32 v53, vcc, v32, v53, vcc
	global_load_ushort v46, v[34:35], off
	global_load_ushort v44, v[50:51], off
	s_nop 0
	global_load_ushort v48, v[48:49], off
	s_nop 0
	global_load_ushort v40, v[52:53], off
.LBB9_5:                                ;   in Loop: Header=BB9_3 Depth=1
	v_cvt_f32_f16_e32 v32, v36
	s_waitcnt vmcnt(2)
	v_cvt_f32_f16_e32 v34, v43
	v_cvt_f32_f16_e32 v35, v47
	s_waitcnt vmcnt(1)
	v_cvt_f32_f16_e32 v36, v48
	v_add_f32_e32 v32, v32, v34
	v_add_f32_e32 v32, v32, v35
	;; [unrolled: 1-line block ×3, first 2 shown]
	v_cmp_nlt_f32_e64 s[0:1], |v32|, s7
                                        ; implicit-def: $vgpr34
	s_and_saveexec_b64 s[68:69], s[0:1]
	s_xor_b64 s[0:1], exec, s[68:69]
	s_cbranch_execz .LBB9_7
; %bb.6:                                ;   in Loop: Header=BB9_3 Depth=1
	v_add_f32_e64 v34, |v32|, |v32|
	v_mul_f32_e32 v35, 0x3fb8aa3b, v34
	v_rndne_f32_e32 v36, v35
	v_sub_f32_e32 v43, v35, v36
	v_fma_f32 v35, v34, s11, -v35
	v_fmac_f32_e32 v35, 0x32a5705f, v34
	v_add_f32_e32 v35, v43, v35
	v_cvt_i32_f32_e32 v36, v36
	v_exp_f32_e32 v35, v35
	v_cmp_ngt_f32_e32 vcc, s19, v34
	v_ldexp_f32 v35, v35, v36
	v_cndmask_b32_e32 v35, 0, v35, vcc
	v_cmp_nlt_f32_e32 vcc, s62, v34
	v_cndmask_b32_e32 v34, v18, v35, vcc
	v_add_f32_e32 v34, 1.0, v34
	v_rcp_f32_e32 v34, v34
	v_fma_f32 v34, v34, -2.0, 1.0
.LBB9_7:                                ;   in Loop: Header=BB9_3 Depth=1
	s_andn2_saveexec_b64 s[0:1], s[0:1]
; %bb.8:                                ;   in Loop: Header=BB9_3 Depth=1
	v_mul_f32_e32 v34, v32, v32
	v_mov_b32_e32 v35, 0x3ca908c9
	v_fmac_f32_e32 v35, 0xbbbac73d, v34
	v_fma_f32 v35, v34, v35, v15
	v_fma_f32 v35, v34, v35, v16
	;; [unrolled: 1-line block ×3, first 2 shown]
	v_mul_f32_e64 v35, |v32|, v35
	v_fma_f32 v34, v34, v35, |v32|
; %bb.9:                                ;   in Loop: Header=BB9_3 Depth=1
	s_or_b64 exec, exec, s[0:1]
	v_cvt_f32_f16_e32 v33, v33
	v_cvt_f32_f16_e32 v35, v41
	;; [unrolled: 1-line block ×5, first 2 shown]
	v_add_f32_e32 v33, v33, v35
	v_add_f32_e32 v33, v33, v36
	;; [unrolled: 1-line block ×3, first 2 shown]
	v_mul_f32_e32 v35, 0xbfb8aa3b, v33
	v_fma_f32 v36, v33, s63, -v35
	v_rndne_f32_e32 v41, v35
	v_fmac_f32_e32 v36, 0xb2a5705f, v33
	v_sub_f32_e32 v35, v35, v41
	v_add_f32_e32 v35, v35, v36
	v_cvt_f32_f16_e32 v39, v39
	v_cvt_i32_f32_e32 v36, v41
	v_exp_f32_e32 v35, v35
	v_cvt_f32_f16_e32 v42, v42
	v_cvt_f32_f16_e32 v43, v44
	v_add_f32_e32 v30, v30, v39
	v_ldexp_f32 v35, v35, v36
	v_cmp_nlt_f32_e32 vcc, s64, v33
	v_add_f32_e32 v30, v30, v42
	v_cndmask_b32_e32 v35, 0, v35, vcc
	v_cmp_ngt_f32_e32 vcc, s65, v33
	v_add_f32_e32 v30, v30, v43
	v_cndmask_b32_e32 v33, v18, v35, vcc
	v_mul_f32_e32 v39, 0xbfb8aa3b, v30
	v_add_f32_e32 v33, 1.0, v33
	v_fma_f32 v42, v30, s63, -v39
	v_rndne_f32_e32 v43, v39
	v_div_scale_f32 v35, s[0:1], v33, v33, 1.0
	v_fmac_f32_e32 v42, 0xb2a5705f, v30
	v_sub_f32_e32 v39, v39, v43
	v_rcp_f32_e32 v36, v35
	v_add_f32_e32 v39, v39, v42
	v_exp_f32_e32 v39, v39
	v_cvt_i32_f32_e32 v42, v43
	v_fma_f32 v41, -v35, v36, 1.0
	v_fmac_f32_e32 v36, v41, v36
	v_div_scale_f32 v41, vcc, 1.0, v33, 1.0
	v_ldexp_f32 v39, v39, v42
	v_cmp_nlt_f32_e64 s[0:1], s64, v30
	v_mul_f32_e32 v44, v41, v36
	v_cndmask_b32_e64 v39, 0, v39, s[0:1]
	v_cmp_ngt_f32_e64 s[0:1], s65, v30
	v_fma_f32 v43, -v35, v44, v41
	v_cndmask_b32_e64 v30, v18, v39, s[0:1]
	v_fmac_f32_e32 v44, v43, v36
	v_add_f32_e32 v39, 1.0, v30
	v_fma_f32 v35, -v35, v44, v41
	v_div_scale_f32 v41, s[0:1], v39, v39, 1.0
	v_rcp_f32_e32 v42, v41
	v_div_fmas_f32 v30, v35, v36, v44
	v_div_fixup_f32 v30, v30, v33, 1.0
	v_bfi_b32 v32, s66, v34, v32
	v_fma_f32 v33, -v41, v42, 1.0
	v_fmac_f32_e32 v42, v33, v42
	v_div_scale_f32 v33, vcc, 1.0, v39, 1.0
	v_mul_f32_e32 v35, v33, v42
	v_fma_f32 v36, -v41, v35, v33
	v_fmac_f32_e32 v35, v36, v42
	v_fma_f32 v33, -v41, v35, v33
	v_div_fmas_f32 v33, v33, v42, v35
	v_div_fixup_f32 v33, v33, v39, 1.0
	v_mul_f32_e32 v34, v30, v32
	s_waitcnt vmcnt(0)
	v_fma_mix_f32 v34, v33, v37, v34 op_sel_hi:[0,1,0]
	v_cmp_nlt_f32_e64 s[0:1], |v34|, s7
                                        ; implicit-def: $vgpr35
	s_and_saveexec_b64 s[68:69], s[0:1]
	s_xor_b64 s[0:1], exec, s[68:69]
	s_cbranch_execz .LBB9_11
; %bb.10:                               ;   in Loop: Header=BB9_3 Depth=1
	v_add_f32_e64 v35, |v34|, |v34|
	v_mul_f32_e32 v36, 0x3fb8aa3b, v35
	v_rndne_f32_e32 v37, v36
	v_sub_f32_e32 v39, v36, v37
	v_fma_f32 v36, v35, s11, -v36
	v_fmac_f32_e32 v36, 0x32a5705f, v35
	v_add_f32_e32 v36, v39, v36
	v_cvt_i32_f32_e32 v37, v37
	v_exp_f32_e32 v36, v36
	v_cmp_ngt_f32_e32 vcc, s19, v35
	v_ldexp_f32 v36, v36, v37
	v_cndmask_b32_e32 v36, 0, v36, vcc
	v_cmp_nlt_f32_e32 vcc, s62, v35
	v_cndmask_b32_e32 v35, v18, v36, vcc
	v_add_f32_e32 v35, 1.0, v35
	v_rcp_f32_e32 v35, v35
	v_fma_f32 v35, v35, -2.0, 1.0
.LBB9_11:                               ;   in Loop: Header=BB9_3 Depth=1
	s_andn2_saveexec_b64 s[0:1], s[0:1]
	s_cbranch_execz .LBB9_2
; %bb.12:                               ;   in Loop: Header=BB9_3 Depth=1
	v_mul_f32_e32 v35, v34, v34
	v_mov_b32_e32 v36, 0x3ca908c9
	v_fmac_f32_e32 v36, 0xbbbac73d, v35
	v_fma_f32 v36, v35, v36, v15
	v_fma_f32 v36, v35, v36, v16
	;; [unrolled: 1-line block ×3, first 2 shown]
	v_mul_f32_e64 v36, |v34|, v36
	v_fma_f32 v35, v35, v36, |v34|
	s_branch .LBB9_2
.LBB9_13:
	s_endpgm
	.section	.rodata,"a",@progbits
	.p2align	6, 0x0
	.amdhsa_kernel _ZN2at6native12_GLOBAL__N_16kernel17lstm_cell_forwardIN3c104HalfEfiLi2EEEvNS_4cuda6detail10TensorInfoIT_T1_EESB_SB_SB_SB_SB_SB_SB_SA_SA_
		.amdhsa_group_segment_fixed_size 0
		.amdhsa_private_segment_fixed_size 0
		.amdhsa_kernarg_size 1992
		.amdhsa_user_sgpr_count 6
		.amdhsa_user_sgpr_private_segment_buffer 1
		.amdhsa_user_sgpr_dispatch_ptr 0
		.amdhsa_user_sgpr_queue_ptr 0
		.amdhsa_user_sgpr_kernarg_segment_ptr 1
		.amdhsa_user_sgpr_dispatch_id 0
		.amdhsa_user_sgpr_flat_scratch_init 0
		.amdhsa_user_sgpr_kernarg_preload_length 0
		.amdhsa_user_sgpr_kernarg_preload_offset 0
		.amdhsa_user_sgpr_private_segment_size 0
		.amdhsa_uses_dynamic_stack 0
		.amdhsa_system_sgpr_private_segment_wavefront_offset 0
		.amdhsa_system_sgpr_workgroup_id_x 1
		.amdhsa_system_sgpr_workgroup_id_y 0
		.amdhsa_system_sgpr_workgroup_id_z 0
		.amdhsa_system_sgpr_workgroup_info 0
		.amdhsa_system_vgpr_workitem_id 0
		.amdhsa_next_free_vgpr 56
		.amdhsa_next_free_sgpr 70
		.amdhsa_accum_offset 56
		.amdhsa_reserve_vcc 1
		.amdhsa_reserve_flat_scratch 0
		.amdhsa_float_round_mode_32 0
		.amdhsa_float_round_mode_16_64 0
		.amdhsa_float_denorm_mode_32 3
		.amdhsa_float_denorm_mode_16_64 3
		.amdhsa_dx10_clamp 1
		.amdhsa_ieee_mode 1
		.amdhsa_fp16_overflow 0
		.amdhsa_tg_split 0
		.amdhsa_exception_fp_ieee_invalid_op 0
		.amdhsa_exception_fp_denorm_src 0
		.amdhsa_exception_fp_ieee_div_zero 0
		.amdhsa_exception_fp_ieee_overflow 0
		.amdhsa_exception_fp_ieee_underflow 0
		.amdhsa_exception_fp_ieee_inexact 0
		.amdhsa_exception_int_div_zero 0
	.end_amdhsa_kernel
	.section	.text._ZN2at6native12_GLOBAL__N_16kernel17lstm_cell_forwardIN3c104HalfEfiLi2EEEvNS_4cuda6detail10TensorInfoIT_T1_EESB_SB_SB_SB_SB_SB_SB_SA_SA_,"axG",@progbits,_ZN2at6native12_GLOBAL__N_16kernel17lstm_cell_forwardIN3c104HalfEfiLi2EEEvNS_4cuda6detail10TensorInfoIT_T1_EESB_SB_SB_SB_SB_SB_SB_SA_SA_,comdat
.Lfunc_end9:
	.size	_ZN2at6native12_GLOBAL__N_16kernel17lstm_cell_forwardIN3c104HalfEfiLi2EEEvNS_4cuda6detail10TensorInfoIT_T1_EESB_SB_SB_SB_SB_SB_SB_SA_SA_, .Lfunc_end9-_ZN2at6native12_GLOBAL__N_16kernel17lstm_cell_forwardIN3c104HalfEfiLi2EEEvNS_4cuda6detail10TensorInfoIT_T1_EESB_SB_SB_SB_SB_SB_SB_SA_SA_
                                        ; -- End function
	.section	.AMDGPU.csdata,"",@progbits
; Kernel info:
; codeLenInByte = 4264
; NumSgprs: 74
; NumVgprs: 56
; NumAgprs: 0
; TotalNumVgprs: 56
; ScratchSize: 0
; MemoryBound: 0
; FloatMode: 240
; IeeeMode: 1
; LDSByteSize: 0 bytes/workgroup (compile time only)
; SGPRBlocks: 9
; VGPRBlocks: 6
; NumSGPRsForWavesPerEU: 74
; NumVGPRsForWavesPerEU: 56
; AccumOffset: 56
; Occupancy: 8
; WaveLimiterHint : 1
; COMPUTE_PGM_RSRC2:SCRATCH_EN: 0
; COMPUTE_PGM_RSRC2:USER_SGPR: 6
; COMPUTE_PGM_RSRC2:TRAP_HANDLER: 0
; COMPUTE_PGM_RSRC2:TGID_X_EN: 1
; COMPUTE_PGM_RSRC2:TGID_Y_EN: 0
; COMPUTE_PGM_RSRC2:TGID_Z_EN: 0
; COMPUTE_PGM_RSRC2:TIDIG_COMP_CNT: 0
; COMPUTE_PGM_RSRC3_GFX90A:ACCUM_OFFSET: 13
; COMPUTE_PGM_RSRC3_GFX90A:TG_SPLIT: 0
	.section	.text._ZN2at6native12_GLOBAL__N_16kernel17lstm_cell_forwardIN3c104HalfEflLi1EEEvNS_4cuda6detail10TensorInfoIT_T1_EESB_SB_SB_SB_SB_SB_SB_SA_SA_,"axG",@progbits,_ZN2at6native12_GLOBAL__N_16kernel17lstm_cell_forwardIN3c104HalfEflLi1EEEvNS_4cuda6detail10TensorInfoIT_T1_EESB_SB_SB_SB_SB_SB_SB_SA_SA_,comdat
	.globl	_ZN2at6native12_GLOBAL__N_16kernel17lstm_cell_forwardIN3c104HalfEflLi1EEEvNS_4cuda6detail10TensorInfoIT_T1_EESB_SB_SB_SB_SB_SB_SB_SA_SA_ ; -- Begin function _ZN2at6native12_GLOBAL__N_16kernel17lstm_cell_forwardIN3c104HalfEflLi1EEEvNS_4cuda6detail10TensorInfoIT_T1_EESB_SB_SB_SB_SB_SB_SB_SA_SA_
	.p2align	8
	.type	_ZN2at6native12_GLOBAL__N_16kernel17lstm_cell_forwardIN3c104HalfEflLi1EEEvNS_4cuda6detail10TensorInfoIT_T1_EESB_SB_SB_SB_SB_SB_SB_SA_SA_,@function
_ZN2at6native12_GLOBAL__N_16kernel17lstm_cell_forwardIN3c104HalfEflLi1EEEvNS_4cuda6detail10TensorInfoIT_T1_EESB_SB_SB_SB_SB_SB_SB_SA_SA_: ; @_ZN2at6native12_GLOBAL__N_16kernel17lstm_cell_forwardIN3c104HalfEflLi1EEEvNS_4cuda6detail10TensorInfoIT_T1_EESB_SB_SB_SB_SB_SB_SB_SA_SA_
; %bb.0:
	s_load_dword s2, s[4:5], 0xd1c
	s_load_dwordx4 s[8:11], s[4:5], 0xd00
	s_add_u32 s0, s4, 0xd10
	s_addc_u32 s1, s5, 0
	v_mov_b32_e32 v2, 0
	s_waitcnt lgkmcnt(0)
	s_and_b32 s30, s2, 0xffff
	s_mul_i32 s6, s6, s30
	v_add_u32_e32 v0, s6, v0
	v_mov_b32_e32 v1, v2
	v_cmp_gt_i64_e32 vcc, s[10:11], v[0:1]
	s_and_saveexec_b64 s[2:3], vcc
	s_cbranch_execz .LBB10_17
; %bb.1:
	s_load_dwordx2 s[2:3], s[4:5], 0x0
	s_load_dwordx2 s[6:7], s[4:5], 0xd0
	;; [unrolled: 1-line block ×12, first 2 shown]
	s_load_dword s31, s[0:1], 0x0
	s_load_dwordx2 s[42:43], s[4:5], 0x9c0
	s_load_dwordx2 s[50:51], s[4:5], 0xa90
                                        ; kill: killed $sgpr0 killed $sgpr1
	s_load_dwordx2 s[24:25], s[4:5], 0xb60
	s_load_dwordx2 s[26:27], s[4:5], 0xc30
	s_waitcnt lgkmcnt(0)
	s_cmp_lg_u64 s[16:17], 0
	s_mul_i32 s0, s9, 3
	s_mul_hi_u32 s1, s8, 3
	s_cselect_b64 s[28:29], -1, 0
	s_add_i32 s45, s1, s0
	v_mul_lo_u32 v3, 0, s36
	v_mul_lo_u32 v6, v0, s37
	v_mad_u64_u32 v[4:5], s[0:1], v0, s36, 0
	s_mul_i32 s33, s31, s30
	v_add3_u32 v5, v5, v6, v3
	s_sub_u32 s47, 0, s8
	v_lshlrev_b64 v[4:5], 1, v[4:5]
	s_mul_i32 s0, s33, s37
	s_mul_hi_u32 s1, s33, s36
	s_subb_u32 s48, 0, s9
	v_mov_b32_e32 v3, s35
	v_add_co_u32_e32 v4, vcc, s34, v4
	s_add_i32 s1, s1, s0
	s_mul_i32 s0, s33, s36
	v_addc_co_u32_e32 v5, vcc, v3, v5, vcc
	s_lshl_b64 s[30:31], s[0:1], 1
	v_mul_lo_u32 v3, 0, s40
	v_mul_lo_u32 v8, v0, s41
	v_mad_u64_u32 v[6:7], s[0:1], v0, s40, 0
	v_add3_u32 v7, v7, v8, v3
	v_lshlrev_b64 v[6:7], 1, v[6:7]
	s_mul_i32 s0, s33, s41
	s_mul_hi_u32 s1, s33, s40
	v_mov_b32_e32 v3, s39
	v_add_co_u32_e32 v6, vcc, s38, v6
	s_add_i32 s1, s1, s0
	s_mul_i32 s0, s33, s40
	v_addc_co_u32_e32 v7, vcc, v3, v7, vcc
	s_lshl_b64 s[34:35], s[0:1], 1
	v_mul_lo_u32 v3, 0, s50
	v_mul_lo_u32 v10, v0, s51
	v_mad_u64_u32 v[8:9], s[0:1], v0, s50, 0
	v_add3_u32 v9, v9, v10, v3
	v_lshlrev_b64 v[8:9], 1, v[8:9]
	s_mul_i32 s0, s33, s51
	s_mul_hi_u32 s1, s33, s50
	v_mov_b32_e32 v3, s43
	v_add_co_u32_e32 v8, vcc, s42, v8
	s_add_i32 s1, s1, s0
	s_mul_i32 s0, s33, s50
	s_mov_b64 s[4:5], 0
	s_mov_b32 s44, 0
	s_mul_i32 s46, s8, 3
	v_addc_co_u32_e32 v9, vcc, v3, v9, vcc
	s_lshl_b64 s[36:37], s[0:1], 1
	s_mov_b32 s49, 0x3f200000
	s_mov_b32 s50, 0x3fb8aa3b
	s_mov_b32 s51, 0xc2ce8ed0
	s_mov_b32 s52, 0x42b17218
	v_mov_b32_e32 v20, 0xbd5c1c4e
	v_mov_b32_e32 v21, 0x3e088382
	;; [unrolled: 1-line block ×3, first 2 shown]
	s_mov_b32 s53, 0xbfb8aa3b
	s_mov_b32 s54, 0x42ce8ed0
	;; [unrolled: 1-line block ×3, first 2 shown]
	s_brev_b32 s56, -2
	v_mov_b32_e32 v23, 0x7f800000
	s_branch .LBB10_3
.LBB10_2:                               ;   in Loop: Header=BB10_3 Depth=1
	s_or_b64 exec, exec, s[0:1]
	v_cvt_f32_f16_e32 v17, v17
	v_cvt_f32_f16_e32 v24, v24
	;; [unrolled: 1-line block ×4, first 2 shown]
	v_mul_lo_u32 v3, v3, s26
	v_add_f32_e32 v17, v17, v24
	v_add_f32_e32 v17, v17, v27
	;; [unrolled: 1-line block ×3, first 2 shown]
	v_mul_f32_e32 v24, 0xbfb8aa3b, v17
	v_fma_f32 v27, v17, s53, -v24
	v_rndne_f32_e32 v29, v24
	v_fmac_f32_e32 v27, 0xb2a5705f, v17
	v_sub_f32_e32 v24, v24, v29
	v_add_f32_e32 v24, v24, v27
	v_cvt_i32_f32_e32 v27, v29
	v_exp_f32_e32 v24, v24
	v_cmp_nlt_f32_e32 vcc, s54, v17
	v_ldexp_f32 v24, v24, v27
	v_cndmask_b32_e32 v24, 0, v24, vcc
	v_cmp_ngt_f32_e32 vcc, s55, v17
	v_cndmask_b32_e32 v17, v23, v24, vcc
	v_add_f32_e32 v17, 1.0, v17
	v_div_scale_f32 v24, s[0:1], v17, v17, 1.0
	v_rcp_f32_e32 v27, v24
	v_fma_f32 v29, -v24, v27, 1.0
	v_fmac_f32_e32 v27, v29, v27
	v_div_scale_f32 v29, vcc, 1.0, v17, 1.0
	v_mul_f32_e32 v30, v29, v27
	v_fma_f32 v31, -v24, v30, v29
	v_fmac_f32_e32 v30, v31, v27
	v_fma_f32 v24, -v24, v30, v29
	v_div_fmas_f32 v24, v24, v27, v30
	v_div_fixup_f32 v17, v24, v17, 1.0
	v_mul_lo_u32 v24, v10, s27
	v_mad_u64_u32 v[30:31], s[0:1], v10, s26, 0
	v_add3_u32 v31, v31, v24, v3
	v_lshlrev_b64 v[30:31], 1, v[30:31]
	v_mul_lo_u32 v24, v11, s26
	v_mul_lo_u32 v27, v12, s27
	v_mad_u64_u32 v[10:11], s[0:1], v12, s26, 0
	v_mov_b32_e32 v3, s25
	v_add_co_u32_e32 v30, vcc, s24, v30
	v_add3_u32 v11, v11, v27, v24
	v_addc_co_u32_e32 v31, vcc, v3, v31, vcc
	v_lshlrev_b64 v[10:11], 1, v[10:11]
	v_mul_lo_u32 v24, v13, s26
	v_mul_lo_u32 v27, v14, s27
	v_mad_u64_u32 v[12:13], s[0:1], v14, s26, 0
	v_add_co_u32_e32 v10, vcc, s24, v10
	v_add3_u32 v13, v13, v27, v24
	v_addc_co_u32_e32 v11, vcc, v3, v11, vcc
	v_lshlrev_b64 v[12:13], 1, v[12:13]
	v_mul_lo_u32 v24, v15, s26
	v_mul_lo_u32 v27, v16, s27
	v_mad_u64_u32 v[14:15], s[0:1], v16, s26, 0
	v_add_co_u32_e32 v12, vcc, s24, v12
	v_add3_u32 v15, v15, v27, v24
	v_addc_co_u32_e32 v13, vcc, v3, v13, vcc
	v_lshlrev_b64 v[14:15], 1, v[14:15]
	v_add_co_u32_e32 v14, vcc, s24, v14
	v_addc_co_u32_e32 v15, vcc, v3, v15, vcc
	v_cvt_f16_f32_e32 v3, v26
	v_bfi_b32 v16, s56, v28, v26
	v_fma_mixlo_f16 v16, v17, v16, 0
	global_store_short v[6:7], v16, off
	global_store_short v[8:9], v3, off
	v_cvt_f16_f32_e32 v3, v18
	v_cvt_f16_f32_e32 v16, v25
	;; [unrolled: 1-line block ×4, first 2 shown]
	global_store_short v[30:31], v3, off
	global_store_short v[10:11], v16, off
	;; [unrolled: 1-line block ×4, first 2 shown]
	v_mov_b32_e32 v3, s44
	v_add_co_u32_e32 v0, vcc, s33, v0
	v_addc_co_u32_e32 v1, vcc, v1, v3, vcc
	v_mov_b32_e32 v3, s31
	v_add_co_u32_e32 v4, vcc, s30, v4
	v_addc_co_u32_e32 v5, vcc, v5, v3, vcc
	;; [unrolled: 3-line block ×3, first 2 shown]
	v_cmp_le_i64_e32 vcc, s[10:11], v[0:1]
	v_mov_b32_e32 v3, s37
	s_or_b64 s[4:5], vcc, s[4:5]
	v_add_co_u32_e32 v8, vcc, s36, v8
	v_addc_co_u32_e32 v9, vcc, v9, v3, vcc
	s_andn2_b64 exec, exec, s[4:5]
	s_cbranch_execz .LBB10_17
.LBB10_3:                               ; =>This Inner Loop Header: Depth=1
	v_or_b32_e32 v3, s9, v1
	v_cmp_ne_u64_e32 vcc, 0, v[2:3]
                                        ; implicit-def: $vgpr18_vgpr19
	s_and_saveexec_b64 s[0:1], vcc
	s_xor_b64 s[38:39], exec, s[0:1]
	s_cbranch_execz .LBB10_5
; %bb.4:                                ;   in Loop: Header=BB10_3 Depth=1
	s_ashr_i32 s40, s9, 31
	s_add_u32 s0, s8, s40
	s_mov_b32 s41, s40
	s_addc_u32 s1, s9, s40
	s_xor_b64 s[42:43], s[0:1], s[40:41]
	v_cvt_f32_u32_e32 v3, s42
	v_cvt_f32_u32_e32 v10, s43
	s_sub_u32 s0, 0, s42
	s_subb_u32 s1, 0, s43
	v_mac_f32_e32 v3, 0x4f800000, v10
	v_rcp_f32_e32 v3, v3
	v_mul_f32_e32 v3, 0x5f7ffffc, v3
	v_mul_f32_e32 v10, 0x2f800000, v3
	v_trunc_f32_e32 v10, v10
	v_mac_f32_e32 v3, 0xcf800000, v10
	v_cvt_u32_f32_e32 v10, v10
	v_cvt_u32_f32_e32 v3, v3
	v_mul_lo_u32 v11, s0, v10
	v_mul_hi_u32 v13, s0, v3
	v_mul_lo_u32 v12, s1, v3
	v_add_u32_e32 v11, v13, v11
	v_mul_lo_u32 v14, s0, v3
	v_add_u32_e32 v11, v11, v12
	v_mul_lo_u32 v13, v3, v11
	v_mul_hi_u32 v15, v3, v14
	v_mul_hi_u32 v12, v3, v11
	v_add_co_u32_e32 v13, vcc, v15, v13
	v_addc_co_u32_e32 v12, vcc, 0, v12, vcc
	v_mul_hi_u32 v16, v10, v14
	v_mul_lo_u32 v14, v10, v14
	v_add_co_u32_e32 v13, vcc, v13, v14
	v_mul_hi_u32 v15, v10, v11
	v_addc_co_u32_e32 v12, vcc, v12, v16, vcc
	v_addc_co_u32_e32 v13, vcc, 0, v15, vcc
	v_mul_lo_u32 v11, v10, v11
	v_add_co_u32_e32 v11, vcc, v12, v11
	v_addc_co_u32_e32 v12, vcc, 0, v13, vcc
	v_add_co_u32_e32 v3, vcc, v3, v11
	v_addc_co_u32_e32 v10, vcc, v10, v12, vcc
	v_mul_lo_u32 v11, s0, v10
	v_mul_hi_u32 v12, s0, v3
	v_add_u32_e32 v11, v12, v11
	v_mul_lo_u32 v12, s1, v3
	v_add_u32_e32 v11, v11, v12
	v_mul_lo_u32 v13, s0, v3
	v_mul_hi_u32 v14, v10, v13
	v_mul_lo_u32 v15, v10, v13
	v_mul_lo_u32 v17, v3, v11
	v_mul_hi_u32 v13, v3, v13
	v_mul_hi_u32 v16, v3, v11
	v_add_co_u32_e32 v13, vcc, v13, v17
	v_addc_co_u32_e32 v16, vcc, 0, v16, vcc
	v_add_co_u32_e32 v13, vcc, v13, v15
	v_mul_hi_u32 v12, v10, v11
	v_addc_co_u32_e32 v13, vcc, v16, v14, vcc
	v_addc_co_u32_e32 v12, vcc, 0, v12, vcc
	v_mul_lo_u32 v11, v10, v11
	v_add_co_u32_e32 v11, vcc, v13, v11
	v_addc_co_u32_e32 v12, vcc, 0, v12, vcc
	v_add_co_u32_e32 v3, vcc, v3, v11
	v_addc_co_u32_e32 v12, vcc, v10, v12, vcc
	v_ashrrev_i32_e32 v14, 31, v1
	v_add_co_u32_e32 v10, vcc, v0, v14
	v_addc_co_u32_e32 v11, vcc, v1, v14, vcc
	v_xor_b32_e32 v16, v10, v14
	v_xor_b32_e32 v15, v11, v14
	v_mad_u64_u32 v[10:11], s[0:1], v16, v12, 0
	v_mul_hi_u32 v13, v16, v3
	v_add_co_u32_e32 v17, vcc, v13, v10
	v_addc_co_u32_e32 v18, vcc, 0, v11, vcc
	v_mad_u64_u32 v[10:11], s[0:1], v15, v12, 0
	v_mad_u64_u32 v[12:13], s[0:1], v15, v3, 0
	v_add_co_u32_e32 v3, vcc, v17, v12
	v_addc_co_u32_e32 v3, vcc, v18, v13, vcc
	v_addc_co_u32_e32 v11, vcc, 0, v11, vcc
	v_add_co_u32_e32 v3, vcc, v3, v10
	v_addc_co_u32_e32 v12, vcc, 0, v11, vcc
	v_mul_lo_u32 v13, s43, v3
	v_mul_lo_u32 v17, s42, v12
	v_mad_u64_u32 v[10:11], s[0:1], s42, v3, 0
	v_add3_u32 v11, v11, v17, v13
	v_sub_u32_e32 v13, v15, v11
	v_mov_b32_e32 v17, s43
	v_sub_co_u32_e32 v10, vcc, v16, v10
	v_subb_co_u32_e64 v13, s[0:1], v13, v17, vcc
	v_subrev_co_u32_e64 v16, s[0:1], s42, v10
	v_subbrev_co_u32_e64 v13, s[0:1], 0, v13, s[0:1]
	v_cmp_le_u32_e64 s[0:1], s43, v13
	v_cndmask_b32_e64 v17, 0, -1, s[0:1]
	v_cmp_le_u32_e64 s[0:1], s42, v16
	v_cndmask_b32_e64 v16, 0, -1, s[0:1]
	v_cmp_eq_u32_e64 s[0:1], s43, v13
	v_cndmask_b32_e64 v13, v17, v16, s[0:1]
	v_add_co_u32_e64 v16, s[0:1], 2, v3
	v_subb_co_u32_e32 v11, vcc, v15, v11, vcc
	v_addc_co_u32_e64 v17, s[0:1], 0, v12, s[0:1]
	v_cmp_le_u32_e32 vcc, s43, v11
	v_add_co_u32_e64 v18, s[0:1], 1, v3
	v_cndmask_b32_e64 v15, 0, -1, vcc
	v_cmp_le_u32_e32 vcc, s42, v10
	v_addc_co_u32_e64 v19, s[0:1], 0, v12, s[0:1]
	v_cndmask_b32_e64 v10, 0, -1, vcc
	v_cmp_eq_u32_e32 vcc, s43, v11
	v_cmp_ne_u32_e64 s[0:1], 0, v13
	v_cndmask_b32_e32 v10, v15, v10, vcc
	v_cmp_ne_u32_e32 vcc, 0, v10
	v_cndmask_b32_e64 v11, v18, v16, s[0:1]
	v_cndmask_b32_e64 v13, v19, v17, s[0:1]
	v_cndmask_b32_e32 v3, v3, v11, vcc
	v_xor_b32_e32 v11, s40, v14
	v_cndmask_b32_e32 v10, v12, v13, vcc
	v_xor_b32_e32 v3, v3, v11
	v_xor_b32_e32 v10, v10, v11
	v_sub_co_u32_e32 v18, vcc, v3, v11
	v_subb_co_u32_e32 v19, vcc, v10, v11, vcc
.LBB10_5:                               ;   in Loop: Header=BB10_3 Depth=1
	s_andn2_saveexec_b64 s[0:1], s[38:39]
	s_cbranch_execz .LBB10_7
; %bb.6:                                ;   in Loop: Header=BB10_3 Depth=1
	v_cvt_f32_u32_e32 v3, s8
	s_sub_i32 s38, 0, s8
	v_mov_b32_e32 v19, v2
	v_rcp_iflag_f32_e32 v3, v3
	v_mul_f32_e32 v3, 0x4f7ffffe, v3
	v_cvt_u32_f32_e32 v3, v3
	v_mul_lo_u32 v10, s38, v3
	v_mul_hi_u32 v10, v3, v10
	v_add_u32_e32 v3, v3, v10
	v_mul_hi_u32 v3, v0, v3
	v_mul_lo_u32 v10, v3, s8
	v_sub_u32_e32 v10, v0, v10
	v_add_u32_e32 v11, 1, v3
	v_subrev_u32_e32 v12, s8, v10
	v_cmp_le_u32_e32 vcc, s8, v10
	v_cndmask_b32_e32 v10, v10, v12, vcc
	v_cndmask_b32_e32 v3, v3, v11, vcc
	v_add_u32_e32 v11, 1, v3
	v_cmp_le_u32_e32 vcc, s8, v10
	v_cndmask_b32_e32 v18, v3, v11, vcc
.LBB10_7:                               ;   in Loop: Header=BB10_3 Depth=1
	s_or_b64 exec, exec, s[0:1]
	v_mad_u64_u32 v[10:11], s[0:1], s46, v18, v[0:1]
	v_mul_lo_u32 v3, s46, v19
	v_mul_lo_u32 v12, s45, v18
	v_add3_u32 v3, v12, v11, v3
	v_mul_lo_u32 v11, v10, s7
	v_mul_lo_u32 v14, v3, s6
	v_mad_u64_u32 v[12:13], s[0:1], v10, s6, 0
	v_add3_u32 v13, v13, v11, v14
	v_lshlrev_b64 v[12:13], 1, v[12:13]
	v_mov_b32_e32 v32, s3
	v_add_co_u32_e32 v24, vcc, s2, v12
	v_addc_co_u32_e32 v25, vcc, v32, v13, vcc
	v_mad_u64_u32 v[12:13], s[0:1], v18, 3, 1
	v_lshl_add_u32 v28, v19, 1, v19
	v_add_u32_e32 v11, v28, v13
	v_mul_lo_u32 v14, s9, v12
	v_mul_lo_u32 v11, s8, v11
	v_mad_u64_u32 v[12:13], s[0:1], s8, v12, v[0:1]
	v_add3_u32 v11, v14, v13, v11
	v_mul_lo_u32 v13, v11, s6
	v_mul_lo_u32 v16, v12, s7
	v_mad_u64_u32 v[14:15], s[0:1], v12, s6, 0
	v_add3_u32 v15, v15, v16, v13
	v_lshlrev_b64 v[14:15], 1, v[14:15]
	v_add_co_u32_e32 v26, vcc, s2, v14
	v_addc_co_u32_e32 v27, vcc, v32, v15, vcc
	v_mad_u64_u32 v[14:15], s[0:1], v18, 3, 2
	v_add_u32_e32 v13, v28, v15
	v_mul_lo_u32 v16, s9, v14
	v_mul_lo_u32 v13, s8, v13
	v_mad_u64_u32 v[14:15], s[0:1], s8, v14, v[0:1]
	v_add3_u32 v13, v16, v15, v13
	v_mul_lo_u32 v15, v13, s6
	v_mul_lo_u32 v29, v14, s7
	v_mad_u64_u32 v[16:17], s[0:1], v14, s6, 0
	v_add3_u32 v17, v17, v29, v15
	v_lshlrev_b64 v[16:17], 1, v[16:17]
	v_add_co_u32_e32 v30, vcc, s2, v16
	v_addc_co_u32_e32 v31, vcc, v32, v17, vcc
	v_mad_u64_u32 v[16:17], s[0:1], v18, 3, 3
	v_add_u32_e32 v15, v28, v17
	v_mul_lo_u32 v28, s9, v16
	v_mul_lo_u32 v15, s8, v15
	v_mad_u64_u32 v[16:17], s[0:1], s8, v16, v[0:1]
	v_add3_u32 v15, v28, v17, v15
	v_mul_lo_u32 v17, v15, s6
	v_mul_lo_u32 v33, v16, s7
	v_mad_u64_u32 v[28:29], s[0:1], v16, s6, 0
	v_add3_u32 v29, v29, v33, v17
	v_lshlrev_b64 v[28:29], 1, v[28:29]
	v_add_co_u32_e32 v34, vcc, s2, v28
	v_addc_co_u32_e32 v35, vcc, v32, v29, vcc
	global_load_ushort v28, v[24:25], off
	s_nop 0
	global_load_ushort v25, v[26:27], off
	global_load_ushort v32, v[30:31], off
	;; [unrolled: 1-line block ×3, first 2 shown]
	v_mul_lo_u32 v24, v10, s15
	v_mul_lo_u32 v29, v3, s14
	v_mad_u64_u32 v[26:27], s[0:1], v10, s14, 0
	v_add3_u32 v27, v27, v24, v29
	v_lshlrev_b64 v[26:27], 1, v[26:27]
	v_mul_lo_u32 v29, v11, s14
	v_mul_lo_u32 v33, v12, s15
	v_mad_u64_u32 v[30:31], s[0:1], v12, s14, 0
	v_mov_b32_e32 v24, s13
	v_add_co_u32_e32 v26, vcc, s12, v26
	v_add3_u32 v31, v31, v33, v29
	v_addc_co_u32_e32 v27, vcc, v24, v27, vcc
	v_lshlrev_b64 v[30:31], 1, v[30:31]
	v_add_co_u32_e32 v34, vcc, s12, v30
	v_addc_co_u32_e32 v35, vcc, v24, v31, vcc
	v_mul_lo_u32 v29, v13, s14
	v_mul_lo_u32 v33, v14, s15
	v_mad_u64_u32 v[30:31], s[0:1], v14, s14, 0
	v_add3_u32 v31, v31, v33, v29
	v_lshlrev_b64 v[30:31], 1, v[30:31]
	v_add_co_u32_e32 v36, vcc, s12, v30
	v_addc_co_u32_e32 v37, vcc, v24, v31, vcc
	v_mul_lo_u32 v29, v15, s14
	v_mul_lo_u32 v33, v16, s15
	v_mad_u64_u32 v[30:31], s[0:1], v16, s14, 0
	v_add3_u32 v31, v31, v33, v29
	v_lshlrev_b64 v[30:31], 1, v[30:31]
	v_add_co_u32_e32 v38, vcc, s12, v30
	v_addc_co_u32_e32 v39, vcc, v24, v31, vcc
	global_load_ushort v31, v[26:27], off
	global_load_ushort v29, v[34:35], off
	s_nop 0
	global_load_ushort v34, v[36:37], off
	global_load_ushort v24, v[38:39], off
	;; [unrolled: 1-line block ×3, first 2 shown]
	s_andn2_b64 vcc, exec, s[28:29]
	v_mov_b32_e32 v30, 0
	v_mov_b32_e32 v39, 0
	;; [unrolled: 1-line block ×8, first 2 shown]
	s_cbranch_vccnz .LBB10_9
; %bb.8:                                ;   in Loop: Header=BB10_3 Depth=1
	v_mad_u64_u32 v[36:37], s[0:1], s47, v18, v[0:1]
	v_mul_lo_u32 v27, s47, v19
	v_mul_lo_u32 v30, s48, v18
	v_add3_u32 v30, v30, v37, v27
	v_mul_lo_u32 v27, v36, s19
	v_mul_lo_u32 v33, v30, s18
	v_mad_u64_u32 v[38:39], s[0:1], v36, s18, 0
	v_add3_u32 v39, v39, v27, v33
	v_lshlrev_b64 v[38:39], 1, v[38:39]
	v_mov_b32_e32 v27, s17
	v_add_co_u32_e32 v38, vcc, s16, v38
	v_addc_co_u32_e32 v39, vcc, v27, v39, vcc
	v_sub_co_u32_e32 v33, vcc, 1, v18
	v_subb_co_u32_e32 v35, vcc, 0, v19, vcc
	v_mul_lo_u32 v35, s8, v35
	v_mul_lo_u32 v37, s9, v33
	v_mad_u64_u32 v[40:41], s[0:1], s8, v33, v[0:1]
	v_add3_u32 v41, v37, v41, v35
	v_mul_lo_u32 v33, v41, s18
	v_mul_lo_u32 v35, v40, s19
	v_mad_u64_u32 v[42:43], s[0:1], v40, s18, 0
	v_add3_u32 v43, v43, v35, v33
	v_lshlrev_b64 v[42:43], 1, v[42:43]
	v_add_co_u32_e32 v42, vcc, s16, v42
	v_addc_co_u32_e32 v43, vcc, v27, v43, vcc
	v_sub_co_u32_e32 v33, vcc, 2, v18
	v_subb_co_u32_e32 v35, vcc, 0, v19, vcc
	v_mul_lo_u32 v35, s8, v35
	v_mul_lo_u32 v37, s9, v33
	v_mad_u64_u32 v[44:45], s[0:1], s8, v33, v[0:1]
	v_add3_u32 v45, v37, v45, v35
	v_mul_lo_u32 v33, v45, s18
	v_mul_lo_u32 v35, v44, s19
	v_mad_u64_u32 v[46:47], s[0:1], v44, s18, 0
	v_add3_u32 v47, v47, v35, v33
	v_lshlrev_b64 v[46:47], 1, v[46:47]
	;; [unrolled: 13-line block ×3, first 2 shown]
	v_add_co_u32_e32 v48, vcc, s16, v48
	v_addc_co_u32_e32 v49, vcc, v27, v49, vcc
	global_load_ushort v35, v[38:39], off
	global_load_ushort v33, v[42:43], off
	s_nop 0
	global_load_ushort v38, v[46:47], off
	global_load_ushort v27, v[48:49], off
	v_mul_lo_u32 v39, v36, s23
	v_mul_lo_u32 v30, v30, s22
	v_mad_u64_u32 v[36:37], s[0:1], v36, s22, 0
	v_add3_u32 v37, v37, v39, v30
	v_lshlrev_b64 v[36:37], 1, v[36:37]
	v_mul_lo_u32 v39, v41, s22
	v_mul_lo_u32 v42, v40, s23
	v_mad_u64_u32 v[40:41], s[0:1], v40, s22, 0
	v_mov_b32_e32 v30, s21
	v_add_co_u32_e32 v36, vcc, s20, v36
	v_add3_u32 v41, v41, v42, v39
	v_addc_co_u32_e32 v37, vcc, v30, v37, vcc
	v_lshlrev_b64 v[40:41], 1, v[40:41]
	v_mul_lo_u32 v39, v45, s22
	v_mul_lo_u32 v45, v44, s23
	v_mad_u64_u32 v[42:43], s[0:1], v44, s22, 0
	v_add_co_u32_e32 v40, vcc, s20, v40
	v_add3_u32 v43, v43, v45, v39
	v_addc_co_u32_e32 v41, vcc, v30, v41, vcc
	v_lshlrev_b64 v[42:43], 1, v[42:43]
	v_mul_lo_u32 v39, v19, s22
	v_mul_lo_u32 v44, v18, s23
	v_mad_u64_u32 v[18:19], s[0:1], v18, s22, 0
	v_add_co_u32_e32 v42, vcc, s20, v42
	v_add3_u32 v19, v19, v44, v39
	v_addc_co_u32_e32 v43, vcc, v30, v43, vcc
	v_lshlrev_b64 v[18:19], 1, v[18:19]
	v_add_co_u32_e32 v18, vcc, s20, v18
	v_addc_co_u32_e32 v19, vcc, v30, v19, vcc
	global_load_ushort v37, v[36:37], off
	s_nop 0
	global_load_ushort v36, v[40:41], off
	global_load_ushort v39, v[42:43], off
	;; [unrolled: 1-line block ×3, first 2 shown]
.LBB10_9:                               ;   in Loop: Header=BB10_3 Depth=1
	s_waitcnt vmcnt(6)
	v_cvt_f32_f16_e32 v18, v32
	s_waitcnt vmcnt(2)
	v_cvt_f32_f16_e32 v19, v34
	v_cvt_f32_f16_e32 v32, v38
	s_waitcnt vmcnt(1)
	v_cvt_f32_f16_e32 v34, v39
	v_add_f32_e32 v18, v18, v19
	v_add_f32_e32 v18, v18, v32
	;; [unrolled: 1-line block ×3, first 2 shown]
	v_cmp_nlt_f32_e64 s[0:1], |v19|, s49
                                        ; implicit-def: $vgpr32
	s_and_saveexec_b64 s[38:39], s[0:1]
	s_xor_b64 s[0:1], exec, s[38:39]
	s_cbranch_execz .LBB10_11
; %bb.10:                               ;   in Loop: Header=BB10_3 Depth=1
	v_add_f32_e64 v18, |v19|, |v19|
	v_mul_f32_e32 v32, 0x3fb8aa3b, v18
	v_rndne_f32_e32 v34, v32
	v_sub_f32_e32 v38, v32, v34
	v_fma_f32 v32, v18, s50, -v32
	v_fmac_f32_e32 v32, 0x32a5705f, v18
	v_add_f32_e32 v32, v38, v32
	v_cvt_i32_f32_e32 v34, v34
	v_exp_f32_e32 v32, v32
	v_cmp_ngt_f32_e32 vcc, s51, v18
	v_ldexp_f32 v32, v32, v34
	v_cndmask_b32_e32 v32, 0, v32, vcc
	v_cmp_nlt_f32_e32 vcc, s52, v18
	v_cndmask_b32_e32 v18, v23, v32, vcc
	v_add_f32_e32 v18, 1.0, v18
	v_rcp_f32_e32 v18, v18
	v_fma_f32 v32, v18, -2.0, 1.0
.LBB10_11:                              ;   in Loop: Header=BB10_3 Depth=1
	s_andn2_saveexec_b64 s[0:1], s[0:1]
; %bb.12:                               ;   in Loop: Header=BB10_3 Depth=1
	v_mul_f32_e32 v18, v19, v19
	v_mov_b32_e32 v32, 0x3ca908c9
	v_fmac_f32_e32 v32, 0xbbbac73d, v18
	v_fma_f32 v32, v18, v32, v20
	v_fma_f32 v32, v18, v32, v21
	;; [unrolled: 1-line block ×3, first 2 shown]
	v_mul_f32_e64 v32, |v19|, v32
	v_fma_f32 v32, v18, v32, |v19|
; %bb.13:                               ;   in Loop: Header=BB10_3 Depth=1
	s_or_b64 exec, exec, s[0:1]
	v_cvt_f32_f16_e32 v18, v28
	v_cvt_f32_f16_e32 v28, v31
	v_cvt_f32_f16_e32 v31, v35
	v_cvt_f32_f16_e32 v34, v37
	v_cvt_f32_f16_e32 v25, v25
	v_add_f32_e32 v18, v18, v28
	v_add_f32_e32 v18, v18, v31
	v_add_f32_e32 v18, v18, v34
	v_mul_f32_e32 v28, 0xbfb8aa3b, v18
	v_cvt_f32_f16_e32 v29, v29
	v_fma_f32 v31, v18, s53, -v28
	v_rndne_f32_e32 v34, v28
	v_cvt_f32_f16_e32 v33, v33
	v_fmac_f32_e32 v31, 0xb2a5705f, v18
	v_sub_f32_e32 v28, v28, v34
	v_cvt_f32_f16_e32 v35, v36
	v_add_f32_e32 v28, v28, v31
	v_cvt_i32_f32_e32 v31, v34
	v_exp_f32_e32 v28, v28
	v_add_f32_e32 v25, v25, v29
	v_add_f32_e32 v25, v25, v33
	;; [unrolled: 1-line block ×3, first 2 shown]
	v_mul_f32_e32 v29, 0xbfb8aa3b, v25
	v_ldexp_f32 v28, v28, v31
	v_cmp_nlt_f32_e32 vcc, s54, v18
	v_fma_f32 v33, v25, s53, -v29
	v_rndne_f32_e32 v35, v29
	v_cndmask_b32_e32 v28, 0, v28, vcc
	v_cmp_ngt_f32_e32 vcc, s55, v18
	v_fmac_f32_e32 v33, 0xb2a5705f, v25
	v_sub_f32_e32 v29, v29, v35
	v_cndmask_b32_e32 v18, v23, v28, vcc
	v_add_f32_e32 v29, v29, v33
	v_add_f32_e32 v18, 1.0, v18
	v_exp_f32_e32 v29, v29
	v_cvt_i32_f32_e32 v33, v35
	v_div_scale_f32 v28, s[0:1], v18, v18, 1.0
	v_rcp_f32_e32 v31, v28
	v_ldexp_f32 v29, v29, v33
	v_cmp_nlt_f32_e64 s[0:1], s54, v25
	v_cndmask_b32_e64 v29, 0, v29, s[0:1]
	v_cmp_ngt_f32_e64 s[0:1], s55, v25
	v_fma_f32 v34, -v28, v31, 1.0
	v_cndmask_b32_e64 v25, v23, v29, s[0:1]
	v_fmac_f32_e32 v31, v34, v31
	v_div_scale_f32 v34, vcc, 1.0, v18, 1.0
	v_add_f32_e32 v25, 1.0, v25
	v_mul_f32_e32 v36, v34, v31
	v_div_scale_f32 v29, s[0:1], v25, v25, 1.0
	v_fma_f32 v35, -v28, v36, v34
	v_rcp_f32_e32 v33, v29
	v_fmac_f32_e32 v36, v35, v31
	v_fma_f32 v28, -v28, v36, v34
	v_div_fmas_f32 v28, v28, v31, v36
	v_div_fixup_f32 v18, v28, v18, 1.0
	v_fma_f32 v28, -v29, v33, 1.0
	v_fmac_f32_e32 v33, v28, v33
	v_div_scale_f32 v28, vcc, 1.0, v25, 1.0
	v_mul_f32_e32 v31, v28, v33
	v_fma_f32 v34, -v29, v31, v28
	v_fmac_f32_e32 v31, v34, v33
	v_fma_f32 v28, -v29, v31, v28
	v_div_fmas_f32 v28, v28, v33, v31
	v_bfi_b32 v19, s56, v32, v19
	v_div_fixup_f32 v25, v28, v25, 1.0
	v_mul_f32_e32 v28, v18, v19
	s_waitcnt vmcnt(0)
	v_fma_mix_f32 v26, v25, v26, v28 op_sel_hi:[0,1,0]
	v_cmp_nlt_f32_e64 s[0:1], |v26|, s49
                                        ; implicit-def: $vgpr28
	s_and_saveexec_b64 s[38:39], s[0:1]
	s_xor_b64 s[0:1], exec, s[38:39]
	s_cbranch_execz .LBB10_15
; %bb.14:                               ;   in Loop: Header=BB10_3 Depth=1
	v_add_f32_e64 v28, |v26|, |v26|
	v_mul_f32_e32 v29, 0x3fb8aa3b, v28
	v_rndne_f32_e32 v31, v29
	v_sub_f32_e32 v32, v29, v31
	v_fma_f32 v29, v28, s50, -v29
	v_fmac_f32_e32 v29, 0x32a5705f, v28
	v_add_f32_e32 v29, v32, v29
	v_cvt_i32_f32_e32 v31, v31
	v_exp_f32_e32 v29, v29
	v_cmp_ngt_f32_e32 vcc, s51, v28
	v_ldexp_f32 v29, v29, v31
	v_cndmask_b32_e32 v29, 0, v29, vcc
	v_cmp_nlt_f32_e32 vcc, s52, v28
	v_cndmask_b32_e32 v28, v23, v29, vcc
	v_add_f32_e32 v28, 1.0, v28
	v_rcp_f32_e32 v28, v28
	v_fma_f32 v28, v28, -2.0, 1.0
.LBB10_15:                              ;   in Loop: Header=BB10_3 Depth=1
	s_andn2_saveexec_b64 s[0:1], s[0:1]
	s_cbranch_execz .LBB10_2
; %bb.16:                               ;   in Loop: Header=BB10_3 Depth=1
	v_mul_f32_e32 v28, v26, v26
	v_mov_b32_e32 v29, 0x3ca908c9
	v_fmac_f32_e32 v29, 0xbbbac73d, v28
	v_fma_f32 v29, v28, v29, v20
	v_fma_f32 v29, v28, v29, v21
	;; [unrolled: 1-line block ×3, first 2 shown]
	v_mul_f32_e64 v29, |v26|, v29
	v_fma_f32 v28, v28, v29, |v26|
	s_branch .LBB10_2
.LBB10_17:
	s_endpgm
	.section	.rodata,"a",@progbits
	.p2align	6, 0x0
	.amdhsa_kernel _ZN2at6native12_GLOBAL__N_16kernel17lstm_cell_forwardIN3c104HalfEflLi1EEEvNS_4cuda6detail10TensorInfoIT_T1_EESB_SB_SB_SB_SB_SB_SB_SA_SA_
		.amdhsa_group_segment_fixed_size 0
		.amdhsa_private_segment_fixed_size 0
		.amdhsa_kernarg_size 3600
		.amdhsa_user_sgpr_count 6
		.amdhsa_user_sgpr_private_segment_buffer 1
		.amdhsa_user_sgpr_dispatch_ptr 0
		.amdhsa_user_sgpr_queue_ptr 0
		.amdhsa_user_sgpr_kernarg_segment_ptr 1
		.amdhsa_user_sgpr_dispatch_id 0
		.amdhsa_user_sgpr_flat_scratch_init 0
		.amdhsa_user_sgpr_kernarg_preload_length 0
		.amdhsa_user_sgpr_kernarg_preload_offset 0
		.amdhsa_user_sgpr_private_segment_size 0
		.amdhsa_uses_dynamic_stack 0
		.amdhsa_system_sgpr_private_segment_wavefront_offset 0
		.amdhsa_system_sgpr_workgroup_id_x 1
		.amdhsa_system_sgpr_workgroup_id_y 0
		.amdhsa_system_sgpr_workgroup_id_z 0
		.amdhsa_system_sgpr_workgroup_info 0
		.amdhsa_system_vgpr_workitem_id 0
		.amdhsa_next_free_vgpr 50
		.amdhsa_next_free_sgpr 57
		.amdhsa_accum_offset 52
		.amdhsa_reserve_vcc 1
		.amdhsa_reserve_flat_scratch 0
		.amdhsa_float_round_mode_32 0
		.amdhsa_float_round_mode_16_64 0
		.amdhsa_float_denorm_mode_32 3
		.amdhsa_float_denorm_mode_16_64 3
		.amdhsa_dx10_clamp 1
		.amdhsa_ieee_mode 1
		.amdhsa_fp16_overflow 0
		.amdhsa_tg_split 0
		.amdhsa_exception_fp_ieee_invalid_op 0
		.amdhsa_exception_fp_denorm_src 0
		.amdhsa_exception_fp_ieee_div_zero 0
		.amdhsa_exception_fp_ieee_overflow 0
		.amdhsa_exception_fp_ieee_underflow 0
		.amdhsa_exception_fp_ieee_inexact 0
		.amdhsa_exception_int_div_zero 0
	.end_amdhsa_kernel
	.section	.text._ZN2at6native12_GLOBAL__N_16kernel17lstm_cell_forwardIN3c104HalfEflLi1EEEvNS_4cuda6detail10TensorInfoIT_T1_EESB_SB_SB_SB_SB_SB_SB_SA_SA_,"axG",@progbits,_ZN2at6native12_GLOBAL__N_16kernel17lstm_cell_forwardIN3c104HalfEflLi1EEEvNS_4cuda6detail10TensorInfoIT_T1_EESB_SB_SB_SB_SB_SB_SB_SA_SA_,comdat
.Lfunc_end10:
	.size	_ZN2at6native12_GLOBAL__N_16kernel17lstm_cell_forwardIN3c104HalfEflLi1EEEvNS_4cuda6detail10TensorInfoIT_T1_EESB_SB_SB_SB_SB_SB_SB_SA_SA_, .Lfunc_end10-_ZN2at6native12_GLOBAL__N_16kernel17lstm_cell_forwardIN3c104HalfEflLi1EEEvNS_4cuda6detail10TensorInfoIT_T1_EESB_SB_SB_SB_SB_SB_SB_SA_SA_
                                        ; -- End function
	.section	.AMDGPU.csdata,"",@progbits
; Kernel info:
; codeLenInByte = 3976
; NumSgprs: 61
; NumVgprs: 50
; NumAgprs: 0
; TotalNumVgprs: 50
; ScratchSize: 0
; MemoryBound: 0
; FloatMode: 240
; IeeeMode: 1
; LDSByteSize: 0 bytes/workgroup (compile time only)
; SGPRBlocks: 7
; VGPRBlocks: 6
; NumSGPRsForWavesPerEU: 61
; NumVGPRsForWavesPerEU: 50
; AccumOffset: 52
; Occupancy: 8
; WaveLimiterHint : 1
; COMPUTE_PGM_RSRC2:SCRATCH_EN: 0
; COMPUTE_PGM_RSRC2:USER_SGPR: 6
; COMPUTE_PGM_RSRC2:TRAP_HANDLER: 0
; COMPUTE_PGM_RSRC2:TGID_X_EN: 1
; COMPUTE_PGM_RSRC2:TGID_Y_EN: 0
; COMPUTE_PGM_RSRC2:TGID_Z_EN: 0
; COMPUTE_PGM_RSRC2:TIDIG_COMP_CNT: 0
; COMPUTE_PGM_RSRC3_GFX90A:ACCUM_OFFSET: 12
; COMPUTE_PGM_RSRC3_GFX90A:TG_SPLIT: 0
	.section	.text._ZN2at6native12_GLOBAL__N_16kernel17lstm_cell_forwardIN3c104HalfEflLi2EEEvNS_4cuda6detail10TensorInfoIT_T1_EESB_SB_SB_SB_SB_SB_SB_SA_SA_,"axG",@progbits,_ZN2at6native12_GLOBAL__N_16kernel17lstm_cell_forwardIN3c104HalfEflLi2EEEvNS_4cuda6detail10TensorInfoIT_T1_EESB_SB_SB_SB_SB_SB_SB_SA_SA_,comdat
	.globl	_ZN2at6native12_GLOBAL__N_16kernel17lstm_cell_forwardIN3c104HalfEflLi2EEEvNS_4cuda6detail10TensorInfoIT_T1_EESB_SB_SB_SB_SB_SB_SB_SA_SA_ ; -- Begin function _ZN2at6native12_GLOBAL__N_16kernel17lstm_cell_forwardIN3c104HalfEflLi2EEEvNS_4cuda6detail10TensorInfoIT_T1_EESB_SB_SB_SB_SB_SB_SB_SA_SA_
	.p2align	8
	.type	_ZN2at6native12_GLOBAL__N_16kernel17lstm_cell_forwardIN3c104HalfEflLi2EEEvNS_4cuda6detail10TensorInfoIT_T1_EESB_SB_SB_SB_SB_SB_SB_SA_SA_,@function
_ZN2at6native12_GLOBAL__N_16kernel17lstm_cell_forwardIN3c104HalfEflLi2EEEvNS_4cuda6detail10TensorInfoIT_T1_EESB_SB_SB_SB_SB_SB_SB_SA_SA_: ; @_ZN2at6native12_GLOBAL__N_16kernel17lstm_cell_forwardIN3c104HalfEflLi2EEEvNS_4cuda6detail10TensorInfoIT_T1_EESB_SB_SB_SB_SB_SB_SB_SA_SA_
; %bb.0:
	s_load_dword s2, s[4:5], 0xd1c
	s_load_dwordx4 s[8:11], s[4:5], 0xd00
	s_add_u32 s0, s4, 0xd10
	s_addc_u32 s1, s5, 0
	v_mov_b32_e32 v2, 0
	s_waitcnt lgkmcnt(0)
	s_and_b32 s7, s2, 0xffff
	s_mul_i32 s6, s6, s7
	v_add_u32_e32 v0, s6, v0
	v_mov_b32_e32 v1, v2
	v_cmp_gt_i64_e32 vcc, s[10:11], v[0:1]
	s_and_saveexec_b64 s[2:3], vcc
	s_cbranch_execz .LBB11_77
; %bb.1:
	v_cvt_f32_u32_e32 v3, s8
	s_load_dwordx2 s[2:3], s[4:5], 0x0
	s_load_dwordx2 s[34:35], s[4:5], 0x10
	s_load_dwordx4 s[12:15], s[4:5], 0xd0
	s_load_dwordx2 s[36:37], s[4:5], 0x1a0
	s_load_dwordx2 s[38:39], s[4:5], 0x340
	;; [unrolled: 1-line block ×7, first 2 shown]
	s_load_dwordx4 s[16:19], s[4:5], 0x750
	s_load_dwordx2 s[50:51], s[4:5], 0x820
	s_load_dwordx2 s[52:53], s[4:5], 0x830
	s_load_dwordx4 s[20:23], s[4:5], 0x8f0
	s_load_dwordx2 s[54:55], s[4:5], 0x9c0
	s_load_dwordx2 s[56:57], s[4:5], 0x9d0
	s_nop 0
	s_load_dword s0, s[0:1], 0x0
	s_nop 0
	s_load_dwordx4 s[24:27], s[4:5], 0xa90
	s_load_dwordx2 s[58:59], s[4:5], 0xb60
	s_load_dwordx2 s[60:61], s[4:5], 0xb70
	s_waitcnt lgkmcnt(0)
	s_cmp_lg_u64 s[38:39], 0
	s_mul_i32 s33, s0, s7
	s_mul_i32 s0, s9, 3
	s_mul_hi_u32 s1, s8, 3
	s_cselect_b64 s[62:63], -1, 0
	s_add_i32 s75, s1, s0
	v_rcp_iflag_f32_e32 v3, v3
	s_sub_u32 s77, 0, s8
	s_subb_u32 s78, 0, s9
	s_sub_u32 s79, 0, s48
	s_load_dwordx2 s[64:65], s[4:5], 0x1b0
	s_load_dwordx4 s[28:31], s[4:5], 0x270
	s_nop 0
	s_load_dwordx4 s[4:7], s[4:5], 0xc30
	s_subb_u32 s80, 0, s49
	v_mul_f32_e32 v3, 0x4f7ffffe, v3
	s_sub_u32 s81, 0, s52
	v_cvt_u32_f32_e32 v29, v3
	s_subb_u32 s82, 0, s53
	s_sub_u32 s83, 0, s56
	s_mov_b32 s74, 0
	s_mul_i32 s76, s8, 3
	s_subb_u32 s84, 0, s57
	s_mov_b32 s85, 0x3f200000
	s_mov_b32 s86, 0x3fb8aa3b
	;; [unrolled: 1-line block ×4, first 2 shown]
	v_mov_b32_e32 v26, 0xbd5c1c4e
	v_mov_b32_e32 v27, 0x3e088382
	;; [unrolled: 1-line block ×3, first 2 shown]
	s_mov_b32 s89, 0xbfb8aa3b
	s_mov_b32 s90, 0x42ce8ed0
	;; [unrolled: 1-line block ×3, first 2 shown]
	s_brev_b32 s92, -2
	v_mov_b32_e32 v30, 0x7f800000
	s_mov_b64 s[66:67], 0
	s_branch .LBB11_3
.LBB11_2:                               ;   in Loop: Header=BB11_3 Depth=1
	s_or_b64 exec, exec, s[0:1]
	v_cvt_f32_f16_e32 v6, v35
	v_cvt_f32_f16_e32 v7, v41
	;; [unrolled: 1-line block ×4, first 2 shown]
	v_cvt_f16_f32_e32 v3, v3
	v_add_f32_e32 v6, v6, v7
	v_add_f32_e32 v6, v6, v31
	;; [unrolled: 1-line block ×3, first 2 shown]
	v_mul_f32_e32 v7, 0xbfb8aa3b, v6
	v_fma_f32 v31, v6, s89, -v7
	v_rndne_f32_e32 v35, v7
	v_fmac_f32_e32 v31, 0xb2a5705f, v6
	v_sub_f32_e32 v7, v7, v35
	v_add_f32_e32 v7, v7, v31
	v_cvt_i32_f32_e32 v31, v35
	v_exp_f32_e32 v7, v7
	v_cmp_nlt_f32_e32 vcc, s90, v6
	v_ldexp_f32 v7, v7, v31
	v_cndmask_b32_e32 v7, 0, v7, vcc
	v_cmp_ngt_f32_e32 vcc, s91, v6
	v_cndmask_b32_e32 v6, v30, v7, vcc
	v_add_f32_e32 v6, 1.0, v6
	v_div_scale_f32 v7, s[0:1], v6, v6, 1.0
	v_rcp_f32_e32 v31, v7
	v_fma_f32 v35, -v7, v31, 1.0
	v_fmac_f32_e32 v31, v35, v31
	v_div_scale_f32 v35, vcc, 1.0, v6, 1.0
	v_mul_f32_e32 v37, v35, v31
	v_fma_f32 v38, -v7, v37, v35
	v_fmac_f32_e32 v37, v38, v31
	v_fma_f32 v7, -v7, v37, v35
	v_div_fmas_f32 v7, v7, v31, v37
	v_div_fixup_f32 v31, v7, v6, 1.0
	v_mad_u64_u32 v[6:7], s[0:1], s83, v24, v[0:1]
	v_mul_lo_u32 v35, s83, v25
	v_mul_lo_u32 v37, s84, v24
	v_add3_u32 v7, v37, v7, v35
	v_mul_lo_u32 v35, v6, s27
	v_mul_lo_u32 v37, v7, s26
	v_mad_u64_u32 v[6:7], s[0:1], v6, s26, 0
	v_add3_u32 v7, v7, v35, v37
	v_mul_lo_u32 v35, v25, s24
	v_mul_lo_u32 v37, v24, s25
	v_mad_u64_u32 v[24:25], s[0:1], v24, s24, 0
	v_add3_u32 v25, v25, v37, v35
	v_lshlrev_b64 v[24:25], 1, v[24:25]
	v_mov_b32_e32 v35, s55
	v_add_co_u32_e32 v24, vcc, s54, v24
	v_addc_co_u32_e32 v25, vcc, v35, v25, vcc
	v_lshlrev_b64 v[6:7], 1, v[6:7]
	v_add_co_u32_e32 v6, vcc, v24, v6
	v_addc_co_u32_e32 v7, vcc, v25, v7, vcc
	v_mad_u64_u32 v[24:25], s[0:1], s81, v20, v[0:1]
	v_mul_lo_u32 v35, s81, v21
	v_mul_lo_u32 v37, s82, v20
	v_add3_u32 v25, v37, v25, v35
	v_mul_lo_u32 v35, v24, s23
	v_mul_lo_u32 v37, v25, s22
	v_mad_u64_u32 v[24:25], s[0:1], v24, s22, 0
	v_add3_u32 v25, v25, v35, v37
	v_mul_lo_u32 v35, v21, s20
	v_mul_lo_u32 v37, v20, s21
	v_mad_u64_u32 v[20:21], s[0:1], v20, s20, 0
	v_add3_u32 v21, v21, v37, v35
	v_lshlrev_b64 v[20:21], 1, v[20:21]
	v_mov_b32_e32 v35, s51
	v_add_co_u32_e32 v37, vcc, s50, v20
	v_addc_co_u32_e32 v35, vcc, v35, v21, vcc
	v_lshlrev_b64 v[20:21], 1, v[24:25]
	v_add_co_u32_e32 v20, vcc, v37, v20
	v_addc_co_u32_e32 v21, vcc, v35, v21, vcc
	v_mul_lo_u32 v35, v19, s60
	v_mul_lo_u32 v37, v18, s61
	v_mad_u64_u32 v[24:25], s[0:1], v18, s60, 0
	v_add3_u32 v25, v25, v37, v35
	v_sub_co_u32_e32 v12, vcc, v12, v24
	v_subb_co_u32_e32 v13, vcc, v13, v25, vcc
	v_add_co_u32_e32 v12, vcc, v0, v12
	v_addc_co_u32_e32 v13, vcc, v1, v13, vcc
	v_mul_lo_u32 v24, v13, s6
	v_mul_lo_u32 v25, v12, s7
	v_mad_u64_u32 v[12:13], s[0:1], v12, s6, 0
	v_add3_u32 v13, v13, v25, v24
	v_mul_lo_u32 v24, v19, s4
	v_mul_lo_u32 v25, v18, s5
	v_mad_u64_u32 v[18:19], s[0:1], v18, s4, 0
	v_add3_u32 v19, v19, v25, v24
	v_lshlrev_b64 v[18:19], 1, v[18:19]
	v_mov_b32_e32 v24, s59
	v_add_co_u32_e32 v18, vcc, s58, v18
	v_addc_co_u32_e32 v19, vcc, v24, v19, vcc
	v_lshlrev_b64 v[12:13], 1, v[12:13]
	v_add_co_u32_e32 v12, vcc, v18, v12
	v_addc_co_u32_e32 v13, vcc, v19, v13, vcc
	v_mul_lo_u32 v25, v17, s60
	v_mul_lo_u32 v35, v16, s61
	v_mad_u64_u32 v[18:19], s[0:1], v16, s60, 0
	v_add3_u32 v19, v19, v35, v25
	v_sub_co_u32_e32 v10, vcc, v10, v18
	v_subb_co_u32_e32 v11, vcc, v11, v19, vcc
	v_add_co_u32_e32 v10, vcc, v0, v10
	v_addc_co_u32_e32 v11, vcc, v1, v11, vcc
	v_mul_lo_u32 v18, v11, s6
	v_mul_lo_u32 v19, v10, s7
	v_mad_u64_u32 v[10:11], s[0:1], v10, s6, 0
	v_add3_u32 v11, v11, v19, v18
	v_mul_lo_u32 v18, v17, s4
	v_mul_lo_u32 v19, v16, s5
	v_mad_u64_u32 v[16:17], s[0:1], v16, s4, 0
	v_add3_u32 v17, v17, v19, v18
	v_lshlrev_b64 v[16:17], 1, v[16:17]
	v_add_co_u32_e32 v16, vcc, s58, v16
	v_addc_co_u32_e32 v17, vcc, v24, v17, vcc
	v_lshlrev_b64 v[10:11], 1, v[10:11]
	v_add_co_u32_e32 v10, vcc, v16, v10
	v_addc_co_u32_e32 v11, vcc, v17, v11, vcc
	v_mul_lo_u32 v18, v15, s60
	v_mul_lo_u32 v19, v14, s61
	v_mad_u64_u32 v[16:17], s[0:1], v14, s60, 0
	v_add3_u32 v17, v17, v19, v18
	v_sub_co_u32_e32 v8, vcc, v8, v16
	v_subb_co_u32_e32 v9, vcc, v9, v17, vcc
	v_add_co_u32_e32 v8, vcc, v0, v8
	v_addc_co_u32_e32 v9, vcc, v1, v9, vcc
	v_mul_lo_u32 v16, v9, s6
	v_mul_lo_u32 v17, v8, s7
	v_mad_u64_u32 v[8:9], s[0:1], v8, s6, 0
	v_add3_u32 v9, v9, v17, v16
	v_mul_lo_u32 v16, v15, s4
	v_mul_lo_u32 v17, v14, s5
	v_mad_u64_u32 v[14:15], s[0:1], v14, s4, 0
	v_add3_u32 v15, v15, v17, v16
	v_lshlrev_b64 v[14:15], 1, v[14:15]
	;; [unrolled: 22-line block ×3, first 2 shown]
	v_add_co_u32_e32 v14, vcc, s58, v14
	v_addc_co_u32_e32 v15, vcc, v24, v15, vcc
	v_lshlrev_b64 v[4:5], 1, v[4:5]
	v_add_co_u32_e32 v4, vcc, v14, v4
	v_bfi_b32 v14, s92, v36, v34
	v_fma_mixlo_f16 v14, v31, v14, 0
	global_store_short v[20:21], v14, off
	v_cvt_f16_f32_e32 v14, v34
	v_addc_co_u32_e32 v5, vcc, v15, v5, vcc
	v_cvt_f16_f32_e32 v15, v33
	v_cvt_f16_f32_e32 v16, v32
	global_store_short v[6:7], v14, off
	global_store_short v[4:5], v3, off
	;; [unrolled: 1-line block ×4, first 2 shown]
	v_cvt_f16_f32_e32 v3, v31
	v_mov_b32_e32 v4, s74
	v_add_co_u32_e32 v0, vcc, s33, v0
	v_addc_co_u32_e32 v1, vcc, v1, v4, vcc
	v_cmp_le_i64_e32 vcc, s[10:11], v[0:1]
	s_or_b64 s[66:67], vcc, s[66:67]
	global_store_short v[12:13], v3, off
	s_andn2_b64 exec, exec, s[66:67]
	s_cbranch_execz .LBB11_77
.LBB11_3:                               ; =>This Inner Loop Header: Depth=1
	v_or_b32_e32 v3, s9, v1
	v_cmp_ne_u64_e32 vcc, 0, v[2:3]
	v_ashrrev_i32_e32 v31, 31, v1
                                        ; implicit-def: $vgpr6_vgpr7
	s_and_saveexec_b64 s[0:1], vcc
	s_xor_b64 s[68:69], exec, s[0:1]
	s_cbranch_execz .LBB11_5
; %bb.4:                                ;   in Loop: Header=BB11_3 Depth=1
	s_ashr_i32 s70, s9, 31
	s_add_u32 s0, s8, s70
	s_mov_b32 s71, s70
	s_addc_u32 s1, s9, s70
	s_xor_b64 s[72:73], s[0:1], s[70:71]
	v_cvt_f32_u32_e32 v3, s72
	v_cvt_f32_u32_e32 v4, s73
	s_sub_u32 s0, 0, s72
	s_subb_u32 s1, 0, s73
	v_mac_f32_e32 v3, 0x4f800000, v4
	v_rcp_f32_e32 v3, v3
	v_mul_f32_e32 v3, 0x5f7ffffc, v3
	v_mul_f32_e32 v4, 0x2f800000, v3
	v_trunc_f32_e32 v4, v4
	v_mac_f32_e32 v3, 0xcf800000, v4
	v_cvt_u32_f32_e32 v4, v4
	v_cvt_u32_f32_e32 v3, v3
	v_mul_lo_u32 v5, s0, v4
	v_mul_hi_u32 v7, s0, v3
	v_mul_lo_u32 v6, s1, v3
	v_add_u32_e32 v5, v7, v5
	v_mul_lo_u32 v8, s0, v3
	v_add_u32_e32 v5, v5, v6
	v_mul_lo_u32 v7, v3, v5
	v_mul_hi_u32 v9, v3, v8
	v_mul_hi_u32 v6, v3, v5
	v_add_co_u32_e32 v7, vcc, v9, v7
	v_addc_co_u32_e32 v6, vcc, 0, v6, vcc
	v_mul_hi_u32 v10, v4, v8
	v_mul_lo_u32 v8, v4, v8
	v_add_co_u32_e32 v7, vcc, v7, v8
	v_mul_hi_u32 v9, v4, v5
	v_addc_co_u32_e32 v6, vcc, v6, v10, vcc
	v_addc_co_u32_e32 v7, vcc, 0, v9, vcc
	v_mul_lo_u32 v5, v4, v5
	v_add_co_u32_e32 v5, vcc, v6, v5
	v_addc_co_u32_e32 v6, vcc, 0, v7, vcc
	v_add_co_u32_e32 v3, vcc, v3, v5
	v_addc_co_u32_e32 v4, vcc, v4, v6, vcc
	v_mul_lo_u32 v5, s0, v4
	v_mul_hi_u32 v6, s0, v3
	v_add_u32_e32 v5, v6, v5
	v_mul_lo_u32 v6, s1, v3
	v_add_u32_e32 v5, v5, v6
	v_mul_lo_u32 v7, s0, v3
	v_mul_hi_u32 v8, v4, v7
	v_mul_lo_u32 v9, v4, v7
	v_mul_lo_u32 v11, v3, v5
	v_mul_hi_u32 v7, v3, v7
	v_mul_hi_u32 v10, v3, v5
	v_add_co_u32_e32 v7, vcc, v7, v11
	v_addc_co_u32_e32 v10, vcc, 0, v10, vcc
	v_add_co_u32_e32 v7, vcc, v7, v9
	v_mul_hi_u32 v6, v4, v5
	v_addc_co_u32_e32 v7, vcc, v10, v8, vcc
	v_addc_co_u32_e32 v6, vcc, 0, v6, vcc
	v_mul_lo_u32 v5, v4, v5
	v_add_co_u32_e32 v5, vcc, v7, v5
	v_addc_co_u32_e32 v6, vcc, 0, v6, vcc
	v_add_co_u32_e32 v3, vcc, v3, v5
	v_addc_co_u32_e32 v6, vcc, v4, v6, vcc
	;; [unrolled: 2-line block ×3, first 2 shown]
	v_xor_b32_e32 v9, v4, v31
	v_xor_b32_e32 v8, v5, v31
	v_mad_u64_u32 v[4:5], s[0:1], v9, v6, 0
	v_mul_hi_u32 v7, v9, v3
	v_add_co_u32_e32 v10, vcc, v7, v4
	v_addc_co_u32_e32 v11, vcc, 0, v5, vcc
	v_mad_u64_u32 v[4:5], s[0:1], v8, v6, 0
	v_mad_u64_u32 v[6:7], s[0:1], v8, v3, 0
	v_add_co_u32_e32 v3, vcc, v10, v6
	v_addc_co_u32_e32 v3, vcc, v11, v7, vcc
	v_addc_co_u32_e32 v5, vcc, 0, v5, vcc
	v_add_co_u32_e32 v3, vcc, v3, v4
	v_addc_co_u32_e32 v6, vcc, 0, v5, vcc
	v_mul_lo_u32 v7, s73, v3
	v_mul_lo_u32 v10, s72, v6
	v_mad_u64_u32 v[4:5], s[0:1], s72, v3, 0
	v_add3_u32 v5, v5, v10, v7
	v_sub_u32_e32 v7, v8, v5
	v_mov_b32_e32 v10, s73
	v_sub_co_u32_e32 v4, vcc, v9, v4
	v_subb_co_u32_e64 v7, s[0:1], v7, v10, vcc
	v_subrev_co_u32_e64 v9, s[0:1], s72, v4
	v_subbrev_co_u32_e64 v7, s[0:1], 0, v7, s[0:1]
	v_cmp_le_u32_e64 s[0:1], s73, v7
	v_cndmask_b32_e64 v10, 0, -1, s[0:1]
	v_cmp_le_u32_e64 s[0:1], s72, v9
	v_cndmask_b32_e64 v9, 0, -1, s[0:1]
	v_cmp_eq_u32_e64 s[0:1], s73, v7
	v_cndmask_b32_e64 v7, v10, v9, s[0:1]
	v_add_co_u32_e64 v9, s[0:1], 2, v3
	v_subb_co_u32_e32 v5, vcc, v8, v5, vcc
	v_addc_co_u32_e64 v10, s[0:1], 0, v6, s[0:1]
	v_cmp_le_u32_e32 vcc, s73, v5
	v_add_co_u32_e64 v11, s[0:1], 1, v3
	v_cndmask_b32_e64 v8, 0, -1, vcc
	v_cmp_le_u32_e32 vcc, s72, v4
	v_addc_co_u32_e64 v12, s[0:1], 0, v6, s[0:1]
	v_cndmask_b32_e64 v4, 0, -1, vcc
	v_cmp_eq_u32_e32 vcc, s73, v5
	v_cmp_ne_u32_e64 s[0:1], 0, v7
	v_cndmask_b32_e32 v4, v8, v4, vcc
	v_cmp_ne_u32_e32 vcc, 0, v4
	v_cndmask_b32_e64 v5, v11, v9, s[0:1]
	v_cndmask_b32_e64 v7, v12, v10, s[0:1]
	v_cndmask_b32_e32 v3, v3, v5, vcc
	v_xor_b32_e32 v5, s70, v31
	v_cndmask_b32_e32 v4, v6, v7, vcc
	v_xor_b32_e32 v3, v3, v5
	v_xor_b32_e32 v4, v4, v5
	v_sub_co_u32_e32 v6, vcc, v3, v5
	v_subb_co_u32_e32 v7, vcc, v4, v5, vcc
.LBB11_5:                               ;   in Loop: Header=BB11_3 Depth=1
	s_andn2_saveexec_b64 s[0:1], s[68:69]
	s_cbranch_execz .LBB11_7
; %bb.6:                                ;   in Loop: Header=BB11_3 Depth=1
	s_sub_i32 s68, 0, s8
	v_mul_lo_u32 v3, s68, v29
	v_mul_hi_u32 v3, v29, v3
	v_add_u32_e32 v3, v29, v3
	v_mul_hi_u32 v3, v0, v3
	v_mul_lo_u32 v4, v3, s8
	v_sub_u32_e32 v4, v0, v4
	v_subrev_u32_e32 v5, s8, v4
	v_cmp_le_u32_e32 vcc, s8, v4
	v_cndmask_b32_e32 v4, v4, v5, vcc
	v_add_u32_e32 v5, 1, v3
	v_cndmask_b32_e32 v3, v3, v5, vcc
	v_add_u32_e32 v5, 1, v3
	v_cmp_le_u32_e32 vcc, s8, v4
	v_cndmask_b32_e32 v6, v3, v5, vcc
	v_mov_b32_e32 v7, v2
.LBB11_7:                               ;   in Loop: Header=BB11_3 Depth=1
	s_or_b64 exec, exec, s[0:1]
	v_mul_lo_u32 v10, s75, v6
	v_mul_lo_u32 v11, s76, v7
	v_mad_u64_u32 v[14:15], s[0:1], s76, v6, v[0:1]
	v_add3_u32 v15, v10, v15, v11
	v_or_b32_e32 v3, s35, v15
	v_cmp_ne_u64_e32 vcc, 0, v[2:3]
	v_ashrrev_i32_e32 v24, 31, v15
                                        ; implicit-def: $vgpr8_vgpr9
	s_and_saveexec_b64 s[0:1], vcc
	s_xor_b64 s[68:69], exec, s[0:1]
	s_cbranch_execz .LBB11_9
; %bb.8:                                ;   in Loop: Header=BB11_3 Depth=1
	s_ashr_i32 s70, s35, 31
	s_add_u32 s0, s34, s70
	s_mov_b32 s71, s70
	s_addc_u32 s1, s35, s70
	s_xor_b64 s[72:73], s[0:1], s[70:71]
	v_cvt_f32_u32_e32 v3, s72
	v_cvt_f32_u32_e32 v4, s73
	s_sub_u32 s0, 0, s72
	s_subb_u32 s1, 0, s73
	v_mac_f32_e32 v3, 0x4f800000, v4
	v_rcp_f32_e32 v3, v3
	v_mul_f32_e32 v3, 0x5f7ffffc, v3
	v_mul_f32_e32 v4, 0x2f800000, v3
	v_trunc_f32_e32 v4, v4
	v_mac_f32_e32 v3, 0xcf800000, v4
	v_cvt_u32_f32_e32 v4, v4
	v_cvt_u32_f32_e32 v3, v3
	v_mul_lo_u32 v5, s0, v4
	v_mul_hi_u32 v9, s0, v3
	v_mul_lo_u32 v8, s1, v3
	v_add_u32_e32 v5, v9, v5
	v_mul_lo_u32 v12, s0, v3
	v_add_u32_e32 v5, v5, v8
	v_mul_lo_u32 v9, v3, v5
	v_mul_hi_u32 v13, v3, v12
	v_mul_hi_u32 v8, v3, v5
	v_add_co_u32_e32 v9, vcc, v13, v9
	v_addc_co_u32_e32 v8, vcc, 0, v8, vcc
	v_mul_hi_u32 v16, v4, v12
	v_mul_lo_u32 v12, v4, v12
	v_add_co_u32_e32 v9, vcc, v9, v12
	v_mul_hi_u32 v13, v4, v5
	v_addc_co_u32_e32 v8, vcc, v8, v16, vcc
	v_addc_co_u32_e32 v9, vcc, 0, v13, vcc
	v_mul_lo_u32 v5, v4, v5
	v_add_co_u32_e32 v5, vcc, v8, v5
	v_addc_co_u32_e32 v8, vcc, 0, v9, vcc
	v_add_co_u32_e32 v3, vcc, v3, v5
	v_addc_co_u32_e32 v4, vcc, v4, v8, vcc
	v_mul_lo_u32 v5, s0, v4
	v_mul_hi_u32 v8, s0, v3
	v_add_u32_e32 v5, v8, v5
	v_mul_lo_u32 v8, s1, v3
	v_add_u32_e32 v5, v5, v8
	v_mul_lo_u32 v9, s0, v3
	v_mul_hi_u32 v12, v4, v9
	v_mul_lo_u32 v13, v4, v9
	v_mul_lo_u32 v17, v3, v5
	v_mul_hi_u32 v9, v3, v9
	v_mul_hi_u32 v16, v3, v5
	v_add_co_u32_e32 v9, vcc, v9, v17
	v_addc_co_u32_e32 v16, vcc, 0, v16, vcc
	v_add_co_u32_e32 v9, vcc, v9, v13
	v_mul_hi_u32 v8, v4, v5
	v_addc_co_u32_e32 v9, vcc, v16, v12, vcc
	v_addc_co_u32_e32 v8, vcc, 0, v8, vcc
	v_mul_lo_u32 v5, v4, v5
	v_add_co_u32_e32 v5, vcc, v9, v5
	v_addc_co_u32_e32 v8, vcc, 0, v8, vcc
	v_add_co_u32_e32 v3, vcc, v3, v5
	v_addc_co_u32_e32 v8, vcc, v4, v8, vcc
	;; [unrolled: 2-line block ×3, first 2 shown]
	v_xor_b32_e32 v13, v4, v24
	v_xor_b32_e32 v12, v5, v24
	v_mad_u64_u32 v[4:5], s[0:1], v13, v8, 0
	v_mul_hi_u32 v9, v13, v3
	v_add_co_u32_e32 v16, vcc, v9, v4
	v_addc_co_u32_e32 v17, vcc, 0, v5, vcc
	v_mad_u64_u32 v[4:5], s[0:1], v12, v8, 0
	v_mad_u64_u32 v[8:9], s[0:1], v12, v3, 0
	v_add_co_u32_e32 v3, vcc, v16, v8
	v_addc_co_u32_e32 v3, vcc, v17, v9, vcc
	v_addc_co_u32_e32 v5, vcc, 0, v5, vcc
	v_add_co_u32_e32 v3, vcc, v3, v4
	v_addc_co_u32_e32 v8, vcc, 0, v5, vcc
	v_mul_lo_u32 v9, s73, v3
	v_mul_lo_u32 v16, s72, v8
	v_mad_u64_u32 v[4:5], s[0:1], s72, v3, 0
	v_add3_u32 v5, v5, v16, v9
	v_sub_u32_e32 v9, v12, v5
	v_mov_b32_e32 v16, s73
	v_sub_co_u32_e32 v4, vcc, v13, v4
	v_subb_co_u32_e64 v9, s[0:1], v9, v16, vcc
	v_subrev_co_u32_e64 v13, s[0:1], s72, v4
	v_subbrev_co_u32_e64 v9, s[0:1], 0, v9, s[0:1]
	v_cmp_le_u32_e64 s[0:1], s73, v9
	v_cndmask_b32_e64 v16, 0, -1, s[0:1]
	v_cmp_le_u32_e64 s[0:1], s72, v13
	v_cndmask_b32_e64 v13, 0, -1, s[0:1]
	v_cmp_eq_u32_e64 s[0:1], s73, v9
	v_cndmask_b32_e64 v9, v16, v13, s[0:1]
	v_add_co_u32_e64 v13, s[0:1], 2, v3
	v_subb_co_u32_e32 v5, vcc, v12, v5, vcc
	v_addc_co_u32_e64 v16, s[0:1], 0, v8, s[0:1]
	v_cmp_le_u32_e32 vcc, s73, v5
	v_add_co_u32_e64 v17, s[0:1], 1, v3
	v_cndmask_b32_e64 v12, 0, -1, vcc
	v_cmp_le_u32_e32 vcc, s72, v4
	v_addc_co_u32_e64 v18, s[0:1], 0, v8, s[0:1]
	v_cndmask_b32_e64 v4, 0, -1, vcc
	v_cmp_eq_u32_e32 vcc, s73, v5
	v_cmp_ne_u32_e64 s[0:1], 0, v9
	v_cndmask_b32_e32 v4, v12, v4, vcc
	v_cmp_ne_u32_e32 vcc, 0, v4
	v_cndmask_b32_e64 v5, v17, v13, s[0:1]
	v_cndmask_b32_e64 v9, v18, v16, s[0:1]
	v_cndmask_b32_e32 v3, v3, v5, vcc
	v_xor_b32_e32 v5, s70, v24
	v_cndmask_b32_e32 v4, v8, v9, vcc
	v_xor_b32_e32 v3, v3, v5
	v_xor_b32_e32 v4, v4, v5
	v_sub_co_u32_e32 v8, vcc, v3, v5
	v_subb_co_u32_e32 v9, vcc, v4, v5, vcc
.LBB11_9:                               ;   in Loop: Header=BB11_3 Depth=1
	s_or_saveexec_b64 s[0:1], s[68:69]
	v_cvt_f32_u32_e32 v35, s34
	s_xor_b64 exec, exec, s[0:1]
	s_cbranch_execz .LBB11_11
; %bb.10:                               ;   in Loop: Header=BB11_3 Depth=1
	v_rcp_iflag_f32_e32 v3, v35
	s_sub_i32 s68, 0, s34
	v_mov_b32_e32 v9, v2
	v_mul_f32_e32 v3, 0x4f7ffffe, v3
	v_cvt_u32_f32_e32 v3, v3
	v_mul_lo_u32 v4, s68, v3
	v_mul_hi_u32 v4, v3, v4
	v_add_u32_e32 v3, v3, v4
	v_mul_hi_u32 v3, v14, v3
	v_mul_lo_u32 v4, v3, s34
	v_sub_u32_e32 v4, v14, v4
	v_add_u32_e32 v5, 1, v3
	v_subrev_u32_e32 v8, s34, v4
	v_cmp_le_u32_e32 vcc, s34, v4
	v_cndmask_b32_e32 v4, v4, v8, vcc
	v_cndmask_b32_e32 v3, v3, v5, vcc
	v_add_u32_e32 v5, 1, v3
	v_cmp_le_u32_e32 vcc, s34, v4
	v_cndmask_b32_e32 v8, v3, v5, vcc
.LBB11_11:                              ;   in Loop: Header=BB11_3 Depth=1
	s_or_b64 exec, exec, s[0:1]
	v_mad_u64_u32 v[4:5], s[0:1], s76, v6, 0
	v_add3_u32 v5, v5, v11, v10
	v_mul_lo_u32 v3, v9, s34
	v_mul_lo_u32 v12, v8, s35
	v_mad_u64_u32 v[10:11], s[0:1], v8, s34, 0
	v_add3_u32 v3, v11, v12, v3
	v_sub_co_u32_e32 v10, vcc, v4, v10
	v_subb_co_u32_e32 v3, vcc, v5, v3, vcc
	v_add_co_u32_e32 v10, vcc, v0, v10
	v_addc_co_u32_e32 v3, vcc, v1, v3, vcc
	v_mul_lo_u32 v3, v3, s14
	v_mul_lo_u32 v12, v10, s15
	v_mad_u64_u32 v[10:11], s[0:1], v10, s14, 0
	v_add3_u32 v11, v11, v12, v3
	v_mul_lo_u32 v3, v9, s12
	v_mul_lo_u32 v12, v8, s13
	v_mad_u64_u32 v[8:9], s[0:1], v8, s12, 0
	v_add3_u32 v9, v9, v12, v3
	v_lshlrev_b64 v[8:9], 1, v[8:9]
	v_mov_b32_e32 v3, s3
	v_add_co_u32_e32 v12, vcc, s2, v8
	v_addc_co_u32_e32 v3, vcc, v3, v9, vcc
	v_lshlrev_b64 v[8:9], 1, v[10:11]
	v_add_co_u32_e32 v8, vcc, v12, v8
	v_addc_co_u32_e32 v9, vcc, v3, v9, vcc
	global_load_ushort v32, v[8:9], off
	v_lshl_add_u32 v18, v7, 1, v7
	v_mad_u64_u32 v[8:9], s[0:1], v6, 3, 1
	v_add_u32_e32 v3, v18, v9
	v_mul_lo_u32 v12, s9, v8
	v_mul_lo_u32 v13, s8, v3
	v_mad_u64_u32 v[16:17], s[0:1], s8, v8, v[0:1]
	v_add3_u32 v17, v12, v17, v13
	v_or_b32_e32 v3, s35, v17
	v_cmp_ne_u64_e32 vcc, 0, v[2:3]
	v_ashrrev_i32_e32 v25, 31, v17
                                        ; implicit-def: $vgpr10_vgpr11
	s_and_saveexec_b64 s[0:1], vcc
	s_xor_b64 s[68:69], exec, s[0:1]
	s_cbranch_execz .LBB11_13
; %bb.12:                               ;   in Loop: Header=BB11_3 Depth=1
	s_ashr_i32 s70, s35, 31
	s_add_u32 s0, s34, s70
	s_mov_b32 s71, s70
	s_addc_u32 s1, s35, s70
	s_xor_b64 s[72:73], s[0:1], s[70:71]
	v_cvt_f32_u32_e32 v3, s72
	v_cvt_f32_u32_e32 v9, s73
	s_sub_u32 s0, 0, s72
	s_subb_u32 s1, 0, s73
	v_mac_f32_e32 v3, 0x4f800000, v9
	v_rcp_f32_e32 v3, v3
	v_mul_f32_e32 v3, 0x5f7ffffc, v3
	v_mul_f32_e32 v9, 0x2f800000, v3
	v_trunc_f32_e32 v9, v9
	v_mac_f32_e32 v3, 0xcf800000, v9
	v_cvt_u32_f32_e32 v9, v9
	v_cvt_u32_f32_e32 v3, v3
	v_mul_lo_u32 v10, s0, v9
	v_mul_hi_u32 v19, s0, v3
	v_mul_lo_u32 v11, s1, v3
	v_add_u32_e32 v10, v19, v10
	v_mul_lo_u32 v20, s0, v3
	v_add_u32_e32 v10, v10, v11
	v_mul_lo_u32 v19, v3, v10
	v_mul_hi_u32 v21, v3, v20
	v_mul_hi_u32 v11, v3, v10
	v_add_co_u32_e32 v19, vcc, v21, v19
	v_addc_co_u32_e32 v11, vcc, 0, v11, vcc
	v_mul_hi_u32 v22, v9, v20
	v_mul_lo_u32 v20, v9, v20
	v_add_co_u32_e32 v19, vcc, v19, v20
	v_mul_hi_u32 v21, v9, v10
	v_addc_co_u32_e32 v11, vcc, v11, v22, vcc
	v_addc_co_u32_e32 v19, vcc, 0, v21, vcc
	v_mul_lo_u32 v10, v9, v10
	v_add_co_u32_e32 v10, vcc, v11, v10
	v_addc_co_u32_e32 v11, vcc, 0, v19, vcc
	v_add_co_u32_e32 v3, vcc, v3, v10
	v_addc_co_u32_e32 v9, vcc, v9, v11, vcc
	v_mul_lo_u32 v10, s0, v9
	v_mul_hi_u32 v11, s0, v3
	v_add_u32_e32 v10, v11, v10
	v_mul_lo_u32 v11, s1, v3
	v_add_u32_e32 v10, v10, v11
	v_mul_lo_u32 v19, s0, v3
	v_mul_hi_u32 v20, v9, v19
	v_mul_lo_u32 v21, v9, v19
	v_mul_lo_u32 v23, v3, v10
	v_mul_hi_u32 v19, v3, v19
	v_mul_hi_u32 v22, v3, v10
	v_add_co_u32_e32 v19, vcc, v19, v23
	v_addc_co_u32_e32 v22, vcc, 0, v22, vcc
	v_add_co_u32_e32 v19, vcc, v19, v21
	v_mul_hi_u32 v11, v9, v10
	v_addc_co_u32_e32 v19, vcc, v22, v20, vcc
	v_addc_co_u32_e32 v11, vcc, 0, v11, vcc
	v_mul_lo_u32 v10, v9, v10
	v_add_co_u32_e32 v10, vcc, v19, v10
	v_addc_co_u32_e32 v11, vcc, 0, v11, vcc
	v_add_co_u32_e32 v3, vcc, v3, v10
	v_addc_co_u32_e32 v9, vcc, v9, v11, vcc
	;; [unrolled: 2-line block ×3, first 2 shown]
	v_xor_b32_e32 v22, v10, v25
	v_xor_b32_e32 v19, v11, v25
	v_mad_u64_u32 v[10:11], s[0:1], v22, v9, 0
	v_mul_hi_u32 v20, v22, v3
	v_add_co_u32_e32 v23, vcc, v20, v10
	v_addc_co_u32_e32 v33, vcc, 0, v11, vcc
	v_mad_u64_u32 v[20:21], s[0:1], v19, v3, 0
	v_add_co_u32_e32 v3, vcc, v23, v20
	v_mad_u64_u32 v[10:11], s[0:1], v19, v9, 0
	v_addc_co_u32_e32 v3, vcc, v33, v21, vcc
	v_addc_co_u32_e32 v9, vcc, 0, v11, vcc
	v_add_co_u32_e32 v3, vcc, v3, v10
	v_addc_co_u32_e32 v9, vcc, 0, v9, vcc
	v_mul_lo_u32 v20, s73, v3
	v_mul_lo_u32 v21, s72, v9
	v_mad_u64_u32 v[10:11], s[0:1], s72, v3, 0
	v_add3_u32 v11, v11, v21, v20
	v_sub_u32_e32 v20, v19, v11
	v_mov_b32_e32 v21, s73
	v_sub_co_u32_e32 v10, vcc, v22, v10
	v_subb_co_u32_e64 v20, s[0:1], v20, v21, vcc
	v_subrev_co_u32_e64 v21, s[0:1], s72, v10
	v_subbrev_co_u32_e64 v20, s[0:1], 0, v20, s[0:1]
	v_cmp_le_u32_e64 s[0:1], s73, v20
	v_cndmask_b32_e64 v22, 0, -1, s[0:1]
	v_cmp_le_u32_e64 s[0:1], s72, v21
	v_cndmask_b32_e64 v21, 0, -1, s[0:1]
	v_cmp_eq_u32_e64 s[0:1], s73, v20
	v_cndmask_b32_e64 v20, v22, v21, s[0:1]
	v_add_co_u32_e64 v21, s[0:1], 2, v3
	v_subb_co_u32_e32 v11, vcc, v19, v11, vcc
	v_addc_co_u32_e64 v22, s[0:1], 0, v9, s[0:1]
	v_cmp_le_u32_e32 vcc, s73, v11
	v_add_co_u32_e64 v23, s[0:1], 1, v3
	v_cndmask_b32_e64 v19, 0, -1, vcc
	v_cmp_le_u32_e32 vcc, s72, v10
	v_addc_co_u32_e64 v33, s[0:1], 0, v9, s[0:1]
	v_cndmask_b32_e64 v10, 0, -1, vcc
	v_cmp_eq_u32_e32 vcc, s73, v11
	v_cmp_ne_u32_e64 s[0:1], 0, v20
	v_cndmask_b32_e32 v10, v19, v10, vcc
	v_cmp_ne_u32_e32 vcc, 0, v10
	v_cndmask_b32_e64 v10, v23, v21, s[0:1]
	v_cndmask_b32_e64 v20, v33, v22, s[0:1]
	v_cndmask_b32_e32 v3, v3, v10, vcc
	v_xor_b32_e32 v11, s70, v25
	v_cndmask_b32_e32 v9, v9, v20, vcc
	v_xor_b32_e32 v3, v3, v11
	v_xor_b32_e32 v9, v9, v11
	v_sub_co_u32_e32 v10, vcc, v3, v11
	v_subb_co_u32_e32 v11, vcc, v9, v11, vcc
.LBB11_13:                              ;   in Loop: Header=BB11_3 Depth=1
	s_andn2_saveexec_b64 s[0:1], s[68:69]
	s_cbranch_execz .LBB11_15
; %bb.14:                               ;   in Loop: Header=BB11_3 Depth=1
	v_rcp_iflag_f32_e32 v3, v35
	s_sub_i32 s68, 0, s34
	v_mul_f32_e32 v3, 0x4f7ffffe, v3
	v_cvt_u32_f32_e32 v3, v3
	v_mul_lo_u32 v9, s68, v3
	v_mul_hi_u32 v9, v3, v9
	v_add_u32_e32 v3, v3, v9
	v_mul_hi_u32 v3, v16, v3
	v_mul_lo_u32 v9, v3, s34
	v_sub_u32_e32 v9, v16, v9
	v_add_u32_e32 v10, 1, v3
	v_subrev_u32_e32 v11, s34, v9
	v_cmp_le_u32_e32 vcc, s34, v9
	v_cndmask_b32_e32 v9, v9, v11, vcc
	v_cndmask_b32_e32 v3, v3, v10, vcc
	v_add_u32_e32 v10, 1, v3
	v_cmp_le_u32_e32 vcc, s34, v9
	v_cndmask_b32_e32 v10, v3, v10, vcc
	v_mov_b32_e32 v11, v2
.LBB11_15:                              ;   in Loop: Header=BB11_3 Depth=1
	s_or_b64 exec, exec, s[0:1]
	v_mad_u64_u32 v[8:9], s[0:1], s8, v8, 0
	v_add3_u32 v9, v9, v13, v12
	v_mul_lo_u32 v3, v11, s34
	v_mul_lo_u32 v19, v10, s35
	v_mad_u64_u32 v[12:13], s[0:1], v10, s34, 0
	v_add3_u32 v3, v13, v19, v3
	v_sub_co_u32_e32 v12, vcc, v8, v12
	v_subb_co_u32_e32 v3, vcc, v9, v3, vcc
	v_add_co_u32_e32 v12, vcc, v0, v12
	v_addc_co_u32_e32 v3, vcc, v1, v3, vcc
	v_mul_lo_u32 v3, v3, s14
	v_mul_lo_u32 v19, v12, s15
	v_mad_u64_u32 v[12:13], s[0:1], v12, s14, 0
	v_add3_u32 v13, v13, v19, v3
	v_mul_lo_u32 v3, v11, s12
	v_mul_lo_u32 v19, v10, s13
	v_mad_u64_u32 v[10:11], s[0:1], v10, s12, 0
	v_add3_u32 v11, v11, v19, v3
	v_lshlrev_b64 v[10:11], 1, v[10:11]
	v_mov_b32_e32 v3, s3
	v_add_co_u32_e32 v19, vcc, s2, v10
	v_addc_co_u32_e32 v3, vcc, v3, v11, vcc
	v_lshlrev_b64 v[10:11], 1, v[12:13]
	v_add_co_u32_e32 v10, vcc, v19, v10
	v_addc_co_u32_e32 v11, vcc, v3, v11, vcc
	global_load_ushort v33, v[10:11], off
	v_mad_u64_u32 v[12:13], s[0:1], v6, 3, 0
	v_add_u32_e32 v13, v13, v18
	v_add_co_u32_e32 v10, vcc, 2, v12
	v_addc_co_u32_e32 v3, vcc, 0, v13, vcc
	v_mul_lo_u32 v22, s9, v10
	v_mul_lo_u32 v23, s8, v3
	v_mad_u64_u32 v[18:19], s[0:1], s8, v10, v[0:1]
	v_add3_u32 v19, v22, v19, v23
	v_or_b32_e32 v3, s35, v19
	v_cmp_ne_u64_e32 vcc, 0, v[2:3]
	v_ashrrev_i32_e32 v38, 31, v19
                                        ; implicit-def: $vgpr20_vgpr21
	s_and_saveexec_b64 s[0:1], vcc
	s_xor_b64 s[68:69], exec, s[0:1]
	s_cbranch_execz .LBB11_17
; %bb.16:                               ;   in Loop: Header=BB11_3 Depth=1
	s_ashr_i32 s70, s35, 31
	s_add_u32 s0, s34, s70
	s_mov_b32 s71, s70
	s_addc_u32 s1, s35, s70
	s_xor_b64 s[72:73], s[0:1], s[70:71]
	v_cvt_f32_u32_e32 v3, s72
	v_cvt_f32_u32_e32 v11, s73
	s_sub_u32 s0, 0, s72
	s_subb_u32 s1, 0, s73
	v_mac_f32_e32 v3, 0x4f800000, v11
	v_rcp_f32_e32 v3, v3
	v_mul_f32_e32 v3, 0x5f7ffffc, v3
	v_mul_f32_e32 v11, 0x2f800000, v3
	v_trunc_f32_e32 v11, v11
	v_mac_f32_e32 v3, 0xcf800000, v11
	v_cvt_u32_f32_e32 v11, v11
	v_cvt_u32_f32_e32 v3, v3
	v_mul_lo_u32 v20, s0, v11
	v_mul_hi_u32 v34, s0, v3
	v_mul_lo_u32 v21, s1, v3
	v_add_u32_e32 v20, v34, v20
	v_mul_lo_u32 v36, s0, v3
	v_add_u32_e32 v20, v20, v21
	v_mul_lo_u32 v34, v3, v20
	v_mul_hi_u32 v37, v3, v36
	v_mul_hi_u32 v21, v3, v20
	v_add_co_u32_e32 v34, vcc, v37, v34
	v_addc_co_u32_e32 v21, vcc, 0, v21, vcc
	v_mul_hi_u32 v39, v11, v36
	v_mul_lo_u32 v36, v11, v36
	v_add_co_u32_e32 v34, vcc, v34, v36
	v_mul_hi_u32 v37, v11, v20
	v_addc_co_u32_e32 v21, vcc, v21, v39, vcc
	v_addc_co_u32_e32 v34, vcc, 0, v37, vcc
	v_mul_lo_u32 v20, v11, v20
	v_add_co_u32_e32 v20, vcc, v21, v20
	v_addc_co_u32_e32 v21, vcc, 0, v34, vcc
	v_add_co_u32_e32 v3, vcc, v3, v20
	v_addc_co_u32_e32 v11, vcc, v11, v21, vcc
	v_mul_lo_u32 v20, s0, v11
	v_mul_hi_u32 v21, s0, v3
	v_add_u32_e32 v20, v21, v20
	v_mul_lo_u32 v21, s1, v3
	v_add_u32_e32 v20, v20, v21
	v_mul_lo_u32 v34, s0, v3
	v_mul_hi_u32 v36, v11, v34
	v_mul_lo_u32 v37, v11, v34
	v_mul_lo_u32 v40, v3, v20
	v_mul_hi_u32 v34, v3, v34
	v_mul_hi_u32 v39, v3, v20
	v_add_co_u32_e32 v34, vcc, v34, v40
	v_addc_co_u32_e32 v39, vcc, 0, v39, vcc
	v_add_co_u32_e32 v34, vcc, v34, v37
	v_mul_hi_u32 v21, v11, v20
	v_addc_co_u32_e32 v34, vcc, v39, v36, vcc
	v_addc_co_u32_e32 v21, vcc, 0, v21, vcc
	v_mul_lo_u32 v20, v11, v20
	v_add_co_u32_e32 v20, vcc, v34, v20
	v_addc_co_u32_e32 v21, vcc, 0, v21, vcc
	v_add_co_u32_e32 v3, vcc, v3, v20
	v_addc_co_u32_e32 v11, vcc, v11, v21, vcc
	v_add_co_u32_e32 v20, vcc, v18, v38
	v_addc_co_u32_e32 v21, vcc, v19, v38, vcc
	v_xor_b32_e32 v39, v20, v38
	v_xor_b32_e32 v34, v21, v38
	v_mad_u64_u32 v[20:21], s[0:1], v39, v11, 0
	v_mul_hi_u32 v36, v39, v3
	v_add_co_u32_e32 v40, vcc, v36, v20
	v_addc_co_u32_e32 v41, vcc, 0, v21, vcc
	v_mad_u64_u32 v[36:37], s[0:1], v34, v3, 0
	v_add_co_u32_e32 v3, vcc, v40, v36
	v_mad_u64_u32 v[20:21], s[0:1], v34, v11, 0
	v_addc_co_u32_e32 v3, vcc, v41, v37, vcc
	v_addc_co_u32_e32 v11, vcc, 0, v21, vcc
	v_add_co_u32_e32 v3, vcc, v3, v20
	v_addc_co_u32_e32 v11, vcc, 0, v11, vcc
	v_mul_lo_u32 v36, s73, v3
	v_mul_lo_u32 v37, s72, v11
	v_mad_u64_u32 v[20:21], s[0:1], s72, v3, 0
	v_add3_u32 v21, v21, v37, v36
	v_sub_u32_e32 v36, v34, v21
	v_mov_b32_e32 v37, s73
	v_sub_co_u32_e32 v20, vcc, v39, v20
	v_subb_co_u32_e64 v36, s[0:1], v36, v37, vcc
	v_subrev_co_u32_e64 v37, s[0:1], s72, v20
	v_subbrev_co_u32_e64 v36, s[0:1], 0, v36, s[0:1]
	v_cmp_le_u32_e64 s[0:1], s73, v36
	v_cndmask_b32_e64 v39, 0, -1, s[0:1]
	v_cmp_le_u32_e64 s[0:1], s72, v37
	v_cndmask_b32_e64 v37, 0, -1, s[0:1]
	v_cmp_eq_u32_e64 s[0:1], s73, v36
	v_cndmask_b32_e64 v36, v39, v37, s[0:1]
	v_add_co_u32_e64 v37, s[0:1], 2, v3
	v_subb_co_u32_e32 v21, vcc, v34, v21, vcc
	v_addc_co_u32_e64 v39, s[0:1], 0, v11, s[0:1]
	v_cmp_le_u32_e32 vcc, s73, v21
	v_add_co_u32_e64 v40, s[0:1], 1, v3
	v_cndmask_b32_e64 v34, 0, -1, vcc
	v_cmp_le_u32_e32 vcc, s72, v20
	v_addc_co_u32_e64 v41, s[0:1], 0, v11, s[0:1]
	v_cndmask_b32_e64 v20, 0, -1, vcc
	v_cmp_eq_u32_e32 vcc, s73, v21
	v_cmp_ne_u32_e64 s[0:1], 0, v36
	v_cndmask_b32_e32 v20, v34, v20, vcc
	v_cmp_ne_u32_e32 vcc, 0, v20
	v_cndmask_b32_e64 v20, v40, v37, s[0:1]
	v_cndmask_b32_e64 v36, v41, v39, s[0:1]
	v_cndmask_b32_e32 v3, v3, v20, vcc
	v_xor_b32_e32 v21, s70, v38
	v_cndmask_b32_e32 v11, v11, v36, vcc
	v_xor_b32_e32 v3, v3, v21
	v_xor_b32_e32 v11, v11, v21
	v_sub_co_u32_e32 v20, vcc, v3, v21
	v_subb_co_u32_e32 v21, vcc, v11, v21, vcc
.LBB11_17:                              ;   in Loop: Header=BB11_3 Depth=1
	s_andn2_saveexec_b64 s[0:1], s[68:69]
	s_cbranch_execz .LBB11_19
; %bb.18:                               ;   in Loop: Header=BB11_3 Depth=1
	v_rcp_iflag_f32_e32 v3, v35
	s_sub_i32 s68, 0, s34
	v_mul_f32_e32 v3, 0x4f7ffffe, v3
	v_cvt_u32_f32_e32 v3, v3
	v_mul_lo_u32 v11, s68, v3
	v_mul_hi_u32 v11, v3, v11
	v_add_u32_e32 v3, v3, v11
	v_mul_hi_u32 v3, v18, v3
	v_mul_lo_u32 v11, v3, s34
	v_sub_u32_e32 v11, v18, v11
	v_add_u32_e32 v20, 1, v3
	v_subrev_u32_e32 v21, s34, v11
	v_cmp_le_u32_e32 vcc, s34, v11
	v_cndmask_b32_e32 v11, v11, v21, vcc
	v_cndmask_b32_e32 v3, v3, v20, vcc
	v_add_u32_e32 v20, 1, v3
	v_cmp_le_u32_e32 vcc, s34, v11
	v_cndmask_b32_e32 v20, v3, v20, vcc
	v_mov_b32_e32 v21, v2
.LBB11_19:                              ;   in Loop: Header=BB11_3 Depth=1
	s_or_b64 exec, exec, s[0:1]
	v_mad_u64_u32 v[10:11], s[0:1], s8, v10, 0
	v_add3_u32 v11, v11, v23, v22
	v_mul_lo_u32 v3, v21, s34
	v_mul_lo_u32 v34, v20, s35
	v_mad_u64_u32 v[22:23], s[0:1], v20, s34, 0
	v_add3_u32 v3, v23, v34, v3
	v_sub_co_u32_e32 v22, vcc, v10, v22
	v_subb_co_u32_e32 v3, vcc, v11, v3, vcc
	v_add_co_u32_e32 v22, vcc, v0, v22
	v_addc_co_u32_e32 v3, vcc, v1, v3, vcc
	v_mul_lo_u32 v3, v3, s14
	v_mul_lo_u32 v34, v22, s15
	v_mad_u64_u32 v[22:23], s[0:1], v22, s14, 0
	v_add3_u32 v23, v23, v34, v3
	v_mul_lo_u32 v3, v21, s12
	v_mul_lo_u32 v34, v20, s13
	v_mad_u64_u32 v[20:21], s[0:1], v20, s12, 0
	v_add3_u32 v21, v21, v34, v3
	v_lshlrev_b64 v[20:21], 1, v[20:21]
	v_mov_b32_e32 v3, s3
	v_add_co_u32_e32 v34, vcc, s2, v20
	v_addc_co_u32_e32 v3, vcc, v3, v21, vcc
	v_lshlrev_b64 v[20:21], 1, v[22:23]
	v_add_co_u32_e32 v20, vcc, v34, v20
	v_addc_co_u32_e32 v21, vcc, v3, v21, vcc
	global_load_ushort v34, v[20:21], off
	v_add_co_u32_e32 v12, vcc, 3, v12
	v_addc_co_u32_e32 v3, vcc, 0, v13, vcc
	v_mul_lo_u32 v36, s9, v12
	v_mul_lo_u32 v37, s8, v3
	v_mad_u64_u32 v[20:21], s[0:1], s8, v12, v[0:1]
	v_add3_u32 v21, v36, v21, v37
	v_or_b32_e32 v3, s35, v21
	v_cmp_ne_u64_e32 vcc, 0, v[2:3]
	v_ashrrev_i32_e32 v39, 31, v21
                                        ; implicit-def: $vgpr22_vgpr23
	s_and_saveexec_b64 s[0:1], vcc
	s_xor_b64 s[68:69], exec, s[0:1]
	s_cbranch_execz .LBB11_21
; %bb.20:                               ;   in Loop: Header=BB11_3 Depth=1
	s_ashr_i32 s70, s35, 31
	s_add_u32 s0, s34, s70
	s_mov_b32 s71, s70
	s_addc_u32 s1, s35, s70
	s_xor_b64 s[72:73], s[0:1], s[70:71]
	v_cvt_f32_u32_e32 v3, s72
	v_cvt_f32_u32_e32 v13, s73
	s_sub_u32 s0, 0, s72
	s_subb_u32 s1, 0, s73
	v_mac_f32_e32 v3, 0x4f800000, v13
	v_rcp_f32_e32 v3, v3
	v_mul_f32_e32 v3, 0x5f7ffffc, v3
	v_mul_f32_e32 v13, 0x2f800000, v3
	v_trunc_f32_e32 v13, v13
	v_mac_f32_e32 v3, 0xcf800000, v13
	v_cvt_u32_f32_e32 v13, v13
	v_cvt_u32_f32_e32 v3, v3
	v_mul_lo_u32 v22, s0, v13
	v_mul_hi_u32 v35, s0, v3
	v_mul_lo_u32 v23, s1, v3
	v_add_u32_e32 v22, v35, v22
	v_mul_lo_u32 v40, s0, v3
	v_add_u32_e32 v22, v22, v23
	v_mul_lo_u32 v35, v3, v22
	v_mul_hi_u32 v41, v3, v40
	v_mul_hi_u32 v23, v3, v22
	v_add_co_u32_e32 v35, vcc, v41, v35
	v_addc_co_u32_e32 v23, vcc, 0, v23, vcc
	v_mul_hi_u32 v42, v13, v40
	v_mul_lo_u32 v40, v13, v40
	v_add_co_u32_e32 v35, vcc, v35, v40
	v_mul_hi_u32 v41, v13, v22
	v_addc_co_u32_e32 v23, vcc, v23, v42, vcc
	v_addc_co_u32_e32 v35, vcc, 0, v41, vcc
	v_mul_lo_u32 v22, v13, v22
	v_add_co_u32_e32 v22, vcc, v23, v22
	v_addc_co_u32_e32 v23, vcc, 0, v35, vcc
	v_add_co_u32_e32 v3, vcc, v3, v22
	v_addc_co_u32_e32 v13, vcc, v13, v23, vcc
	v_mul_lo_u32 v22, s0, v13
	v_mul_hi_u32 v23, s0, v3
	v_add_u32_e32 v22, v23, v22
	v_mul_lo_u32 v23, s1, v3
	v_add_u32_e32 v22, v22, v23
	v_mul_lo_u32 v35, s0, v3
	v_mul_hi_u32 v40, v13, v35
	v_mul_lo_u32 v41, v13, v35
	v_mul_lo_u32 v43, v3, v22
	v_mul_hi_u32 v35, v3, v35
	v_mul_hi_u32 v42, v3, v22
	v_add_co_u32_e32 v35, vcc, v35, v43
	v_addc_co_u32_e32 v42, vcc, 0, v42, vcc
	v_add_co_u32_e32 v35, vcc, v35, v41
	v_mul_hi_u32 v23, v13, v22
	v_addc_co_u32_e32 v35, vcc, v42, v40, vcc
	v_addc_co_u32_e32 v23, vcc, 0, v23, vcc
	v_mul_lo_u32 v22, v13, v22
	v_add_co_u32_e32 v22, vcc, v35, v22
	v_addc_co_u32_e32 v23, vcc, 0, v23, vcc
	v_add_co_u32_e32 v3, vcc, v3, v22
	v_addc_co_u32_e32 v13, vcc, v13, v23, vcc
	;; [unrolled: 2-line block ×3, first 2 shown]
	v_xor_b32_e32 v42, v22, v39
	v_xor_b32_e32 v35, v23, v39
	v_mad_u64_u32 v[22:23], s[0:1], v42, v13, 0
	v_mul_hi_u32 v40, v42, v3
	v_add_co_u32_e32 v43, vcc, v40, v22
	v_addc_co_u32_e32 v44, vcc, 0, v23, vcc
	v_mad_u64_u32 v[40:41], s[0:1], v35, v3, 0
	v_add_co_u32_e32 v3, vcc, v43, v40
	v_mad_u64_u32 v[22:23], s[0:1], v35, v13, 0
	v_addc_co_u32_e32 v3, vcc, v44, v41, vcc
	v_addc_co_u32_e32 v13, vcc, 0, v23, vcc
	v_add_co_u32_e32 v3, vcc, v3, v22
	v_addc_co_u32_e32 v13, vcc, 0, v13, vcc
	v_mul_lo_u32 v40, s73, v3
	v_mul_lo_u32 v41, s72, v13
	v_mad_u64_u32 v[22:23], s[0:1], s72, v3, 0
	v_add3_u32 v23, v23, v41, v40
	v_sub_u32_e32 v40, v35, v23
	v_mov_b32_e32 v41, s73
	v_sub_co_u32_e32 v22, vcc, v42, v22
	v_subb_co_u32_e64 v40, s[0:1], v40, v41, vcc
	v_subrev_co_u32_e64 v41, s[0:1], s72, v22
	v_subbrev_co_u32_e64 v40, s[0:1], 0, v40, s[0:1]
	v_cmp_le_u32_e64 s[0:1], s73, v40
	v_cndmask_b32_e64 v42, 0, -1, s[0:1]
	v_cmp_le_u32_e64 s[0:1], s72, v41
	v_cndmask_b32_e64 v41, 0, -1, s[0:1]
	v_cmp_eq_u32_e64 s[0:1], s73, v40
	v_cndmask_b32_e64 v40, v42, v41, s[0:1]
	v_add_co_u32_e64 v41, s[0:1], 2, v3
	v_subb_co_u32_e32 v23, vcc, v35, v23, vcc
	v_addc_co_u32_e64 v42, s[0:1], 0, v13, s[0:1]
	v_cmp_le_u32_e32 vcc, s73, v23
	v_add_co_u32_e64 v43, s[0:1], 1, v3
	v_cndmask_b32_e64 v35, 0, -1, vcc
	v_cmp_le_u32_e32 vcc, s72, v22
	v_addc_co_u32_e64 v44, s[0:1], 0, v13, s[0:1]
	v_cndmask_b32_e64 v22, 0, -1, vcc
	v_cmp_eq_u32_e32 vcc, s73, v23
	v_cmp_ne_u32_e64 s[0:1], 0, v40
	v_cndmask_b32_e32 v22, v35, v22, vcc
	v_cmp_ne_u32_e32 vcc, 0, v22
	v_cndmask_b32_e64 v22, v43, v41, s[0:1]
	v_cndmask_b32_e64 v40, v44, v42, s[0:1]
	v_cndmask_b32_e32 v3, v3, v22, vcc
	v_xor_b32_e32 v23, s70, v39
	v_cndmask_b32_e32 v13, v13, v40, vcc
	v_xor_b32_e32 v3, v3, v23
	v_xor_b32_e32 v13, v13, v23
	v_sub_co_u32_e32 v22, vcc, v3, v23
	v_subb_co_u32_e32 v23, vcc, v13, v23, vcc
                                        ; implicit-def: $vgpr35
.LBB11_21:                              ;   in Loop: Header=BB11_3 Depth=1
	s_andn2_saveexec_b64 s[0:1], s[68:69]
	s_cbranch_execz .LBB11_23
; %bb.22:                               ;   in Loop: Header=BB11_3 Depth=1
	v_rcp_iflag_f32_e32 v3, v35
	s_sub_i32 s68, 0, s34
	v_mul_f32_e32 v3, 0x4f7ffffe, v3
	v_cvt_u32_f32_e32 v3, v3
	v_mul_lo_u32 v13, s68, v3
	v_mul_hi_u32 v13, v3, v13
	v_add_u32_e32 v3, v3, v13
	v_mul_hi_u32 v3, v20, v3
	v_mul_lo_u32 v13, v3, s34
	v_sub_u32_e32 v13, v20, v13
	v_add_u32_e32 v22, 1, v3
	v_subrev_u32_e32 v23, s34, v13
	v_cmp_le_u32_e32 vcc, s34, v13
	v_cndmask_b32_e32 v13, v13, v23, vcc
	v_cndmask_b32_e32 v3, v3, v22, vcc
	v_add_u32_e32 v22, 1, v3
	v_cmp_le_u32_e32 vcc, s34, v13
	v_cndmask_b32_e32 v22, v3, v22, vcc
	v_mov_b32_e32 v23, v2
.LBB11_23:                              ;   in Loop: Header=BB11_3 Depth=1
	s_or_b64 exec, exec, s[0:1]
	v_mad_u64_u32 v[12:13], s[0:1], s8, v12, 0
	v_add3_u32 v13, v13, v37, v36
	v_mul_lo_u32 v3, v23, s34
	v_mul_lo_u32 v35, v22, s35
	v_mad_u64_u32 v[36:37], s[0:1], v22, s34, 0
	v_add3_u32 v3, v37, v35, v3
	v_sub_co_u32_e32 v35, vcc, v12, v36
	v_subb_co_u32_e32 v3, vcc, v13, v3, vcc
	v_add_co_u32_e32 v35, vcc, v0, v35
	v_addc_co_u32_e32 v3, vcc, v1, v3, vcc
	v_mul_lo_u32 v3, v3, s14
	v_mul_lo_u32 v40, v35, s15
	v_mad_u64_u32 v[36:37], s[0:1], v35, s14, 0
	v_add3_u32 v37, v37, v40, v3
	v_mul_lo_u32 v3, v23, s12
	v_mul_lo_u32 v35, v22, s13
	v_mad_u64_u32 v[22:23], s[0:1], v22, s12, 0
	v_add3_u32 v23, v23, v35, v3
	v_lshlrev_b64 v[22:23], 1, v[22:23]
	v_mov_b32_e32 v3, s3
	v_add_co_u32_e32 v35, vcc, s2, v22
	v_addc_co_u32_e32 v3, vcc, v3, v23, vcc
	v_lshlrev_b64 v[22:23], 1, v[36:37]
	v_add_co_u32_e32 v22, vcc, v35, v22
	v_addc_co_u32_e32 v23, vcc, v3, v23, vcc
	global_load_ushort v35, v[22:23], off
	s_waitcnt lgkmcnt(0)
	v_or_b32_e32 v3, s65, v15
	v_cmp_ne_u64_e32 vcc, 0, v[2:3]
                                        ; implicit-def: $vgpr22_vgpr23
	s_and_saveexec_b64 s[0:1], vcc
	s_xor_b64 s[68:69], exec, s[0:1]
	s_cbranch_execz .LBB11_25
; %bb.24:                               ;   in Loop: Header=BB11_3 Depth=1
	s_ashr_i32 s70, s65, 31
	s_add_u32 s0, s64, s70
	s_mov_b32 s71, s70
	s_addc_u32 s1, s65, s70
	s_xor_b64 s[72:73], s[0:1], s[70:71]
	v_cvt_f32_u32_e32 v3, s72
	v_cvt_f32_u32_e32 v22, s73
	s_sub_u32 s0, 0, s72
	s_subb_u32 s1, 0, s73
	v_mac_f32_e32 v3, 0x4f800000, v22
	v_rcp_f32_e32 v3, v3
	v_mul_f32_e32 v3, 0x5f7ffffc, v3
	v_mul_f32_e32 v22, 0x2f800000, v3
	v_trunc_f32_e32 v22, v22
	v_mac_f32_e32 v3, 0xcf800000, v22
	v_cvt_u32_f32_e32 v22, v22
	v_cvt_u32_f32_e32 v3, v3
	v_mul_lo_u32 v23, s0, v22
	v_mul_hi_u32 v37, s0, v3
	v_mul_lo_u32 v36, s1, v3
	v_add_u32_e32 v23, v37, v23
	v_mul_lo_u32 v40, s0, v3
	v_add_u32_e32 v23, v23, v36
	v_mul_lo_u32 v37, v3, v23
	v_mul_hi_u32 v41, v3, v40
	v_mul_hi_u32 v36, v3, v23
	v_add_co_u32_e32 v37, vcc, v41, v37
	v_addc_co_u32_e32 v36, vcc, 0, v36, vcc
	v_mul_hi_u32 v42, v22, v40
	v_mul_lo_u32 v40, v22, v40
	v_add_co_u32_e32 v37, vcc, v37, v40
	v_mul_hi_u32 v41, v22, v23
	v_addc_co_u32_e32 v36, vcc, v36, v42, vcc
	v_addc_co_u32_e32 v37, vcc, 0, v41, vcc
	v_mul_lo_u32 v23, v22, v23
	v_add_co_u32_e32 v23, vcc, v36, v23
	v_addc_co_u32_e32 v36, vcc, 0, v37, vcc
	v_add_co_u32_e32 v3, vcc, v3, v23
	v_addc_co_u32_e32 v22, vcc, v22, v36, vcc
	v_mul_lo_u32 v23, s0, v22
	v_mul_hi_u32 v36, s0, v3
	v_add_u32_e32 v23, v36, v23
	v_mul_lo_u32 v36, s1, v3
	v_add_u32_e32 v23, v23, v36
	v_mul_lo_u32 v37, s0, v3
	v_mul_hi_u32 v40, v22, v37
	v_mul_lo_u32 v41, v22, v37
	v_mul_lo_u32 v43, v3, v23
	v_mul_hi_u32 v37, v3, v37
	v_mul_hi_u32 v42, v3, v23
	v_add_co_u32_e32 v37, vcc, v37, v43
	v_addc_co_u32_e32 v42, vcc, 0, v42, vcc
	v_add_co_u32_e32 v37, vcc, v37, v41
	v_mul_hi_u32 v36, v22, v23
	v_addc_co_u32_e32 v37, vcc, v42, v40, vcc
	v_addc_co_u32_e32 v36, vcc, 0, v36, vcc
	v_mul_lo_u32 v23, v22, v23
	v_add_co_u32_e32 v23, vcc, v37, v23
	v_addc_co_u32_e32 v36, vcc, 0, v36, vcc
	v_add_co_u32_e32 v3, vcc, v3, v23
	v_addc_co_u32_e32 v36, vcc, v22, v36, vcc
	;; [unrolled: 2-line block ×3, first 2 shown]
	v_xor_b32_e32 v41, v22, v24
	v_xor_b32_e32 v40, v23, v24
	v_mad_u64_u32 v[22:23], s[0:1], v41, v36, 0
	v_mul_hi_u32 v37, v41, v3
	v_add_co_u32_e32 v42, vcc, v37, v22
	v_addc_co_u32_e32 v43, vcc, 0, v23, vcc
	v_mad_u64_u32 v[22:23], s[0:1], v40, v36, 0
	v_mad_u64_u32 v[36:37], s[0:1], v40, v3, 0
	v_add_co_u32_e32 v3, vcc, v42, v36
	v_addc_co_u32_e32 v3, vcc, v43, v37, vcc
	v_addc_co_u32_e32 v23, vcc, 0, v23, vcc
	v_add_co_u32_e32 v3, vcc, v3, v22
	v_addc_co_u32_e32 v36, vcc, 0, v23, vcc
	v_mul_lo_u32 v37, s73, v3
	v_mul_lo_u32 v42, s72, v36
	v_mad_u64_u32 v[22:23], s[0:1], s72, v3, 0
	v_add3_u32 v23, v23, v42, v37
	v_sub_u32_e32 v37, v40, v23
	v_mov_b32_e32 v42, s73
	v_sub_co_u32_e32 v22, vcc, v41, v22
	v_subb_co_u32_e64 v37, s[0:1], v37, v42, vcc
	v_subrev_co_u32_e64 v41, s[0:1], s72, v22
	v_subbrev_co_u32_e64 v37, s[0:1], 0, v37, s[0:1]
	v_cmp_le_u32_e64 s[0:1], s73, v37
	v_cndmask_b32_e64 v42, 0, -1, s[0:1]
	v_cmp_le_u32_e64 s[0:1], s72, v41
	v_cndmask_b32_e64 v41, 0, -1, s[0:1]
	v_cmp_eq_u32_e64 s[0:1], s73, v37
	v_cndmask_b32_e64 v37, v42, v41, s[0:1]
	v_add_co_u32_e64 v41, s[0:1], 2, v3
	v_subb_co_u32_e32 v23, vcc, v40, v23, vcc
	v_addc_co_u32_e64 v42, s[0:1], 0, v36, s[0:1]
	v_cmp_le_u32_e32 vcc, s73, v23
	v_add_co_u32_e64 v43, s[0:1], 1, v3
	v_cndmask_b32_e64 v40, 0, -1, vcc
	v_cmp_le_u32_e32 vcc, s72, v22
	v_addc_co_u32_e64 v44, s[0:1], 0, v36, s[0:1]
	v_cndmask_b32_e64 v22, 0, -1, vcc
	v_cmp_eq_u32_e32 vcc, s73, v23
	v_cmp_ne_u32_e64 s[0:1], 0, v37
	v_cndmask_b32_e32 v22, v40, v22, vcc
	v_cmp_ne_u32_e32 vcc, 0, v22
	v_cndmask_b32_e64 v23, v43, v41, s[0:1]
	v_cndmask_b32_e64 v37, v44, v42, s[0:1]
	v_cndmask_b32_e32 v3, v3, v23, vcc
	v_xor_b32_e32 v23, s70, v24
	v_cndmask_b32_e32 v22, v36, v37, vcc
	v_xor_b32_e32 v3, v3, v23
	v_xor_b32_e32 v36, v22, v23
	v_sub_co_u32_e32 v22, vcc, v3, v23
	v_subb_co_u32_e32 v23, vcc, v36, v23, vcc
.LBB11_25:                              ;   in Loop: Header=BB11_3 Depth=1
	s_or_saveexec_b64 s[0:1], s[68:69]
	v_cvt_f32_u32_e32 v41, s64
	s_xor_b64 exec, exec, s[0:1]
	s_cbranch_execz .LBB11_27
; %bb.26:                               ;   in Loop: Header=BB11_3 Depth=1
	v_rcp_iflag_f32_e32 v3, v41
	s_sub_i32 s68, 0, s64
	v_mul_f32_e32 v3, 0x4f7ffffe, v3
	v_cvt_u32_f32_e32 v3, v3
	v_mul_lo_u32 v22, s68, v3
	v_mul_hi_u32 v22, v3, v22
	v_add_u32_e32 v3, v3, v22
	v_mul_hi_u32 v3, v14, v3
	v_mul_lo_u32 v22, v3, s64
	v_sub_u32_e32 v22, v14, v22
	v_add_u32_e32 v23, 1, v3
	v_subrev_u32_e32 v36, s64, v22
	v_cmp_le_u32_e32 vcc, s64, v22
	v_cndmask_b32_e32 v22, v22, v36, vcc
	v_cndmask_b32_e32 v3, v3, v23, vcc
	v_add_u32_e32 v23, 1, v3
	v_cmp_le_u32_e32 vcc, s64, v22
	v_cndmask_b32_e32 v22, v3, v23, vcc
	v_mov_b32_e32 v23, v2
.LBB11_27:                              ;   in Loop: Header=BB11_3 Depth=1
	s_or_b64 exec, exec, s[0:1]
	v_mul_lo_u32 v3, v23, s64
	v_mul_lo_u32 v40, v22, s65
	v_mad_u64_u32 v[36:37], s[0:1], v22, s64, 0
	v_add3_u32 v3, v37, v40, v3
	v_sub_co_u32_e32 v36, vcc, v4, v36
	v_subb_co_u32_e32 v3, vcc, v5, v3, vcc
	v_add_co_u32_e32 v36, vcc, v0, v36
	v_addc_co_u32_e32 v3, vcc, v1, v3, vcc
	v_mul_lo_u32 v3, v3, s30
	v_mul_lo_u32 v40, v36, s31
	v_mad_u64_u32 v[36:37], s[0:1], v36, s30, 0
	v_add3_u32 v37, v37, v40, v3
	v_mul_lo_u32 v3, v23, s28
	v_mul_lo_u32 v40, v22, s29
	v_mad_u64_u32 v[22:23], s[0:1], v22, s28, 0
	v_add3_u32 v23, v23, v40, v3
	v_lshlrev_b64 v[22:23], 1, v[22:23]
	v_mov_b32_e32 v3, s37
	v_add_co_u32_e32 v40, vcc, s36, v22
	v_addc_co_u32_e32 v3, vcc, v3, v23, vcc
	v_lshlrev_b64 v[22:23], 1, v[36:37]
	v_add_co_u32_e32 v22, vcc, v40, v22
	v_addc_co_u32_e32 v23, vcc, v3, v23, vcc
	global_load_ushort v36, v[22:23], off
	v_or_b32_e32 v3, s65, v17
	v_cmp_ne_u64_e32 vcc, 0, v[2:3]
                                        ; implicit-def: $vgpr22_vgpr23
	s_and_saveexec_b64 s[0:1], vcc
	s_xor_b64 s[68:69], exec, s[0:1]
	s_cbranch_execz .LBB11_29
; %bb.28:                               ;   in Loop: Header=BB11_3 Depth=1
	s_ashr_i32 s70, s65, 31
	s_add_u32 s0, s64, s70
	s_mov_b32 s71, s70
	s_addc_u32 s1, s65, s70
	s_xor_b64 s[72:73], s[0:1], s[70:71]
	v_cvt_f32_u32_e32 v3, s72
	v_cvt_f32_u32_e32 v22, s73
	s_sub_u32 s0, 0, s72
	s_subb_u32 s1, 0, s73
	v_mac_f32_e32 v3, 0x4f800000, v22
	v_rcp_f32_e32 v3, v3
	v_mul_f32_e32 v3, 0x5f7ffffc, v3
	v_mul_f32_e32 v22, 0x2f800000, v3
	v_trunc_f32_e32 v22, v22
	v_mac_f32_e32 v3, 0xcf800000, v22
	v_cvt_u32_f32_e32 v22, v22
	v_cvt_u32_f32_e32 v3, v3
	v_mul_lo_u32 v23, s0, v22
	v_mul_hi_u32 v40, s0, v3
	v_mul_lo_u32 v37, s1, v3
	v_add_u32_e32 v23, v40, v23
	v_mul_lo_u32 v42, s0, v3
	v_add_u32_e32 v23, v23, v37
	v_mul_lo_u32 v40, v3, v23
	v_mul_hi_u32 v43, v3, v42
	v_mul_hi_u32 v37, v3, v23
	v_add_co_u32_e32 v40, vcc, v43, v40
	v_addc_co_u32_e32 v37, vcc, 0, v37, vcc
	v_mul_hi_u32 v44, v22, v42
	v_mul_lo_u32 v42, v22, v42
	v_add_co_u32_e32 v40, vcc, v40, v42
	v_mul_hi_u32 v43, v22, v23
	v_addc_co_u32_e32 v37, vcc, v37, v44, vcc
	v_addc_co_u32_e32 v40, vcc, 0, v43, vcc
	v_mul_lo_u32 v23, v22, v23
	v_add_co_u32_e32 v23, vcc, v37, v23
	v_addc_co_u32_e32 v37, vcc, 0, v40, vcc
	v_add_co_u32_e32 v3, vcc, v3, v23
	v_addc_co_u32_e32 v22, vcc, v22, v37, vcc
	v_mul_lo_u32 v23, s0, v22
	v_mul_hi_u32 v37, s0, v3
	v_add_u32_e32 v23, v37, v23
	v_mul_lo_u32 v37, s1, v3
	v_add_u32_e32 v23, v23, v37
	v_mul_lo_u32 v40, s0, v3
	v_mul_hi_u32 v42, v22, v40
	v_mul_lo_u32 v43, v22, v40
	v_mul_lo_u32 v45, v3, v23
	v_mul_hi_u32 v40, v3, v40
	v_mul_hi_u32 v44, v3, v23
	v_add_co_u32_e32 v40, vcc, v40, v45
	v_addc_co_u32_e32 v44, vcc, 0, v44, vcc
	v_add_co_u32_e32 v40, vcc, v40, v43
	v_mul_hi_u32 v37, v22, v23
	v_addc_co_u32_e32 v40, vcc, v44, v42, vcc
	v_addc_co_u32_e32 v37, vcc, 0, v37, vcc
	v_mul_lo_u32 v23, v22, v23
	v_add_co_u32_e32 v23, vcc, v40, v23
	v_addc_co_u32_e32 v37, vcc, 0, v37, vcc
	v_add_co_u32_e32 v3, vcc, v3, v23
	v_addc_co_u32_e32 v37, vcc, v22, v37, vcc
	;; [unrolled: 2-line block ×3, first 2 shown]
	v_xor_b32_e32 v44, v22, v25
	v_xor_b32_e32 v40, v23, v25
	v_mad_u64_u32 v[22:23], s[0:1], v44, v37, 0
	v_mul_hi_u32 v42, v44, v3
	v_add_co_u32_e32 v45, vcc, v42, v22
	v_addc_co_u32_e32 v46, vcc, 0, v23, vcc
	v_mad_u64_u32 v[42:43], s[0:1], v40, v3, 0
	v_add_co_u32_e32 v3, vcc, v45, v42
	v_mad_u64_u32 v[22:23], s[0:1], v40, v37, 0
	v_addc_co_u32_e32 v3, vcc, v46, v43, vcc
	v_addc_co_u32_e32 v23, vcc, 0, v23, vcc
	v_add_co_u32_e32 v3, vcc, v3, v22
	v_addc_co_u32_e32 v37, vcc, 0, v23, vcc
	v_mul_lo_u32 v42, s73, v3
	v_mul_lo_u32 v43, s72, v37
	v_mad_u64_u32 v[22:23], s[0:1], s72, v3, 0
	v_add3_u32 v23, v23, v43, v42
	v_sub_u32_e32 v42, v40, v23
	v_mov_b32_e32 v43, s73
	v_sub_co_u32_e32 v22, vcc, v44, v22
	v_subb_co_u32_e64 v42, s[0:1], v42, v43, vcc
	v_subrev_co_u32_e64 v43, s[0:1], s72, v22
	v_subbrev_co_u32_e64 v42, s[0:1], 0, v42, s[0:1]
	v_cmp_le_u32_e64 s[0:1], s73, v42
	v_cndmask_b32_e64 v44, 0, -1, s[0:1]
	v_cmp_le_u32_e64 s[0:1], s72, v43
	v_cndmask_b32_e64 v43, 0, -1, s[0:1]
	v_cmp_eq_u32_e64 s[0:1], s73, v42
	v_cndmask_b32_e64 v42, v44, v43, s[0:1]
	v_add_co_u32_e64 v43, s[0:1], 2, v3
	v_subb_co_u32_e32 v23, vcc, v40, v23, vcc
	v_addc_co_u32_e64 v44, s[0:1], 0, v37, s[0:1]
	v_cmp_le_u32_e32 vcc, s73, v23
	v_add_co_u32_e64 v45, s[0:1], 1, v3
	v_cndmask_b32_e64 v40, 0, -1, vcc
	v_cmp_le_u32_e32 vcc, s72, v22
	v_addc_co_u32_e64 v46, s[0:1], 0, v37, s[0:1]
	v_cndmask_b32_e64 v22, 0, -1, vcc
	v_cmp_eq_u32_e32 vcc, s73, v23
	v_cmp_ne_u32_e64 s[0:1], 0, v42
	v_cndmask_b32_e32 v22, v40, v22, vcc
	v_cmp_ne_u32_e32 vcc, 0, v22
	v_cndmask_b32_e64 v23, v45, v43, s[0:1]
	v_cndmask_b32_e64 v42, v46, v44, s[0:1]
	v_cndmask_b32_e32 v3, v3, v23, vcc
	v_xor_b32_e32 v23, s70, v25
	v_cndmask_b32_e32 v22, v37, v42, vcc
	v_xor_b32_e32 v3, v3, v23
	v_xor_b32_e32 v37, v22, v23
	v_sub_co_u32_e32 v22, vcc, v3, v23
	v_subb_co_u32_e32 v23, vcc, v37, v23, vcc
.LBB11_29:                              ;   in Loop: Header=BB11_3 Depth=1
	s_andn2_saveexec_b64 s[0:1], s[68:69]
	s_cbranch_execz .LBB11_31
; %bb.30:                               ;   in Loop: Header=BB11_3 Depth=1
	v_rcp_iflag_f32_e32 v3, v41
	s_sub_i32 s68, 0, s64
	v_mul_f32_e32 v3, 0x4f7ffffe, v3
	v_cvt_u32_f32_e32 v3, v3
	v_mul_lo_u32 v22, s68, v3
	v_mul_hi_u32 v22, v3, v22
	v_add_u32_e32 v3, v3, v22
	v_mul_hi_u32 v3, v16, v3
	v_mul_lo_u32 v22, v3, s64
	v_sub_u32_e32 v22, v16, v22
	v_add_u32_e32 v23, 1, v3
	v_subrev_u32_e32 v37, s64, v22
	v_cmp_le_u32_e32 vcc, s64, v22
	v_cndmask_b32_e32 v22, v22, v37, vcc
	v_cndmask_b32_e32 v3, v3, v23, vcc
	v_add_u32_e32 v23, 1, v3
	v_cmp_le_u32_e32 vcc, s64, v22
	v_cndmask_b32_e32 v22, v3, v23, vcc
	v_mov_b32_e32 v23, v2
.LBB11_31:                              ;   in Loop: Header=BB11_3 Depth=1
	s_or_b64 exec, exec, s[0:1]
	v_mul_lo_u32 v3, v23, s64
	v_mul_lo_u32 v37, v22, s65
	v_mad_u64_u32 v[42:43], s[0:1], v22, s64, 0
	v_add3_u32 v3, v43, v37, v3
	v_sub_co_u32_e32 v37, vcc, v8, v42
	v_subb_co_u32_e32 v3, vcc, v9, v3, vcc
	v_add_co_u32_e32 v37, vcc, v0, v37
	v_addc_co_u32_e32 v3, vcc, v1, v3, vcc
	v_mul_lo_u32 v3, v3, s30
	v_mul_lo_u32 v40, v37, s31
	v_mad_u64_u32 v[42:43], s[0:1], v37, s30, 0
	v_add3_u32 v43, v43, v40, v3
	v_mul_lo_u32 v3, v23, s28
	v_mul_lo_u32 v37, v22, s29
	v_mad_u64_u32 v[22:23], s[0:1], v22, s28, 0
	v_add3_u32 v23, v23, v37, v3
	v_lshlrev_b64 v[22:23], 1, v[22:23]
	v_mov_b32_e32 v3, s37
	v_add_co_u32_e32 v37, vcc, s36, v22
	v_addc_co_u32_e32 v3, vcc, v3, v23, vcc
	v_lshlrev_b64 v[22:23], 1, v[42:43]
	v_add_co_u32_e32 v22, vcc, v37, v22
	v_addc_co_u32_e32 v23, vcc, v3, v23, vcc
	global_load_ushort v37, v[22:23], off
	v_or_b32_e32 v3, s65, v19
	v_cmp_ne_u64_e32 vcc, 0, v[2:3]
                                        ; implicit-def: $vgpr22_vgpr23
	s_and_saveexec_b64 s[0:1], vcc
	s_xor_b64 s[68:69], exec, s[0:1]
	s_cbranch_execz .LBB11_33
; %bb.32:                               ;   in Loop: Header=BB11_3 Depth=1
	s_ashr_i32 s70, s65, 31
	s_add_u32 s0, s64, s70
	s_mov_b32 s71, s70
	s_addc_u32 s1, s65, s70
	s_xor_b64 s[72:73], s[0:1], s[70:71]
	v_cvt_f32_u32_e32 v3, s72
	v_cvt_f32_u32_e32 v22, s73
	s_sub_u32 s0, 0, s72
	s_subb_u32 s1, 0, s73
	v_mac_f32_e32 v3, 0x4f800000, v22
	v_rcp_f32_e32 v3, v3
	v_mul_f32_e32 v3, 0x5f7ffffc, v3
	v_mul_f32_e32 v22, 0x2f800000, v3
	v_trunc_f32_e32 v22, v22
	v_mac_f32_e32 v3, 0xcf800000, v22
	v_cvt_u32_f32_e32 v22, v22
	v_cvt_u32_f32_e32 v3, v3
	v_mul_lo_u32 v23, s0, v22
	v_mul_hi_u32 v42, s0, v3
	v_mul_lo_u32 v40, s1, v3
	v_add_u32_e32 v23, v42, v23
	v_mul_lo_u32 v43, s0, v3
	v_add_u32_e32 v23, v23, v40
	v_mul_lo_u32 v42, v3, v23
	v_mul_hi_u32 v44, v3, v43
	v_mul_hi_u32 v40, v3, v23
	v_add_co_u32_e32 v42, vcc, v44, v42
	v_addc_co_u32_e32 v40, vcc, 0, v40, vcc
	v_mul_hi_u32 v45, v22, v43
	v_mul_lo_u32 v43, v22, v43
	v_add_co_u32_e32 v42, vcc, v42, v43
	v_mul_hi_u32 v44, v22, v23
	v_addc_co_u32_e32 v40, vcc, v40, v45, vcc
	v_addc_co_u32_e32 v42, vcc, 0, v44, vcc
	v_mul_lo_u32 v23, v22, v23
	v_add_co_u32_e32 v23, vcc, v40, v23
	v_addc_co_u32_e32 v40, vcc, 0, v42, vcc
	v_add_co_u32_e32 v3, vcc, v3, v23
	v_addc_co_u32_e32 v22, vcc, v22, v40, vcc
	v_mul_lo_u32 v23, s0, v22
	v_mul_hi_u32 v40, s0, v3
	v_add_u32_e32 v23, v40, v23
	v_mul_lo_u32 v40, s1, v3
	v_add_u32_e32 v23, v23, v40
	v_mul_lo_u32 v42, s0, v3
	v_mul_hi_u32 v43, v22, v42
	v_mul_lo_u32 v44, v22, v42
	v_mul_lo_u32 v46, v3, v23
	v_mul_hi_u32 v42, v3, v42
	v_mul_hi_u32 v45, v3, v23
	v_add_co_u32_e32 v42, vcc, v42, v46
	v_addc_co_u32_e32 v45, vcc, 0, v45, vcc
	v_add_co_u32_e32 v42, vcc, v42, v44
	v_mul_hi_u32 v40, v22, v23
	v_addc_co_u32_e32 v42, vcc, v45, v43, vcc
	v_addc_co_u32_e32 v40, vcc, 0, v40, vcc
	v_mul_lo_u32 v23, v22, v23
	v_add_co_u32_e32 v23, vcc, v42, v23
	v_addc_co_u32_e32 v40, vcc, 0, v40, vcc
	v_add_co_u32_e32 v3, vcc, v3, v23
	v_addc_co_u32_e32 v40, vcc, v22, v40, vcc
	;; [unrolled: 2-line block ×3, first 2 shown]
	v_xor_b32_e32 v45, v22, v38
	v_xor_b32_e32 v44, v23, v38
	v_mad_u64_u32 v[22:23], s[0:1], v45, v40, 0
	v_mul_hi_u32 v42, v45, v3
	v_add_co_u32_e32 v46, vcc, v42, v22
	v_addc_co_u32_e32 v47, vcc, 0, v23, vcc
	v_mad_u64_u32 v[42:43], s[0:1], v44, v3, 0
	v_add_co_u32_e32 v3, vcc, v46, v42
	v_mad_u64_u32 v[22:23], s[0:1], v44, v40, 0
	v_addc_co_u32_e32 v3, vcc, v47, v43, vcc
	v_addc_co_u32_e32 v23, vcc, 0, v23, vcc
	v_add_co_u32_e32 v3, vcc, v3, v22
	v_addc_co_u32_e32 v40, vcc, 0, v23, vcc
	v_mul_lo_u32 v42, s73, v3
	v_mul_lo_u32 v43, s72, v40
	v_mad_u64_u32 v[22:23], s[0:1], s72, v3, 0
	v_add3_u32 v23, v23, v43, v42
	v_sub_u32_e32 v42, v44, v23
	v_mov_b32_e32 v43, s73
	v_sub_co_u32_e32 v22, vcc, v45, v22
	v_subb_co_u32_e64 v42, s[0:1], v42, v43, vcc
	v_subrev_co_u32_e64 v43, s[0:1], s72, v22
	v_subbrev_co_u32_e64 v42, s[0:1], 0, v42, s[0:1]
	v_cmp_le_u32_e64 s[0:1], s73, v42
	v_cndmask_b32_e64 v45, 0, -1, s[0:1]
	v_cmp_le_u32_e64 s[0:1], s72, v43
	v_cndmask_b32_e64 v43, 0, -1, s[0:1]
	v_cmp_eq_u32_e64 s[0:1], s73, v42
	v_cndmask_b32_e64 v42, v45, v43, s[0:1]
	v_add_co_u32_e64 v43, s[0:1], 2, v3
	v_subb_co_u32_e32 v23, vcc, v44, v23, vcc
	v_addc_co_u32_e64 v45, s[0:1], 0, v40, s[0:1]
	v_cmp_le_u32_e32 vcc, s73, v23
	v_add_co_u32_e64 v46, s[0:1], 1, v3
	v_cndmask_b32_e64 v44, 0, -1, vcc
	v_cmp_le_u32_e32 vcc, s72, v22
	v_addc_co_u32_e64 v47, s[0:1], 0, v40, s[0:1]
	v_cndmask_b32_e64 v22, 0, -1, vcc
	v_cmp_eq_u32_e32 vcc, s73, v23
	v_cmp_ne_u32_e64 s[0:1], 0, v42
	v_cndmask_b32_e32 v22, v44, v22, vcc
	v_cmp_ne_u32_e32 vcc, 0, v22
	v_cndmask_b32_e64 v23, v46, v43, s[0:1]
	v_cndmask_b32_e64 v42, v47, v45, s[0:1]
	v_cndmask_b32_e32 v3, v3, v23, vcc
	v_xor_b32_e32 v23, s70, v38
	v_cndmask_b32_e32 v22, v40, v42, vcc
	v_xor_b32_e32 v3, v3, v23
	v_xor_b32_e32 v40, v22, v23
	v_sub_co_u32_e32 v22, vcc, v3, v23
	v_subb_co_u32_e32 v23, vcc, v40, v23, vcc
.LBB11_33:                              ;   in Loop: Header=BB11_3 Depth=1
	s_andn2_saveexec_b64 s[0:1], s[68:69]
	s_cbranch_execz .LBB11_35
; %bb.34:                               ;   in Loop: Header=BB11_3 Depth=1
	v_rcp_iflag_f32_e32 v3, v41
	s_sub_i32 s68, 0, s64
	v_mul_f32_e32 v3, 0x4f7ffffe, v3
	v_cvt_u32_f32_e32 v3, v3
	v_mul_lo_u32 v22, s68, v3
	v_mul_hi_u32 v22, v3, v22
	v_add_u32_e32 v3, v3, v22
	v_mul_hi_u32 v3, v18, v3
	v_mul_lo_u32 v22, v3, s64
	v_sub_u32_e32 v22, v18, v22
	v_add_u32_e32 v23, 1, v3
	v_subrev_u32_e32 v40, s64, v22
	v_cmp_le_u32_e32 vcc, s64, v22
	v_cndmask_b32_e32 v22, v22, v40, vcc
	v_cndmask_b32_e32 v3, v3, v23, vcc
	v_add_u32_e32 v23, 1, v3
	v_cmp_le_u32_e32 vcc, s64, v22
	v_cndmask_b32_e32 v22, v3, v23, vcc
	v_mov_b32_e32 v23, v2
.LBB11_35:                              ;   in Loop: Header=BB11_3 Depth=1
	s_or_b64 exec, exec, s[0:1]
	v_mul_lo_u32 v3, v23, s64
	v_mul_lo_u32 v40, v22, s65
	v_mad_u64_u32 v[42:43], s[0:1], v22, s64, 0
	v_add3_u32 v3, v43, v40, v3
	v_sub_co_u32_e32 v40, vcc, v10, v42
	v_subb_co_u32_e32 v3, vcc, v11, v3, vcc
	v_add_co_u32_e32 v40, vcc, v0, v40
	v_addc_co_u32_e32 v3, vcc, v1, v3, vcc
	v_mul_lo_u32 v3, v3, s30
	v_mul_lo_u32 v44, v40, s31
	v_mad_u64_u32 v[42:43], s[0:1], v40, s30, 0
	v_add3_u32 v43, v43, v44, v3
	v_mul_lo_u32 v3, v23, s28
	v_mul_lo_u32 v40, v22, s29
	v_mad_u64_u32 v[22:23], s[0:1], v22, s28, 0
	v_add3_u32 v23, v23, v40, v3
	v_lshlrev_b64 v[22:23], 1, v[22:23]
	v_mov_b32_e32 v3, s37
	v_add_co_u32_e32 v40, vcc, s36, v22
	v_addc_co_u32_e32 v3, vcc, v3, v23, vcc
	v_lshlrev_b64 v[22:23], 1, v[42:43]
	v_add_co_u32_e32 v22, vcc, v40, v22
	v_addc_co_u32_e32 v23, vcc, v3, v23, vcc
	global_load_ushort v40, v[22:23], off
	v_or_b32_e32 v3, s65, v21
	v_cmp_ne_u64_e32 vcc, 0, v[2:3]
                                        ; implicit-def: $vgpr22_vgpr23
	s_and_saveexec_b64 s[0:1], vcc
	s_xor_b64 s[68:69], exec, s[0:1]
	s_cbranch_execz .LBB11_37
; %bb.36:                               ;   in Loop: Header=BB11_3 Depth=1
	s_ashr_i32 s70, s65, 31
	s_add_u32 s0, s64, s70
	s_mov_b32 s71, s70
	s_addc_u32 s1, s65, s70
	s_xor_b64 s[72:73], s[0:1], s[70:71]
	v_cvt_f32_u32_e32 v3, s72
	v_cvt_f32_u32_e32 v22, s73
	s_sub_u32 s0, 0, s72
	s_subb_u32 s1, 0, s73
	v_mac_f32_e32 v3, 0x4f800000, v22
	v_rcp_f32_e32 v3, v3
	v_mul_f32_e32 v3, 0x5f7ffffc, v3
	v_mul_f32_e32 v22, 0x2f800000, v3
	v_trunc_f32_e32 v22, v22
	v_mac_f32_e32 v3, 0xcf800000, v22
	v_cvt_u32_f32_e32 v22, v22
	v_cvt_u32_f32_e32 v3, v3
	v_mul_lo_u32 v23, s0, v22
	v_mul_hi_u32 v42, s0, v3
	v_mul_lo_u32 v41, s1, v3
	v_add_u32_e32 v23, v42, v23
	v_mul_lo_u32 v43, s0, v3
	v_add_u32_e32 v23, v23, v41
	v_mul_lo_u32 v42, v3, v23
	v_mul_hi_u32 v44, v3, v43
	v_mul_hi_u32 v41, v3, v23
	v_add_co_u32_e32 v42, vcc, v44, v42
	v_addc_co_u32_e32 v41, vcc, 0, v41, vcc
	v_mul_hi_u32 v45, v22, v43
	v_mul_lo_u32 v43, v22, v43
	v_add_co_u32_e32 v42, vcc, v42, v43
	v_mul_hi_u32 v44, v22, v23
	v_addc_co_u32_e32 v41, vcc, v41, v45, vcc
	v_addc_co_u32_e32 v42, vcc, 0, v44, vcc
	v_mul_lo_u32 v23, v22, v23
	v_add_co_u32_e32 v23, vcc, v41, v23
	v_addc_co_u32_e32 v41, vcc, 0, v42, vcc
	v_add_co_u32_e32 v3, vcc, v3, v23
	v_addc_co_u32_e32 v22, vcc, v22, v41, vcc
	v_mul_lo_u32 v23, s0, v22
	v_mul_hi_u32 v41, s0, v3
	v_add_u32_e32 v23, v41, v23
	v_mul_lo_u32 v41, s1, v3
	v_add_u32_e32 v23, v23, v41
	v_mul_lo_u32 v42, s0, v3
	v_mul_hi_u32 v43, v22, v42
	v_mul_lo_u32 v44, v22, v42
	v_mul_lo_u32 v46, v3, v23
	v_mul_hi_u32 v42, v3, v42
	v_mul_hi_u32 v45, v3, v23
	v_add_co_u32_e32 v42, vcc, v42, v46
	v_addc_co_u32_e32 v45, vcc, 0, v45, vcc
	v_add_co_u32_e32 v42, vcc, v42, v44
	v_mul_hi_u32 v41, v22, v23
	v_addc_co_u32_e32 v42, vcc, v45, v43, vcc
	v_addc_co_u32_e32 v41, vcc, 0, v41, vcc
	v_mul_lo_u32 v23, v22, v23
	v_add_co_u32_e32 v23, vcc, v42, v23
	v_addc_co_u32_e32 v41, vcc, 0, v41, vcc
	v_add_co_u32_e32 v3, vcc, v3, v23
	v_addc_co_u32_e32 v41, vcc, v22, v41, vcc
	;; [unrolled: 2-line block ×3, first 2 shown]
	v_xor_b32_e32 v45, v22, v39
	v_xor_b32_e32 v44, v23, v39
	v_mad_u64_u32 v[22:23], s[0:1], v45, v41, 0
	v_mul_hi_u32 v42, v45, v3
	v_add_co_u32_e32 v46, vcc, v42, v22
	v_addc_co_u32_e32 v47, vcc, 0, v23, vcc
	v_mad_u64_u32 v[42:43], s[0:1], v44, v3, 0
	v_add_co_u32_e32 v3, vcc, v46, v42
	v_mad_u64_u32 v[22:23], s[0:1], v44, v41, 0
	v_addc_co_u32_e32 v3, vcc, v47, v43, vcc
	v_addc_co_u32_e32 v23, vcc, 0, v23, vcc
	v_add_co_u32_e32 v3, vcc, v3, v22
	v_addc_co_u32_e32 v41, vcc, 0, v23, vcc
	v_mul_lo_u32 v42, s73, v3
	v_mul_lo_u32 v43, s72, v41
	v_mad_u64_u32 v[22:23], s[0:1], s72, v3, 0
	v_add3_u32 v23, v23, v43, v42
	v_sub_u32_e32 v42, v44, v23
	v_mov_b32_e32 v43, s73
	v_sub_co_u32_e32 v22, vcc, v45, v22
	v_subb_co_u32_e64 v42, s[0:1], v42, v43, vcc
	v_subrev_co_u32_e64 v43, s[0:1], s72, v22
	v_subbrev_co_u32_e64 v42, s[0:1], 0, v42, s[0:1]
	v_cmp_le_u32_e64 s[0:1], s73, v42
	v_cndmask_b32_e64 v45, 0, -1, s[0:1]
	v_cmp_le_u32_e64 s[0:1], s72, v43
	v_cndmask_b32_e64 v43, 0, -1, s[0:1]
	v_cmp_eq_u32_e64 s[0:1], s73, v42
	v_cndmask_b32_e64 v42, v45, v43, s[0:1]
	v_add_co_u32_e64 v43, s[0:1], 2, v3
	v_subb_co_u32_e32 v23, vcc, v44, v23, vcc
	v_addc_co_u32_e64 v45, s[0:1], 0, v41, s[0:1]
	v_cmp_le_u32_e32 vcc, s73, v23
	v_add_co_u32_e64 v46, s[0:1], 1, v3
	v_cndmask_b32_e64 v44, 0, -1, vcc
	v_cmp_le_u32_e32 vcc, s72, v22
	v_addc_co_u32_e64 v47, s[0:1], 0, v41, s[0:1]
	v_cndmask_b32_e64 v22, 0, -1, vcc
	v_cmp_eq_u32_e32 vcc, s73, v23
	v_cmp_ne_u32_e64 s[0:1], 0, v42
	v_cndmask_b32_e32 v22, v44, v22, vcc
	v_cmp_ne_u32_e32 vcc, 0, v22
	v_cndmask_b32_e64 v23, v46, v43, s[0:1]
	v_cndmask_b32_e64 v42, v47, v45, s[0:1]
	v_cndmask_b32_e32 v3, v3, v23, vcc
	v_xor_b32_e32 v23, s70, v39
	v_cndmask_b32_e32 v22, v41, v42, vcc
	v_xor_b32_e32 v3, v3, v23
	v_xor_b32_e32 v41, v22, v23
	v_sub_co_u32_e32 v22, vcc, v3, v23
	v_subb_co_u32_e32 v23, vcc, v41, v23, vcc
                                        ; implicit-def: $vgpr41
.LBB11_37:                              ;   in Loop: Header=BB11_3 Depth=1
	s_andn2_saveexec_b64 s[0:1], s[68:69]
	s_cbranch_execz .LBB11_39
; %bb.38:                               ;   in Loop: Header=BB11_3 Depth=1
	v_rcp_iflag_f32_e32 v3, v41
	s_sub_i32 s68, 0, s64
	v_mul_f32_e32 v3, 0x4f7ffffe, v3
	v_cvt_u32_f32_e32 v3, v3
	v_mul_lo_u32 v22, s68, v3
	v_mul_hi_u32 v22, v3, v22
	v_add_u32_e32 v3, v3, v22
	v_mul_hi_u32 v3, v20, v3
	v_mul_lo_u32 v22, v3, s64
	v_sub_u32_e32 v22, v20, v22
	v_add_u32_e32 v23, 1, v3
	v_subrev_u32_e32 v41, s64, v22
	v_cmp_le_u32_e32 vcc, s64, v22
	v_cndmask_b32_e32 v22, v22, v41, vcc
	v_cndmask_b32_e32 v3, v3, v23, vcc
	v_add_u32_e32 v23, 1, v3
	v_cmp_le_u32_e32 vcc, s64, v22
	v_cndmask_b32_e32 v22, v3, v23, vcc
	v_mov_b32_e32 v23, v2
.LBB11_39:                              ;   in Loop: Header=BB11_3 Depth=1
	s_or_b64 exec, exec, s[0:1]
	v_mul_lo_u32 v3, v23, s64
	v_mul_lo_u32 v41, v22, s65
	v_mad_u64_u32 v[42:43], s[0:1], v22, s64, 0
	v_add3_u32 v3, v43, v41, v3
	v_sub_co_u32_e32 v41, vcc, v12, v42
	v_subb_co_u32_e32 v3, vcc, v13, v3, vcc
	v_add_co_u32_e32 v41, vcc, v0, v41
	v_addc_co_u32_e32 v3, vcc, v1, v3, vcc
	v_mul_lo_u32 v3, v3, s30
	v_mul_lo_u32 v44, v41, s31
	v_mad_u64_u32 v[42:43], s[0:1], v41, s30, 0
	v_add3_u32 v43, v43, v44, v3
	v_mul_lo_u32 v3, v23, s28
	v_mul_lo_u32 v41, v22, s29
	v_mad_u64_u32 v[22:23], s[0:1], v22, s28, 0
	v_add3_u32 v23, v23, v41, v3
	v_lshlrev_b64 v[22:23], 1, v[22:23]
	v_mov_b32_e32 v3, s37
	v_add_co_u32_e32 v41, vcc, s36, v22
	v_addc_co_u32_e32 v3, vcc, v3, v23, vcc
	v_lshlrev_b64 v[22:23], 1, v[42:43]
	v_add_co_u32_e32 v22, vcc, v41, v22
	v_addc_co_u32_e32 v23, vcc, v3, v23, vcc
	global_load_ushort v41, v[22:23], off
	v_or_b32_e32 v3, s61, v15
	v_cmp_ne_u64_e32 vcc, 0, v[2:3]
                                        ; implicit-def: $vgpr22_vgpr23
	s_and_saveexec_b64 s[0:1], vcc
	s_xor_b64 s[68:69], exec, s[0:1]
	s_cbranch_execz .LBB11_41
; %bb.40:                               ;   in Loop: Header=BB11_3 Depth=1
	s_ashr_i32 s70, s61, 31
	s_add_u32 s0, s60, s70
	s_mov_b32 s71, s70
	s_addc_u32 s1, s61, s70
	s_xor_b64 s[72:73], s[0:1], s[70:71]
	v_cvt_f32_u32_e32 v3, s72
	v_cvt_f32_u32_e32 v22, s73
	s_sub_u32 s0, 0, s72
	s_subb_u32 s1, 0, s73
	v_mac_f32_e32 v3, 0x4f800000, v22
	v_rcp_f32_e32 v3, v3
	v_mul_f32_e32 v3, 0x5f7ffffc, v3
	v_mul_f32_e32 v22, 0x2f800000, v3
	v_trunc_f32_e32 v22, v22
	v_mac_f32_e32 v3, 0xcf800000, v22
	v_cvt_u32_f32_e32 v22, v22
	v_cvt_u32_f32_e32 v3, v3
	v_mul_lo_u32 v23, s0, v22
	v_mul_hi_u32 v43, s0, v3
	v_mul_lo_u32 v42, s1, v3
	v_add_u32_e32 v23, v43, v23
	v_mul_lo_u32 v44, s0, v3
	v_add_u32_e32 v23, v23, v42
	v_mul_lo_u32 v43, v3, v23
	v_mul_hi_u32 v45, v3, v44
	v_mul_hi_u32 v42, v3, v23
	v_add_co_u32_e32 v43, vcc, v45, v43
	v_addc_co_u32_e32 v42, vcc, 0, v42, vcc
	v_mul_hi_u32 v46, v22, v44
	v_mul_lo_u32 v44, v22, v44
	v_add_co_u32_e32 v43, vcc, v43, v44
	v_mul_hi_u32 v45, v22, v23
	v_addc_co_u32_e32 v42, vcc, v42, v46, vcc
	v_addc_co_u32_e32 v43, vcc, 0, v45, vcc
	v_mul_lo_u32 v23, v22, v23
	v_add_co_u32_e32 v23, vcc, v42, v23
	v_addc_co_u32_e32 v42, vcc, 0, v43, vcc
	v_add_co_u32_e32 v3, vcc, v3, v23
	v_addc_co_u32_e32 v22, vcc, v22, v42, vcc
	v_mul_lo_u32 v23, s0, v22
	v_mul_hi_u32 v42, s0, v3
	v_add_u32_e32 v23, v42, v23
	v_mul_lo_u32 v42, s1, v3
	v_add_u32_e32 v23, v23, v42
	v_mul_lo_u32 v43, s0, v3
	v_mul_hi_u32 v44, v22, v43
	v_mul_lo_u32 v45, v22, v43
	v_mul_lo_u32 v47, v3, v23
	v_mul_hi_u32 v43, v3, v43
	v_mul_hi_u32 v46, v3, v23
	v_add_co_u32_e32 v43, vcc, v43, v47
	v_addc_co_u32_e32 v46, vcc, 0, v46, vcc
	v_add_co_u32_e32 v43, vcc, v43, v45
	v_mul_hi_u32 v42, v22, v23
	v_addc_co_u32_e32 v43, vcc, v46, v44, vcc
	v_addc_co_u32_e32 v42, vcc, 0, v42, vcc
	v_mul_lo_u32 v23, v22, v23
	v_add_co_u32_e32 v23, vcc, v43, v23
	v_addc_co_u32_e32 v42, vcc, 0, v42, vcc
	v_add_co_u32_e32 v3, vcc, v3, v23
	v_addc_co_u32_e32 v22, vcc, v22, v42, vcc
	;; [unrolled: 2-line block ×3, first 2 shown]
	v_xor_b32_e32 v43, v14, v24
	v_xor_b32_e32 v42, v15, v24
	v_mad_u64_u32 v[14:15], s[0:1], v43, v22, 0
	v_mul_hi_u32 v23, v43, v3
	v_add_co_u32_e32 v44, vcc, v23, v14
	v_addc_co_u32_e32 v45, vcc, 0, v15, vcc
	v_mad_u64_u32 v[14:15], s[0:1], v42, v22, 0
	v_mad_u64_u32 v[22:23], s[0:1], v42, v3, 0
	v_add_co_u32_e32 v3, vcc, v44, v22
	v_addc_co_u32_e32 v3, vcc, v45, v23, vcc
	v_addc_co_u32_e32 v15, vcc, 0, v15, vcc
	v_add_co_u32_e32 v3, vcc, v3, v14
	v_addc_co_u32_e32 v22, vcc, 0, v15, vcc
	v_mul_lo_u32 v23, s73, v3
	v_mul_lo_u32 v44, s72, v22
	v_mad_u64_u32 v[14:15], s[0:1], s72, v3, 0
	v_add3_u32 v15, v15, v44, v23
	v_sub_u32_e32 v23, v42, v15
	v_mov_b32_e32 v44, s73
	v_sub_co_u32_e32 v14, vcc, v43, v14
	v_subb_co_u32_e64 v23, s[0:1], v23, v44, vcc
	v_subrev_co_u32_e64 v43, s[0:1], s72, v14
	v_subbrev_co_u32_e64 v23, s[0:1], 0, v23, s[0:1]
	v_cmp_le_u32_e64 s[0:1], s73, v23
	v_cndmask_b32_e64 v44, 0, -1, s[0:1]
	v_cmp_le_u32_e64 s[0:1], s72, v43
	v_cndmask_b32_e64 v43, 0, -1, s[0:1]
	v_cmp_eq_u32_e64 s[0:1], s73, v23
	v_cndmask_b32_e64 v23, v44, v43, s[0:1]
	v_add_co_u32_e64 v43, s[0:1], 2, v3
	v_subb_co_u32_e32 v15, vcc, v42, v15, vcc
	v_addc_co_u32_e64 v44, s[0:1], 0, v22, s[0:1]
	v_cmp_le_u32_e32 vcc, s73, v15
	v_add_co_u32_e64 v45, s[0:1], 1, v3
	v_cndmask_b32_e64 v42, 0, -1, vcc
	v_cmp_le_u32_e32 vcc, s72, v14
	v_addc_co_u32_e64 v46, s[0:1], 0, v22, s[0:1]
	v_cndmask_b32_e64 v14, 0, -1, vcc
	v_cmp_eq_u32_e32 vcc, s73, v15
	v_cmp_ne_u32_e64 s[0:1], 0, v23
	v_cndmask_b32_e32 v14, v42, v14, vcc
	v_cmp_ne_u32_e32 vcc, 0, v14
	v_cndmask_b32_e64 v15, v45, v43, s[0:1]
	v_cndmask_b32_e64 v23, v46, v44, s[0:1]
	v_cndmask_b32_e32 v3, v3, v15, vcc
	v_xor_b32_e32 v15, s70, v24
	v_cndmask_b32_e32 v14, v22, v23, vcc
	v_xor_b32_e32 v3, v3, v15
	v_xor_b32_e32 v14, v14, v15
	v_sub_co_u32_e32 v22, vcc, v3, v15
	v_subb_co_u32_e32 v23, vcc, v14, v15, vcc
                                        ; implicit-def: $vgpr14_vgpr15
.LBB11_41:                              ;   in Loop: Header=BB11_3 Depth=1
	s_or_saveexec_b64 s[0:1], s[68:69]
	v_cvt_f32_u32_e32 v24, s60
	s_xor_b64 exec, exec, s[0:1]
	s_cbranch_execz .LBB11_43
; %bb.42:                               ;   in Loop: Header=BB11_3 Depth=1
	v_rcp_iflag_f32_e32 v3, v24
	s_sub_i32 s68, 0, s60
	v_mov_b32_e32 v23, v2
	v_mul_f32_e32 v3, 0x4f7ffffe, v3
	v_cvt_u32_f32_e32 v3, v3
	v_mul_lo_u32 v15, s68, v3
	v_mul_hi_u32 v15, v3, v15
	v_add_u32_e32 v3, v3, v15
	v_mul_hi_u32 v3, v14, v3
	v_mul_lo_u32 v15, v3, s60
	v_sub_u32_e32 v14, v14, v15
	v_add_u32_e32 v22, 1, v3
	v_subrev_u32_e32 v15, s60, v14
	v_cmp_le_u32_e32 vcc, s60, v14
	v_cndmask_b32_e32 v14, v14, v15, vcc
	v_cndmask_b32_e32 v3, v3, v22, vcc
	v_add_u32_e32 v15, 1, v3
	v_cmp_le_u32_e32 vcc, s60, v14
	v_cndmask_b32_e32 v22, v3, v15, vcc
.LBB11_43:                              ;   in Loop: Header=BB11_3 Depth=1
	s_or_b64 exec, exec, s[0:1]
	v_or_b32_e32 v3, s61, v17
	v_cmp_ne_u64_e32 vcc, 0, v[2:3]
                                        ; implicit-def: $vgpr14_vgpr15
	s_and_saveexec_b64 s[0:1], vcc
	s_xor_b64 s[68:69], exec, s[0:1]
	s_cbranch_execz .LBB11_45
; %bb.44:                               ;   in Loop: Header=BB11_3 Depth=1
	s_ashr_i32 s70, s61, 31
	s_add_u32 s0, s60, s70
	s_mov_b32 s71, s70
	s_addc_u32 s1, s61, s70
	s_xor_b64 s[72:73], s[0:1], s[70:71]
	v_cvt_f32_u32_e32 v3, s72
	v_cvt_f32_u32_e32 v14, s73
	s_sub_u32 s0, 0, s72
	s_subb_u32 s1, 0, s73
	v_mac_f32_e32 v3, 0x4f800000, v14
	v_rcp_f32_e32 v3, v3
	v_mul_f32_e32 v3, 0x5f7ffffc, v3
	v_mul_f32_e32 v14, 0x2f800000, v3
	v_trunc_f32_e32 v14, v14
	v_mac_f32_e32 v3, 0xcf800000, v14
	v_cvt_u32_f32_e32 v14, v14
	v_cvt_u32_f32_e32 v3, v3
	v_mul_lo_u32 v15, s0, v14
	v_mul_hi_u32 v43, s0, v3
	v_mul_lo_u32 v42, s1, v3
	v_add_u32_e32 v15, v43, v15
	v_mul_lo_u32 v44, s0, v3
	v_add_u32_e32 v15, v15, v42
	v_mul_lo_u32 v43, v3, v15
	v_mul_hi_u32 v45, v3, v44
	v_mul_hi_u32 v42, v3, v15
	v_add_co_u32_e32 v43, vcc, v45, v43
	v_addc_co_u32_e32 v42, vcc, 0, v42, vcc
	v_mul_hi_u32 v46, v14, v44
	v_mul_lo_u32 v44, v14, v44
	v_add_co_u32_e32 v43, vcc, v43, v44
	v_mul_hi_u32 v45, v14, v15
	v_addc_co_u32_e32 v42, vcc, v42, v46, vcc
	v_addc_co_u32_e32 v43, vcc, 0, v45, vcc
	v_mul_lo_u32 v15, v14, v15
	v_add_co_u32_e32 v15, vcc, v42, v15
	v_addc_co_u32_e32 v42, vcc, 0, v43, vcc
	v_add_co_u32_e32 v3, vcc, v3, v15
	v_addc_co_u32_e32 v14, vcc, v14, v42, vcc
	v_mul_lo_u32 v15, s0, v14
	v_mul_hi_u32 v42, s0, v3
	v_add_u32_e32 v15, v42, v15
	v_mul_lo_u32 v42, s1, v3
	v_add_u32_e32 v15, v15, v42
	v_mul_lo_u32 v43, s0, v3
	v_mul_hi_u32 v44, v14, v43
	v_mul_lo_u32 v45, v14, v43
	v_mul_lo_u32 v47, v3, v15
	v_mul_hi_u32 v43, v3, v43
	v_mul_hi_u32 v46, v3, v15
	v_add_co_u32_e32 v43, vcc, v43, v47
	v_addc_co_u32_e32 v46, vcc, 0, v46, vcc
	v_add_co_u32_e32 v43, vcc, v43, v45
	v_mul_hi_u32 v42, v14, v15
	v_addc_co_u32_e32 v43, vcc, v46, v44, vcc
	v_addc_co_u32_e32 v42, vcc, 0, v42, vcc
	v_mul_lo_u32 v15, v14, v15
	v_add_co_u32_e32 v15, vcc, v43, v15
	v_addc_co_u32_e32 v42, vcc, 0, v42, vcc
	v_add_co_u32_e32 v3, vcc, v3, v15
	v_addc_co_u32_e32 v42, vcc, v14, v42, vcc
	;; [unrolled: 2-line block ×3, first 2 shown]
	v_xor_b32_e32 v44, v14, v25
	v_xor_b32_e32 v43, v15, v25
	v_mad_u64_u32 v[14:15], s[0:1], v44, v42, 0
	v_mul_hi_u32 v16, v44, v3
	v_add_co_u32_e32 v45, vcc, v16, v14
	v_addc_co_u32_e32 v46, vcc, 0, v15, vcc
	v_mad_u64_u32 v[16:17], s[0:1], v43, v3, 0
	v_add_co_u32_e32 v3, vcc, v45, v16
	v_mad_u64_u32 v[14:15], s[0:1], v43, v42, 0
	v_addc_co_u32_e32 v3, vcc, v46, v17, vcc
	v_addc_co_u32_e32 v15, vcc, 0, v15, vcc
	v_add_co_u32_e32 v3, vcc, v3, v14
	v_addc_co_u32_e32 v16, vcc, 0, v15, vcc
	v_mul_lo_u32 v17, s73, v3
	v_mul_lo_u32 v42, s72, v16
	v_mad_u64_u32 v[14:15], s[0:1], s72, v3, 0
	v_add3_u32 v15, v15, v42, v17
	v_sub_u32_e32 v17, v43, v15
	v_mov_b32_e32 v42, s73
	v_sub_co_u32_e32 v14, vcc, v44, v14
	v_subb_co_u32_e64 v17, s[0:1], v17, v42, vcc
	v_subrev_co_u32_e64 v42, s[0:1], s72, v14
	v_subbrev_co_u32_e64 v17, s[0:1], 0, v17, s[0:1]
	v_cmp_le_u32_e64 s[0:1], s73, v17
	v_cndmask_b32_e64 v44, 0, -1, s[0:1]
	v_cmp_le_u32_e64 s[0:1], s72, v42
	v_cndmask_b32_e64 v42, 0, -1, s[0:1]
	v_cmp_eq_u32_e64 s[0:1], s73, v17
	v_cndmask_b32_e64 v17, v44, v42, s[0:1]
	v_add_co_u32_e64 v42, s[0:1], 2, v3
	v_subb_co_u32_e32 v15, vcc, v43, v15, vcc
	v_addc_co_u32_e64 v44, s[0:1], 0, v16, s[0:1]
	v_cmp_le_u32_e32 vcc, s73, v15
	v_add_co_u32_e64 v45, s[0:1], 1, v3
	v_cndmask_b32_e64 v43, 0, -1, vcc
	v_cmp_le_u32_e32 vcc, s72, v14
	v_addc_co_u32_e64 v46, s[0:1], 0, v16, s[0:1]
	v_cndmask_b32_e64 v14, 0, -1, vcc
	v_cmp_eq_u32_e32 vcc, s73, v15
	v_cmp_ne_u32_e64 s[0:1], 0, v17
	v_cndmask_b32_e32 v14, v43, v14, vcc
	v_cmp_ne_u32_e32 vcc, 0, v14
	v_cndmask_b32_e64 v15, v45, v42, s[0:1]
	v_cndmask_b32_e64 v17, v46, v44, s[0:1]
	v_cndmask_b32_e32 v3, v3, v15, vcc
	v_xor_b32_e32 v15, s70, v25
	v_cndmask_b32_e32 v14, v16, v17, vcc
	v_xor_b32_e32 v3, v3, v15
	v_xor_b32_e32 v16, v14, v15
	v_sub_co_u32_e32 v14, vcc, v3, v15
	v_subb_co_u32_e32 v15, vcc, v16, v15, vcc
                                        ; implicit-def: $vgpr16_vgpr17
.LBB11_45:                              ;   in Loop: Header=BB11_3 Depth=1
	s_andn2_saveexec_b64 s[0:1], s[68:69]
	s_cbranch_execz .LBB11_47
; %bb.46:                               ;   in Loop: Header=BB11_3 Depth=1
	v_rcp_iflag_f32_e32 v3, v24
	s_sub_i32 s68, 0, s60
	v_mul_f32_e32 v3, 0x4f7ffffe, v3
	v_cvt_u32_f32_e32 v3, v3
	v_mul_lo_u32 v14, s68, v3
	v_mul_hi_u32 v14, v3, v14
	v_add_u32_e32 v3, v3, v14
	v_mul_hi_u32 v3, v16, v3
	v_mul_lo_u32 v14, v3, s60
	v_sub_u32_e32 v14, v16, v14
	v_add_u32_e32 v15, 1, v3
	v_subrev_u32_e32 v16, s60, v14
	v_cmp_le_u32_e32 vcc, s60, v14
	v_cndmask_b32_e32 v14, v14, v16, vcc
	v_cndmask_b32_e32 v3, v3, v15, vcc
	v_add_u32_e32 v15, 1, v3
	v_cmp_le_u32_e32 vcc, s60, v14
	v_cndmask_b32_e32 v14, v3, v15, vcc
	v_mov_b32_e32 v15, v2
.LBB11_47:                              ;   in Loop: Header=BB11_3 Depth=1
	s_or_b64 exec, exec, s[0:1]
	v_or_b32_e32 v3, s61, v19
	v_cmp_ne_u64_e32 vcc, 0, v[2:3]
                                        ; implicit-def: $vgpr16_vgpr17
	s_and_saveexec_b64 s[0:1], vcc
	s_xor_b64 s[68:69], exec, s[0:1]
	s_cbranch_execz .LBB11_49
; %bb.48:                               ;   in Loop: Header=BB11_3 Depth=1
	s_ashr_i32 s70, s61, 31
	s_add_u32 s0, s60, s70
	s_mov_b32 s71, s70
	s_addc_u32 s1, s61, s70
	s_xor_b64 s[72:73], s[0:1], s[70:71]
	v_cvt_f32_u32_e32 v3, s72
	v_cvt_f32_u32_e32 v16, s73
	s_sub_u32 s0, 0, s72
	s_subb_u32 s1, 0, s73
	v_mac_f32_e32 v3, 0x4f800000, v16
	v_rcp_f32_e32 v3, v3
	v_mul_f32_e32 v3, 0x5f7ffffc, v3
	v_mul_f32_e32 v16, 0x2f800000, v3
	v_trunc_f32_e32 v16, v16
	v_mac_f32_e32 v3, 0xcf800000, v16
	v_cvt_u32_f32_e32 v16, v16
	v_cvt_u32_f32_e32 v3, v3
	v_mul_lo_u32 v17, s0, v16
	v_mul_hi_u32 v42, s0, v3
	v_mul_lo_u32 v25, s1, v3
	v_add_u32_e32 v17, v42, v17
	v_mul_lo_u32 v43, s0, v3
	v_add_u32_e32 v17, v17, v25
	v_mul_lo_u32 v42, v3, v17
	v_mul_hi_u32 v44, v3, v43
	v_mul_hi_u32 v25, v3, v17
	v_add_co_u32_e32 v42, vcc, v44, v42
	v_addc_co_u32_e32 v25, vcc, 0, v25, vcc
	v_mul_hi_u32 v45, v16, v43
	v_mul_lo_u32 v43, v16, v43
	v_add_co_u32_e32 v42, vcc, v42, v43
	v_mul_hi_u32 v44, v16, v17
	v_addc_co_u32_e32 v25, vcc, v25, v45, vcc
	v_addc_co_u32_e32 v42, vcc, 0, v44, vcc
	v_mul_lo_u32 v17, v16, v17
	v_add_co_u32_e32 v17, vcc, v25, v17
	v_addc_co_u32_e32 v25, vcc, 0, v42, vcc
	v_add_co_u32_e32 v3, vcc, v3, v17
	v_addc_co_u32_e32 v16, vcc, v16, v25, vcc
	v_mul_lo_u32 v17, s0, v16
	v_mul_hi_u32 v25, s0, v3
	v_add_u32_e32 v17, v25, v17
	v_mul_lo_u32 v25, s1, v3
	v_add_u32_e32 v17, v17, v25
	v_mul_lo_u32 v42, s0, v3
	v_mul_hi_u32 v43, v16, v42
	v_mul_lo_u32 v44, v16, v42
	v_mul_lo_u32 v46, v3, v17
	v_mul_hi_u32 v42, v3, v42
	v_mul_hi_u32 v45, v3, v17
	v_add_co_u32_e32 v42, vcc, v42, v46
	v_addc_co_u32_e32 v45, vcc, 0, v45, vcc
	v_add_co_u32_e32 v42, vcc, v42, v44
	v_mul_hi_u32 v25, v16, v17
	v_addc_co_u32_e32 v42, vcc, v45, v43, vcc
	v_addc_co_u32_e32 v25, vcc, 0, v25, vcc
	v_mul_lo_u32 v17, v16, v17
	v_add_co_u32_e32 v17, vcc, v42, v17
	v_addc_co_u32_e32 v25, vcc, 0, v25, vcc
	v_add_co_u32_e32 v3, vcc, v3, v17
	v_addc_co_u32_e32 v25, vcc, v16, v25, vcc
	;; [unrolled: 2-line block ×3, first 2 shown]
	v_xor_b32_e32 v43, v16, v38
	v_xor_b32_e32 v42, v17, v38
	v_mad_u64_u32 v[16:17], s[0:1], v43, v25, 0
	v_mul_hi_u32 v18, v43, v3
	v_add_co_u32_e32 v44, vcc, v18, v16
	v_addc_co_u32_e32 v45, vcc, 0, v17, vcc
	v_mad_u64_u32 v[18:19], s[0:1], v42, v3, 0
	v_add_co_u32_e32 v3, vcc, v44, v18
	v_mad_u64_u32 v[16:17], s[0:1], v42, v25, 0
	v_addc_co_u32_e32 v3, vcc, v45, v19, vcc
	v_addc_co_u32_e32 v17, vcc, 0, v17, vcc
	v_add_co_u32_e32 v3, vcc, v3, v16
	v_addc_co_u32_e32 v18, vcc, 0, v17, vcc
	v_mul_lo_u32 v19, s73, v3
	v_mul_lo_u32 v25, s72, v18
	v_mad_u64_u32 v[16:17], s[0:1], s72, v3, 0
	v_add3_u32 v17, v17, v25, v19
	v_sub_u32_e32 v19, v42, v17
	v_mov_b32_e32 v25, s73
	v_sub_co_u32_e32 v16, vcc, v43, v16
	v_subb_co_u32_e64 v19, s[0:1], v19, v25, vcc
	v_subrev_co_u32_e64 v25, s[0:1], s72, v16
	v_subbrev_co_u32_e64 v19, s[0:1], 0, v19, s[0:1]
	v_cmp_le_u32_e64 s[0:1], s73, v19
	v_cndmask_b32_e64 v43, 0, -1, s[0:1]
	v_cmp_le_u32_e64 s[0:1], s72, v25
	v_cndmask_b32_e64 v25, 0, -1, s[0:1]
	v_cmp_eq_u32_e64 s[0:1], s73, v19
	v_cndmask_b32_e64 v19, v43, v25, s[0:1]
	v_add_co_u32_e64 v25, s[0:1], 2, v3
	v_subb_co_u32_e32 v17, vcc, v42, v17, vcc
	v_addc_co_u32_e64 v43, s[0:1], 0, v18, s[0:1]
	v_cmp_le_u32_e32 vcc, s73, v17
	v_add_co_u32_e64 v44, s[0:1], 1, v3
	v_cndmask_b32_e64 v42, 0, -1, vcc
	v_cmp_le_u32_e32 vcc, s72, v16
	v_addc_co_u32_e64 v45, s[0:1], 0, v18, s[0:1]
	v_cndmask_b32_e64 v16, 0, -1, vcc
	v_cmp_eq_u32_e32 vcc, s73, v17
	v_cmp_ne_u32_e64 s[0:1], 0, v19
	v_cndmask_b32_e32 v16, v42, v16, vcc
	v_cmp_ne_u32_e32 vcc, 0, v16
	v_cndmask_b32_e64 v17, v44, v25, s[0:1]
	v_cndmask_b32_e64 v19, v45, v43, s[0:1]
	v_cndmask_b32_e32 v3, v3, v17, vcc
	v_xor_b32_e32 v17, s70, v38
	v_cndmask_b32_e32 v16, v18, v19, vcc
	v_xor_b32_e32 v3, v3, v17
	v_xor_b32_e32 v18, v16, v17
	v_sub_co_u32_e32 v16, vcc, v3, v17
	v_subb_co_u32_e32 v17, vcc, v18, v17, vcc
                                        ; implicit-def: $vgpr18_vgpr19
.LBB11_49:                              ;   in Loop: Header=BB11_3 Depth=1
	s_andn2_saveexec_b64 s[0:1], s[68:69]
	s_cbranch_execz .LBB11_51
; %bb.50:                               ;   in Loop: Header=BB11_3 Depth=1
	v_rcp_iflag_f32_e32 v3, v24
	s_sub_i32 s68, 0, s60
	v_mul_f32_e32 v3, 0x4f7ffffe, v3
	v_cvt_u32_f32_e32 v3, v3
	v_mul_lo_u32 v16, s68, v3
	v_mul_hi_u32 v16, v3, v16
	v_add_u32_e32 v3, v3, v16
	v_mul_hi_u32 v3, v18, v3
	v_mul_lo_u32 v16, v3, s60
	v_sub_u32_e32 v16, v18, v16
	v_add_u32_e32 v17, 1, v3
	v_subrev_u32_e32 v18, s60, v16
	v_cmp_le_u32_e32 vcc, s60, v16
	v_cndmask_b32_e32 v16, v16, v18, vcc
	v_cndmask_b32_e32 v3, v3, v17, vcc
	v_add_u32_e32 v17, 1, v3
	v_cmp_le_u32_e32 vcc, s60, v16
	v_cndmask_b32_e32 v16, v3, v17, vcc
	v_mov_b32_e32 v17, v2
.LBB11_51:                              ;   in Loop: Header=BB11_3 Depth=1
	s_or_b64 exec, exec, s[0:1]
	v_or_b32_e32 v3, s61, v21
	v_cmp_ne_u64_e32 vcc, 0, v[2:3]
                                        ; implicit-def: $vgpr18_vgpr19
	s_and_saveexec_b64 s[0:1], vcc
	s_xor_b64 s[68:69], exec, s[0:1]
	s_cbranch_execz .LBB11_53
; %bb.52:                               ;   in Loop: Header=BB11_3 Depth=1
	s_ashr_i32 s70, s61, 31
	s_add_u32 s0, s60, s70
	s_mov_b32 s71, s70
	s_addc_u32 s1, s61, s70
	s_xor_b64 s[72:73], s[0:1], s[70:71]
	v_cvt_f32_u32_e32 v3, s72
	v_cvt_f32_u32_e32 v18, s73
	s_sub_u32 s0, 0, s72
	s_subb_u32 s1, 0, s73
	v_mac_f32_e32 v3, 0x4f800000, v18
	v_rcp_f32_e32 v3, v3
	v_mul_f32_e32 v3, 0x5f7ffffc, v3
	v_mul_f32_e32 v18, 0x2f800000, v3
	v_trunc_f32_e32 v18, v18
	v_mac_f32_e32 v3, 0xcf800000, v18
	v_cvt_u32_f32_e32 v18, v18
	v_cvt_u32_f32_e32 v3, v3
	v_mul_lo_u32 v19, s0, v18
	v_mul_hi_u32 v25, s0, v3
	v_mul_lo_u32 v24, s1, v3
	v_add_u32_e32 v19, v25, v19
	v_mul_lo_u32 v38, s0, v3
	v_add_u32_e32 v19, v19, v24
	v_mul_lo_u32 v25, v3, v19
	v_mul_hi_u32 v42, v3, v38
	v_mul_hi_u32 v24, v3, v19
	v_add_co_u32_e32 v25, vcc, v42, v25
	v_addc_co_u32_e32 v24, vcc, 0, v24, vcc
	v_mul_hi_u32 v43, v18, v38
	v_mul_lo_u32 v38, v18, v38
	v_add_co_u32_e32 v25, vcc, v25, v38
	v_mul_hi_u32 v42, v18, v19
	v_addc_co_u32_e32 v24, vcc, v24, v43, vcc
	v_addc_co_u32_e32 v25, vcc, 0, v42, vcc
	v_mul_lo_u32 v19, v18, v19
	v_add_co_u32_e32 v19, vcc, v24, v19
	v_addc_co_u32_e32 v24, vcc, 0, v25, vcc
	v_add_co_u32_e32 v3, vcc, v3, v19
	v_addc_co_u32_e32 v18, vcc, v18, v24, vcc
	v_mul_lo_u32 v19, s0, v18
	v_mul_hi_u32 v24, s0, v3
	v_add_u32_e32 v19, v24, v19
	v_mul_lo_u32 v24, s1, v3
	v_add_u32_e32 v19, v19, v24
	v_mul_lo_u32 v25, s0, v3
	v_mul_hi_u32 v38, v18, v25
	v_mul_lo_u32 v42, v18, v25
	v_mul_lo_u32 v44, v3, v19
	v_mul_hi_u32 v25, v3, v25
	v_mul_hi_u32 v43, v3, v19
	v_add_co_u32_e32 v25, vcc, v25, v44
	v_addc_co_u32_e32 v43, vcc, 0, v43, vcc
	v_add_co_u32_e32 v25, vcc, v25, v42
	v_mul_hi_u32 v24, v18, v19
	v_addc_co_u32_e32 v25, vcc, v43, v38, vcc
	v_addc_co_u32_e32 v24, vcc, 0, v24, vcc
	v_mul_lo_u32 v19, v18, v19
	v_add_co_u32_e32 v19, vcc, v25, v19
	v_addc_co_u32_e32 v24, vcc, 0, v24, vcc
	v_add_co_u32_e32 v3, vcc, v3, v19
	v_addc_co_u32_e32 v24, vcc, v18, v24, vcc
	;; [unrolled: 2-line block ×3, first 2 shown]
	v_xor_b32_e32 v38, v18, v39
	v_xor_b32_e32 v25, v19, v39
	v_mad_u64_u32 v[18:19], s[0:1], v38, v24, 0
	v_mul_hi_u32 v20, v38, v3
	v_add_co_u32_e32 v42, vcc, v20, v18
	v_addc_co_u32_e32 v43, vcc, 0, v19, vcc
	v_mad_u64_u32 v[20:21], s[0:1], v25, v3, 0
	v_add_co_u32_e32 v3, vcc, v42, v20
	v_mad_u64_u32 v[18:19], s[0:1], v25, v24, 0
	v_addc_co_u32_e32 v3, vcc, v43, v21, vcc
	v_addc_co_u32_e32 v19, vcc, 0, v19, vcc
	v_add_co_u32_e32 v3, vcc, v3, v18
	v_addc_co_u32_e32 v20, vcc, 0, v19, vcc
	v_mul_lo_u32 v21, s73, v3
	v_mul_lo_u32 v24, s72, v20
	v_mad_u64_u32 v[18:19], s[0:1], s72, v3, 0
	v_add3_u32 v19, v19, v24, v21
	v_sub_u32_e32 v21, v25, v19
	v_mov_b32_e32 v24, s73
	v_sub_co_u32_e32 v18, vcc, v38, v18
	v_subb_co_u32_e64 v21, s[0:1], v21, v24, vcc
	v_subrev_co_u32_e64 v24, s[0:1], s72, v18
	v_subbrev_co_u32_e64 v21, s[0:1], 0, v21, s[0:1]
	v_cmp_le_u32_e64 s[0:1], s73, v21
	v_cndmask_b32_e64 v38, 0, -1, s[0:1]
	v_cmp_le_u32_e64 s[0:1], s72, v24
	v_cndmask_b32_e64 v24, 0, -1, s[0:1]
	v_cmp_eq_u32_e64 s[0:1], s73, v21
	v_cndmask_b32_e64 v21, v38, v24, s[0:1]
	v_add_co_u32_e64 v24, s[0:1], 2, v3
	v_subb_co_u32_e32 v19, vcc, v25, v19, vcc
	v_addc_co_u32_e64 v38, s[0:1], 0, v20, s[0:1]
	v_cmp_le_u32_e32 vcc, s73, v19
	v_add_co_u32_e64 v42, s[0:1], 1, v3
	v_cndmask_b32_e64 v25, 0, -1, vcc
	v_cmp_le_u32_e32 vcc, s72, v18
	v_addc_co_u32_e64 v43, s[0:1], 0, v20, s[0:1]
	v_cndmask_b32_e64 v18, 0, -1, vcc
	v_cmp_eq_u32_e32 vcc, s73, v19
	v_cmp_ne_u32_e64 s[0:1], 0, v21
	v_cndmask_b32_e32 v18, v25, v18, vcc
	v_cmp_ne_u32_e32 vcc, 0, v18
	v_cndmask_b32_e64 v19, v42, v24, s[0:1]
	v_cndmask_b32_e64 v21, v43, v38, s[0:1]
	v_cndmask_b32_e32 v3, v3, v19, vcc
	v_xor_b32_e32 v19, s70, v39
	v_cndmask_b32_e32 v18, v20, v21, vcc
	v_xor_b32_e32 v3, v3, v19
	v_xor_b32_e32 v20, v18, v19
	v_sub_co_u32_e32 v18, vcc, v3, v19
	v_subb_co_u32_e32 v19, vcc, v20, v19, vcc
                                        ; implicit-def: $vgpr24
                                        ; implicit-def: $vgpr20_vgpr21
.LBB11_53:                              ;   in Loop: Header=BB11_3 Depth=1
	s_andn2_saveexec_b64 s[0:1], s[68:69]
	s_cbranch_execz .LBB11_55
; %bb.54:                               ;   in Loop: Header=BB11_3 Depth=1
	v_rcp_iflag_f32_e32 v3, v24
	s_sub_i32 s68, 0, s60
	v_mul_f32_e32 v3, 0x4f7ffffe, v3
	v_cvt_u32_f32_e32 v3, v3
	v_mul_lo_u32 v18, s68, v3
	v_mul_hi_u32 v18, v3, v18
	v_add_u32_e32 v3, v3, v18
	v_mul_hi_u32 v3, v20, v3
	v_mul_lo_u32 v18, v3, s60
	v_sub_u32_e32 v18, v20, v18
	v_add_u32_e32 v19, 1, v3
	v_subrev_u32_e32 v20, s60, v18
	v_cmp_le_u32_e32 vcc, s60, v18
	v_cndmask_b32_e32 v18, v18, v20, vcc
	v_cndmask_b32_e32 v3, v3, v19, vcc
	v_add_u32_e32 v19, 1, v3
	v_cmp_le_u32_e32 vcc, s60, v18
	v_cndmask_b32_e32 v18, v3, v19, vcc
	v_mov_b32_e32 v19, v2
.LBB11_55:                              ;   in Loop: Header=BB11_3 Depth=1
	s_or_b64 exec, exec, s[0:1]
	v_or_b32_e32 v3, s49, v1
	v_cmp_ne_u64_e32 vcc, 0, v[2:3]
                                        ; implicit-def: $vgpr20_vgpr21
	s_and_saveexec_b64 s[0:1], vcc
	s_xor_b64 s[68:69], exec, s[0:1]
	s_cbranch_execz .LBB11_57
; %bb.56:                               ;   in Loop: Header=BB11_3 Depth=1
	s_ashr_i32 s70, s49, 31
	s_add_u32 s0, s48, s70
	s_mov_b32 s71, s70
	s_addc_u32 s1, s49, s70
	s_xor_b64 s[72:73], s[0:1], s[70:71]
	v_cvt_f32_u32_e32 v3, s72
	v_cvt_f32_u32_e32 v20, s73
	s_sub_u32 s0, 0, s72
	s_subb_u32 s1, 0, s73
	v_mac_f32_e32 v3, 0x4f800000, v20
	v_rcp_f32_e32 v3, v3
	v_mul_f32_e32 v3, 0x5f7ffffc, v3
	v_mul_f32_e32 v20, 0x2f800000, v3
	v_trunc_f32_e32 v20, v20
	v_mac_f32_e32 v3, 0xcf800000, v20
	v_cvt_u32_f32_e32 v20, v20
	v_cvt_u32_f32_e32 v3, v3
	v_mul_lo_u32 v21, s0, v20
	v_mul_hi_u32 v25, s0, v3
	v_mul_lo_u32 v24, s1, v3
	v_add_u32_e32 v21, v25, v21
	v_mul_lo_u32 v38, s0, v3
	v_add_u32_e32 v21, v21, v24
	v_mul_lo_u32 v25, v3, v21
	v_mul_hi_u32 v39, v3, v38
	v_mul_hi_u32 v24, v3, v21
	v_add_co_u32_e32 v25, vcc, v39, v25
	v_addc_co_u32_e32 v24, vcc, 0, v24, vcc
	v_mul_hi_u32 v42, v20, v38
	v_mul_lo_u32 v38, v20, v38
	v_add_co_u32_e32 v25, vcc, v25, v38
	v_mul_hi_u32 v39, v20, v21
	v_addc_co_u32_e32 v24, vcc, v24, v42, vcc
	v_addc_co_u32_e32 v25, vcc, 0, v39, vcc
	v_mul_lo_u32 v21, v20, v21
	v_add_co_u32_e32 v21, vcc, v24, v21
	v_addc_co_u32_e32 v24, vcc, 0, v25, vcc
	v_add_co_u32_e32 v3, vcc, v3, v21
	v_addc_co_u32_e32 v20, vcc, v20, v24, vcc
	v_mul_lo_u32 v21, s0, v20
	v_mul_hi_u32 v24, s0, v3
	v_add_u32_e32 v21, v24, v21
	v_mul_lo_u32 v24, s1, v3
	v_add_u32_e32 v21, v21, v24
	v_mul_lo_u32 v25, s0, v3
	v_mul_hi_u32 v38, v20, v25
	v_mul_lo_u32 v39, v20, v25
	v_mul_lo_u32 v43, v3, v21
	v_mul_hi_u32 v25, v3, v25
	v_mul_hi_u32 v42, v3, v21
	v_add_co_u32_e32 v25, vcc, v25, v43
	v_addc_co_u32_e32 v42, vcc, 0, v42, vcc
	v_add_co_u32_e32 v25, vcc, v25, v39
	v_mul_hi_u32 v24, v20, v21
	v_addc_co_u32_e32 v25, vcc, v42, v38, vcc
	v_addc_co_u32_e32 v24, vcc, 0, v24, vcc
	v_mul_lo_u32 v21, v20, v21
	v_add_co_u32_e32 v21, vcc, v25, v21
	v_addc_co_u32_e32 v24, vcc, 0, v24, vcc
	v_add_co_u32_e32 v3, vcc, v3, v21
	v_addc_co_u32_e32 v24, vcc, v20, v24, vcc
	;; [unrolled: 2-line block ×3, first 2 shown]
	v_xor_b32_e32 v39, v20, v31
	v_xor_b32_e32 v38, v21, v31
	v_mad_u64_u32 v[20:21], s[0:1], v39, v24, 0
	v_mul_hi_u32 v25, v39, v3
	v_add_co_u32_e32 v42, vcc, v25, v20
	v_addc_co_u32_e32 v43, vcc, 0, v21, vcc
	v_mad_u64_u32 v[20:21], s[0:1], v38, v24, 0
	v_mad_u64_u32 v[24:25], s[0:1], v38, v3, 0
	v_add_co_u32_e32 v3, vcc, v42, v24
	v_addc_co_u32_e32 v3, vcc, v43, v25, vcc
	v_addc_co_u32_e32 v21, vcc, 0, v21, vcc
	v_add_co_u32_e32 v3, vcc, v3, v20
	v_addc_co_u32_e32 v24, vcc, 0, v21, vcc
	v_mul_lo_u32 v25, s73, v3
	v_mul_lo_u32 v42, s72, v24
	v_mad_u64_u32 v[20:21], s[0:1], s72, v3, 0
	v_add3_u32 v21, v21, v42, v25
	v_sub_u32_e32 v25, v38, v21
	v_mov_b32_e32 v42, s73
	v_sub_co_u32_e32 v20, vcc, v39, v20
	v_subb_co_u32_e64 v25, s[0:1], v25, v42, vcc
	v_subrev_co_u32_e64 v39, s[0:1], s72, v20
	v_subbrev_co_u32_e64 v25, s[0:1], 0, v25, s[0:1]
	v_cmp_le_u32_e64 s[0:1], s73, v25
	v_cndmask_b32_e64 v42, 0, -1, s[0:1]
	v_cmp_le_u32_e64 s[0:1], s72, v39
	v_cndmask_b32_e64 v39, 0, -1, s[0:1]
	v_cmp_eq_u32_e64 s[0:1], s73, v25
	v_cndmask_b32_e64 v25, v42, v39, s[0:1]
	v_add_co_u32_e64 v39, s[0:1], 2, v3
	v_subb_co_u32_e32 v21, vcc, v38, v21, vcc
	v_addc_co_u32_e64 v42, s[0:1], 0, v24, s[0:1]
	v_cmp_le_u32_e32 vcc, s73, v21
	v_add_co_u32_e64 v43, s[0:1], 1, v3
	v_cndmask_b32_e64 v38, 0, -1, vcc
	v_cmp_le_u32_e32 vcc, s72, v20
	v_addc_co_u32_e64 v44, s[0:1], 0, v24, s[0:1]
	v_cndmask_b32_e64 v20, 0, -1, vcc
	v_cmp_eq_u32_e32 vcc, s73, v21
	v_cmp_ne_u32_e64 s[0:1], 0, v25
	v_cndmask_b32_e32 v20, v38, v20, vcc
	v_cmp_ne_u32_e32 vcc, 0, v20
	v_cndmask_b32_e64 v21, v43, v39, s[0:1]
	v_cndmask_b32_e64 v25, v44, v42, s[0:1]
	v_cndmask_b32_e32 v3, v3, v21, vcc
	v_xor_b32_e32 v21, s70, v31
	v_cndmask_b32_e32 v20, v24, v25, vcc
	v_xor_b32_e32 v3, v3, v21
	v_xor_b32_e32 v24, v20, v21
	v_sub_co_u32_e32 v20, vcc, v3, v21
	v_subb_co_u32_e32 v21, vcc, v24, v21, vcc
.LBB11_57:                              ;   in Loop: Header=BB11_3 Depth=1
	s_andn2_saveexec_b64 s[0:1], s[68:69]
	s_cbranch_execz .LBB11_59
; %bb.58:                               ;   in Loop: Header=BB11_3 Depth=1
	v_cvt_f32_u32_e32 v3, s48
	s_sub_i32 s68, 0, s48
	v_rcp_iflag_f32_e32 v3, v3
	v_mul_f32_e32 v3, 0x4f7ffffe, v3
	v_cvt_u32_f32_e32 v3, v3
	v_mul_lo_u32 v20, s68, v3
	v_mul_hi_u32 v20, v3, v20
	v_add_u32_e32 v3, v3, v20
	v_mul_hi_u32 v3, v0, v3
	v_mul_lo_u32 v20, v3, s48
	v_sub_u32_e32 v20, v0, v20
	v_add_u32_e32 v21, 1, v3
	v_subrev_u32_e32 v24, s48, v20
	v_cmp_le_u32_e32 vcc, s48, v20
	v_cndmask_b32_e32 v20, v20, v24, vcc
	v_cndmask_b32_e32 v3, v3, v21, vcc
	v_add_u32_e32 v21, 1, v3
	v_cmp_le_u32_e32 vcc, s48, v20
	v_cndmask_b32_e32 v20, v3, v21, vcc
	v_mov_b32_e32 v21, v2
.LBB11_59:                              ;   in Loop: Header=BB11_3 Depth=1
	s_or_b64 exec, exec, s[0:1]
	v_mad_u64_u32 v[24:25], s[0:1], s79, v20, v[0:1]
	v_mul_lo_u32 v3, s79, v21
	v_mul_lo_u32 v38, s80, v20
	v_add3_u32 v3, v38, v25, v3
	v_mul_lo_u32 v38, v24, s19
	v_mul_lo_u32 v3, v3, s18
	v_mad_u64_u32 v[24:25], s[0:1], v24, s18, 0
	v_add3_u32 v25, v25, v38, v3
	v_mul_lo_u32 v3, v21, s16
	v_mul_lo_u32 v38, v20, s17
	v_mad_u64_u32 v[20:21], s[0:1], v20, s16, 0
	v_add3_u32 v21, v21, v38, v3
	v_lshlrev_b64 v[20:21], 1, v[20:21]
	v_mov_b32_e32 v3, s47
	v_add_co_u32_e32 v38, vcc, s46, v20
	v_addc_co_u32_e32 v3, vcc, v3, v21, vcc
	v_lshlrev_b64 v[20:21], 1, v[24:25]
	v_add_co_u32_e32 v20, vcc, v38, v20
	v_addc_co_u32_e32 v21, vcc, v3, v21, vcc
	global_load_ushort v38, v[20:21], off
	v_or_b32_e32 v3, s53, v1
	v_cmp_ne_u64_e32 vcc, 0, v[2:3]
                                        ; implicit-def: $vgpr20_vgpr21
	s_and_saveexec_b64 s[0:1], vcc
	s_xor_b64 s[68:69], exec, s[0:1]
	s_cbranch_execz .LBB11_61
; %bb.60:                               ;   in Loop: Header=BB11_3 Depth=1
	s_ashr_i32 s70, s53, 31
	s_add_u32 s0, s52, s70
	s_mov_b32 s71, s70
	s_addc_u32 s1, s53, s70
	s_xor_b64 s[72:73], s[0:1], s[70:71]
	v_cvt_f32_u32_e32 v3, s72
	v_cvt_f32_u32_e32 v20, s73
	s_sub_u32 s0, 0, s72
	s_subb_u32 s1, 0, s73
	v_mac_f32_e32 v3, 0x4f800000, v20
	v_rcp_f32_e32 v3, v3
	v_mul_f32_e32 v3, 0x5f7ffffc, v3
	v_mul_f32_e32 v20, 0x2f800000, v3
	v_trunc_f32_e32 v20, v20
	v_mac_f32_e32 v3, 0xcf800000, v20
	v_cvt_u32_f32_e32 v20, v20
	v_cvt_u32_f32_e32 v3, v3
	v_mul_lo_u32 v21, s0, v20
	v_mul_hi_u32 v25, s0, v3
	v_mul_lo_u32 v24, s1, v3
	v_add_u32_e32 v21, v25, v21
	v_mul_lo_u32 v39, s0, v3
	v_add_u32_e32 v21, v21, v24
	v_mul_lo_u32 v25, v3, v21
	v_mul_hi_u32 v42, v3, v39
	v_mul_hi_u32 v24, v3, v21
	v_add_co_u32_e32 v25, vcc, v42, v25
	v_addc_co_u32_e32 v24, vcc, 0, v24, vcc
	v_mul_hi_u32 v43, v20, v39
	v_mul_lo_u32 v39, v20, v39
	v_add_co_u32_e32 v25, vcc, v25, v39
	v_mul_hi_u32 v42, v20, v21
	v_addc_co_u32_e32 v24, vcc, v24, v43, vcc
	v_addc_co_u32_e32 v25, vcc, 0, v42, vcc
	v_mul_lo_u32 v21, v20, v21
	v_add_co_u32_e32 v21, vcc, v24, v21
	v_addc_co_u32_e32 v24, vcc, 0, v25, vcc
	v_add_co_u32_e32 v3, vcc, v3, v21
	v_addc_co_u32_e32 v20, vcc, v20, v24, vcc
	v_mul_lo_u32 v21, s0, v20
	v_mul_hi_u32 v24, s0, v3
	v_add_u32_e32 v21, v24, v21
	v_mul_lo_u32 v24, s1, v3
	v_add_u32_e32 v21, v21, v24
	v_mul_lo_u32 v25, s0, v3
	v_mul_hi_u32 v39, v20, v25
	v_mul_lo_u32 v42, v20, v25
	v_mul_lo_u32 v44, v3, v21
	v_mul_hi_u32 v25, v3, v25
	v_mul_hi_u32 v43, v3, v21
	v_add_co_u32_e32 v25, vcc, v25, v44
	v_addc_co_u32_e32 v43, vcc, 0, v43, vcc
	v_add_co_u32_e32 v25, vcc, v25, v42
	v_mul_hi_u32 v24, v20, v21
	v_addc_co_u32_e32 v25, vcc, v43, v39, vcc
	v_addc_co_u32_e32 v24, vcc, 0, v24, vcc
	v_mul_lo_u32 v21, v20, v21
	v_add_co_u32_e32 v21, vcc, v25, v21
	v_addc_co_u32_e32 v24, vcc, 0, v24, vcc
	v_add_co_u32_e32 v3, vcc, v3, v21
	v_addc_co_u32_e32 v24, vcc, v20, v24, vcc
	;; [unrolled: 2-line block ×3, first 2 shown]
	v_xor_b32_e32 v42, v20, v31
	v_xor_b32_e32 v39, v21, v31
	v_mad_u64_u32 v[20:21], s[0:1], v42, v24, 0
	v_mul_hi_u32 v25, v42, v3
	v_add_co_u32_e32 v43, vcc, v25, v20
	v_addc_co_u32_e32 v44, vcc, 0, v21, vcc
	v_mad_u64_u32 v[20:21], s[0:1], v39, v24, 0
	v_mad_u64_u32 v[24:25], s[0:1], v39, v3, 0
	v_add_co_u32_e32 v3, vcc, v43, v24
	v_addc_co_u32_e32 v3, vcc, v44, v25, vcc
	v_addc_co_u32_e32 v21, vcc, 0, v21, vcc
	v_add_co_u32_e32 v3, vcc, v3, v20
	v_addc_co_u32_e32 v24, vcc, 0, v21, vcc
	v_mul_lo_u32 v25, s73, v3
	v_mul_lo_u32 v43, s72, v24
	v_mad_u64_u32 v[20:21], s[0:1], s72, v3, 0
	v_add3_u32 v21, v21, v43, v25
	v_sub_u32_e32 v25, v39, v21
	v_mov_b32_e32 v43, s73
	v_sub_co_u32_e32 v20, vcc, v42, v20
	v_subb_co_u32_e64 v25, s[0:1], v25, v43, vcc
	v_subrev_co_u32_e64 v42, s[0:1], s72, v20
	v_subbrev_co_u32_e64 v25, s[0:1], 0, v25, s[0:1]
	v_cmp_le_u32_e64 s[0:1], s73, v25
	v_cndmask_b32_e64 v43, 0, -1, s[0:1]
	v_cmp_le_u32_e64 s[0:1], s72, v42
	v_cndmask_b32_e64 v42, 0, -1, s[0:1]
	v_cmp_eq_u32_e64 s[0:1], s73, v25
	v_cndmask_b32_e64 v25, v43, v42, s[0:1]
	v_add_co_u32_e64 v42, s[0:1], 2, v3
	v_subb_co_u32_e32 v21, vcc, v39, v21, vcc
	v_addc_co_u32_e64 v43, s[0:1], 0, v24, s[0:1]
	v_cmp_le_u32_e32 vcc, s73, v21
	v_add_co_u32_e64 v44, s[0:1], 1, v3
	v_cndmask_b32_e64 v39, 0, -1, vcc
	v_cmp_le_u32_e32 vcc, s72, v20
	v_addc_co_u32_e64 v45, s[0:1], 0, v24, s[0:1]
	v_cndmask_b32_e64 v20, 0, -1, vcc
	v_cmp_eq_u32_e32 vcc, s73, v21
	v_cmp_ne_u32_e64 s[0:1], 0, v25
	v_cndmask_b32_e32 v20, v39, v20, vcc
	v_cmp_ne_u32_e32 vcc, 0, v20
	v_cndmask_b32_e64 v21, v44, v42, s[0:1]
	v_cndmask_b32_e64 v25, v45, v43, s[0:1]
	v_cndmask_b32_e32 v3, v3, v21, vcc
	v_xor_b32_e32 v21, s70, v31
	v_cndmask_b32_e32 v20, v24, v25, vcc
	v_xor_b32_e32 v3, v3, v21
	v_xor_b32_e32 v24, v20, v21
	v_sub_co_u32_e32 v20, vcc, v3, v21
	v_subb_co_u32_e32 v21, vcc, v24, v21, vcc
.LBB11_61:                              ;   in Loop: Header=BB11_3 Depth=1
	s_andn2_saveexec_b64 s[0:1], s[68:69]
	s_cbranch_execz .LBB11_63
; %bb.62:                               ;   in Loop: Header=BB11_3 Depth=1
	v_cvt_f32_u32_e32 v3, s52
	s_sub_i32 s68, 0, s52
	v_rcp_iflag_f32_e32 v3, v3
	v_mul_f32_e32 v3, 0x4f7ffffe, v3
	v_cvt_u32_f32_e32 v3, v3
	v_mul_lo_u32 v20, s68, v3
	v_mul_hi_u32 v20, v3, v20
	v_add_u32_e32 v3, v3, v20
	v_mul_hi_u32 v3, v0, v3
	v_mul_lo_u32 v20, v3, s52
	v_sub_u32_e32 v20, v0, v20
	v_add_u32_e32 v21, 1, v3
	v_subrev_u32_e32 v24, s52, v20
	v_cmp_le_u32_e32 vcc, s52, v20
	v_cndmask_b32_e32 v20, v20, v24, vcc
	v_cndmask_b32_e32 v3, v3, v21, vcc
	v_add_u32_e32 v21, 1, v3
	v_cmp_le_u32_e32 vcc, s52, v20
	v_cndmask_b32_e32 v20, v3, v21, vcc
	v_mov_b32_e32 v21, v2
.LBB11_63:                              ;   in Loop: Header=BB11_3 Depth=1
	s_or_b64 exec, exec, s[0:1]
	v_or_b32_e32 v3, s57, v1
	v_cmp_ne_u64_e32 vcc, 0, v[2:3]
                                        ; implicit-def: $vgpr24_vgpr25
	s_and_saveexec_b64 s[0:1], vcc
	s_xor_b64 s[68:69], exec, s[0:1]
	s_cbranch_execz .LBB11_65
; %bb.64:                               ;   in Loop: Header=BB11_3 Depth=1
	s_ashr_i32 s70, s57, 31
	s_add_u32 s0, s56, s70
	s_mov_b32 s71, s70
	s_addc_u32 s1, s57, s70
	s_xor_b64 s[72:73], s[0:1], s[70:71]
	v_cvt_f32_u32_e32 v3, s72
	v_cvt_f32_u32_e32 v24, s73
	s_sub_u32 s0, 0, s72
	s_subb_u32 s1, 0, s73
	v_mac_f32_e32 v3, 0x4f800000, v24
	v_rcp_f32_e32 v3, v3
	v_mul_f32_e32 v3, 0x5f7ffffc, v3
	v_mul_f32_e32 v24, 0x2f800000, v3
	v_trunc_f32_e32 v24, v24
	v_mac_f32_e32 v3, 0xcf800000, v24
	v_cvt_u32_f32_e32 v24, v24
	v_cvt_u32_f32_e32 v3, v3
	v_mul_lo_u32 v25, s0, v24
	v_mul_hi_u32 v42, s0, v3
	v_mul_lo_u32 v39, s1, v3
	v_add_u32_e32 v25, v42, v25
	v_mul_lo_u32 v43, s0, v3
	v_add_u32_e32 v25, v25, v39
	v_mul_lo_u32 v42, v3, v25
	v_mul_hi_u32 v44, v3, v43
	v_mul_hi_u32 v39, v3, v25
	v_add_co_u32_e32 v42, vcc, v44, v42
	v_addc_co_u32_e32 v39, vcc, 0, v39, vcc
	v_mul_hi_u32 v45, v24, v43
	v_mul_lo_u32 v43, v24, v43
	v_add_co_u32_e32 v42, vcc, v42, v43
	v_mul_hi_u32 v44, v24, v25
	v_addc_co_u32_e32 v39, vcc, v39, v45, vcc
	v_addc_co_u32_e32 v42, vcc, 0, v44, vcc
	v_mul_lo_u32 v25, v24, v25
	v_add_co_u32_e32 v25, vcc, v39, v25
	v_addc_co_u32_e32 v39, vcc, 0, v42, vcc
	v_add_co_u32_e32 v3, vcc, v3, v25
	v_addc_co_u32_e32 v24, vcc, v24, v39, vcc
	v_mul_lo_u32 v25, s0, v24
	v_mul_hi_u32 v39, s0, v3
	v_add_u32_e32 v25, v39, v25
	v_mul_lo_u32 v39, s1, v3
	v_add_u32_e32 v25, v25, v39
	v_mul_lo_u32 v42, s0, v3
	v_mul_hi_u32 v43, v24, v42
	v_mul_lo_u32 v44, v24, v42
	v_mul_lo_u32 v46, v3, v25
	v_mul_hi_u32 v42, v3, v42
	v_mul_hi_u32 v45, v3, v25
	v_add_co_u32_e32 v42, vcc, v42, v46
	v_addc_co_u32_e32 v45, vcc, 0, v45, vcc
	v_add_co_u32_e32 v42, vcc, v42, v44
	v_mul_hi_u32 v39, v24, v25
	v_addc_co_u32_e32 v42, vcc, v45, v43, vcc
	v_addc_co_u32_e32 v39, vcc, 0, v39, vcc
	v_mul_lo_u32 v25, v24, v25
	v_add_co_u32_e32 v25, vcc, v42, v25
	v_addc_co_u32_e32 v39, vcc, 0, v39, vcc
	v_add_co_u32_e32 v3, vcc, v3, v25
	v_addc_co_u32_e32 v39, vcc, v24, v39, vcc
	;; [unrolled: 2-line block ×3, first 2 shown]
	v_xor_b32_e32 v45, v24, v31
	v_xor_b32_e32 v44, v25, v31
	v_mad_u64_u32 v[24:25], s[0:1], v45, v39, 0
	v_mul_hi_u32 v42, v45, v3
	v_add_co_u32_e32 v46, vcc, v42, v24
	v_addc_co_u32_e32 v47, vcc, 0, v25, vcc
	v_mad_u64_u32 v[42:43], s[0:1], v44, v3, 0
	v_add_co_u32_e32 v3, vcc, v46, v42
	v_mad_u64_u32 v[24:25], s[0:1], v44, v39, 0
	v_addc_co_u32_e32 v3, vcc, v47, v43, vcc
	v_addc_co_u32_e32 v25, vcc, 0, v25, vcc
	v_add_co_u32_e32 v3, vcc, v3, v24
	v_addc_co_u32_e32 v39, vcc, 0, v25, vcc
	v_mul_lo_u32 v42, s73, v3
	v_mul_lo_u32 v43, s72, v39
	v_mad_u64_u32 v[24:25], s[0:1], s72, v3, 0
	v_add3_u32 v25, v25, v43, v42
	v_sub_u32_e32 v42, v44, v25
	v_mov_b32_e32 v43, s73
	v_sub_co_u32_e32 v24, vcc, v45, v24
	v_subb_co_u32_e64 v42, s[0:1], v42, v43, vcc
	v_subrev_co_u32_e64 v43, s[0:1], s72, v24
	v_subbrev_co_u32_e64 v42, s[0:1], 0, v42, s[0:1]
	v_cmp_le_u32_e64 s[0:1], s73, v42
	v_cndmask_b32_e64 v45, 0, -1, s[0:1]
	v_cmp_le_u32_e64 s[0:1], s72, v43
	v_cndmask_b32_e64 v43, 0, -1, s[0:1]
	v_cmp_eq_u32_e64 s[0:1], s73, v42
	v_cndmask_b32_e64 v42, v45, v43, s[0:1]
	v_add_co_u32_e64 v43, s[0:1], 2, v3
	v_subb_co_u32_e32 v25, vcc, v44, v25, vcc
	v_addc_co_u32_e64 v45, s[0:1], 0, v39, s[0:1]
	v_cmp_le_u32_e32 vcc, s73, v25
	v_add_co_u32_e64 v46, s[0:1], 1, v3
	v_cndmask_b32_e64 v44, 0, -1, vcc
	v_cmp_le_u32_e32 vcc, s72, v24
	v_addc_co_u32_e64 v47, s[0:1], 0, v39, s[0:1]
	v_cndmask_b32_e64 v24, 0, -1, vcc
	v_cmp_eq_u32_e32 vcc, s73, v25
	v_cmp_ne_u32_e64 s[0:1], 0, v42
	v_cndmask_b32_e32 v24, v44, v24, vcc
	v_cmp_ne_u32_e32 vcc, 0, v24
	v_cndmask_b32_e64 v25, v46, v43, s[0:1]
	v_cndmask_b32_e64 v42, v47, v45, s[0:1]
	v_cndmask_b32_e32 v3, v3, v25, vcc
	v_xor_b32_e32 v25, s70, v31
	v_cndmask_b32_e32 v24, v39, v42, vcc
	v_xor_b32_e32 v3, v3, v25
	v_xor_b32_e32 v31, v24, v25
	v_sub_co_u32_e32 v24, vcc, v3, v25
	v_subb_co_u32_e32 v25, vcc, v31, v25, vcc
.LBB11_65:                              ;   in Loop: Header=BB11_3 Depth=1
	s_andn2_saveexec_b64 s[0:1], s[68:69]
	s_cbranch_execz .LBB11_67
; %bb.66:                               ;   in Loop: Header=BB11_3 Depth=1
	v_cvt_f32_u32_e32 v3, s56
	s_sub_i32 s68, 0, s56
	v_rcp_iflag_f32_e32 v3, v3
	v_mul_f32_e32 v3, 0x4f7ffffe, v3
	v_cvt_u32_f32_e32 v3, v3
	v_mul_lo_u32 v24, s68, v3
	v_mul_hi_u32 v24, v3, v24
	v_add_u32_e32 v3, v3, v24
	v_mul_hi_u32 v3, v0, v3
	v_mul_lo_u32 v24, v3, s56
	v_sub_u32_e32 v24, v0, v24
	v_add_u32_e32 v25, 1, v3
	v_subrev_u32_e32 v31, s56, v24
	v_cmp_le_u32_e32 vcc, s56, v24
	v_cndmask_b32_e32 v24, v24, v31, vcc
	v_cndmask_b32_e32 v3, v3, v25, vcc
	v_add_u32_e32 v25, 1, v3
	v_cmp_le_u32_e32 vcc, s56, v24
	v_cndmask_b32_e32 v24, v3, v25, vcc
	v_mov_b32_e32 v25, v2
.LBB11_67:                              ;   in Loop: Header=BB11_3 Depth=1
	s_or_b64 exec, exec, s[0:1]
	s_andn2_b64 vcc, exec, s[62:63]
	v_mov_b32_e32 v39, 0
	v_mov_b32_e32 v46, 0
	;; [unrolled: 1-line block ×8, first 2 shown]
	s_cbranch_vccnz .LBB11_69
; %bb.68:                               ;   in Loop: Header=BB11_3 Depth=1
	v_mad_u64_u32 v[44:45], s[0:1], s77, v6, v[0:1]
	v_mul_lo_u32 v3, s77, v7
	v_mul_lo_u32 v31, s78, v6
	v_add3_u32 v39, v31, v45, v3
	v_mul_lo_u32 v3, v44, s41
	v_mul_lo_u32 v31, v39, s40
	v_mad_u64_u32 v[42:43], s[0:1], v44, s40, 0
	v_add3_u32 v43, v43, v3, v31
	v_lshlrev_b64 v[42:43], 1, v[42:43]
	v_mov_b32_e32 v3, s39
	v_add_co_u32_e32 v42, vcc, s38, v42
	v_addc_co_u32_e32 v43, vcc, v3, v43, vcc
	v_sub_co_u32_e32 v31, vcc, 1, v6
	v_subb_co_u32_e32 v45, vcc, 0, v7, vcc
	v_mul_lo_u32 v45, s8, v45
	v_mul_lo_u32 v48, s9, v31
	v_mad_u64_u32 v[46:47], s[0:1], s8, v31, v[0:1]
	v_add3_u32 v47, v48, v47, v45
	v_mul_lo_u32 v31, v47, s40
	v_mul_lo_u32 v45, v46, s41
	v_mad_u64_u32 v[48:49], s[0:1], v46, s40, 0
	v_add3_u32 v49, v49, v45, v31
	v_lshlrev_b64 v[48:49], 1, v[48:49]
	v_add_co_u32_e32 v48, vcc, s38, v48
	v_addc_co_u32_e32 v49, vcc, v3, v49, vcc
	v_sub_co_u32_e32 v31, vcc, 2, v6
	v_subb_co_u32_e32 v45, vcc, 0, v7, vcc
	v_mul_lo_u32 v45, s8, v45
	v_mul_lo_u32 v52, s9, v31
	v_mad_u64_u32 v[50:51], s[0:1], s8, v31, v[0:1]
	v_add3_u32 v51, v52, v51, v45
	v_mul_lo_u32 v31, v51, s40
	v_mul_lo_u32 v45, v50, s41
	v_mad_u64_u32 v[52:53], s[0:1], v50, s40, 0
	v_add3_u32 v53, v53, v45, v31
	v_lshlrev_b64 v[52:53], 1, v[52:53]
	v_add_co_u32_e32 v52, vcc, s38, v52
	v_addc_co_u32_e32 v53, vcc, v3, v53, vcc
	v_sub_co_u32_e32 v6, vcc, 3, v6
	v_subb_co_u32_e32 v7, vcc, 0, v7, vcc
	v_mul_lo_u32 v31, s8, v7
	v_mul_lo_u32 v45, s9, v6
	v_mad_u64_u32 v[6:7], s[0:1], s8, v6, v[0:1]
	v_add3_u32 v7, v45, v7, v31
	v_mul_lo_u32 v31, v7, s40
	v_mul_lo_u32 v45, v6, s41
	v_mad_u64_u32 v[54:55], s[0:1], v6, s40, 0
	v_add3_u32 v55, v55, v45, v31
	v_lshlrev_b64 v[54:55], 1, v[54:55]
	v_add_co_u32_e32 v54, vcc, s38, v54
	v_addc_co_u32_e32 v55, vcc, v3, v55, vcc
	global_load_ushort v42, v[42:43], off
	s_nop 0
	global_load_ushort v3, v[48:49], off
	global_load_ushort v45, v[52:53], off
	;; [unrolled: 1-line block ×3, first 2 shown]
	v_mul_lo_u32 v43, v44, s45
	v_mul_lo_u32 v39, v39, s44
	v_mad_u64_u32 v[48:49], s[0:1], v44, s44, 0
	v_add3_u32 v49, v49, v43, v39
	v_lshlrev_b64 v[48:49], 1, v[48:49]
	v_mul_lo_u32 v43, v47, s44
	v_mul_lo_u32 v44, v46, s45
	v_mad_u64_u32 v[46:47], s[0:1], v46, s44, 0
	v_mov_b32_e32 v39, s43
	v_add_co_u32_e32 v48, vcc, s42, v48
	v_add3_u32 v47, v47, v44, v43
	v_addc_co_u32_e32 v49, vcc, v39, v49, vcc
	v_lshlrev_b64 v[46:47], 1, v[46:47]
	v_mul_lo_u32 v43, v51, s44
	v_mul_lo_u32 v44, v50, s45
	v_mad_u64_u32 v[50:51], s[0:1], v50, s44, 0
	v_add_co_u32_e32 v46, vcc, s42, v46
	v_add3_u32 v51, v51, v44, v43
	v_addc_co_u32_e32 v47, vcc, v39, v47, vcc
	v_lshlrev_b64 v[50:51], 1, v[50:51]
	v_mul_lo_u32 v43, v7, s44
	v_mul_lo_u32 v44, v6, s45
	v_mad_u64_u32 v[6:7], s[0:1], v6, s44, 0
	v_add_co_u32_e32 v50, vcc, s42, v50
	v_add3_u32 v7, v7, v44, v43
	v_addc_co_u32_e32 v51, vcc, v39, v51, vcc
	v_lshlrev_b64 v[6:7], 1, v[6:7]
	v_add_co_u32_e32 v6, vcc, s42, v6
	v_addc_co_u32_e32 v7, vcc, v39, v7, vcc
	global_load_ushort v44, v[48:49], off
	global_load_ushort v43, v[46:47], off
	s_nop 0
	global_load_ushort v46, v[50:51], off
	global_load_ushort v39, v[6:7], off
.LBB11_69:                              ;   in Loop: Header=BB11_3 Depth=1
	s_waitcnt vmcnt(6)
	v_cvt_f32_f16_e32 v6, v34
	s_waitcnt vmcnt(2)
	v_cvt_f32_f16_e32 v7, v40
	v_cvt_f32_f16_e32 v34, v45
	s_waitcnt vmcnt(1)
	v_cvt_f32_f16_e32 v40, v46
	v_add_f32_e32 v6, v6, v7
	v_add_f32_e32 v6, v6, v34
	;; [unrolled: 1-line block ×3, first 2 shown]
	v_cmp_nlt_f32_e64 s[0:1], |v6|, s85
                                        ; implicit-def: $vgpr7
	s_and_saveexec_b64 s[68:69], s[0:1]
	s_xor_b64 s[0:1], exec, s[68:69]
	s_cbranch_execz .LBB11_71
; %bb.70:                               ;   in Loop: Header=BB11_3 Depth=1
	v_add_f32_e64 v7, |v6|, |v6|
	v_mul_f32_e32 v34, 0x3fb8aa3b, v7
	v_rndne_f32_e32 v40, v34
	v_sub_f32_e32 v45, v34, v40
	v_fma_f32 v34, v7, s86, -v34
	v_fmac_f32_e32 v34, 0x32a5705f, v7
	v_add_f32_e32 v34, v45, v34
	v_cvt_i32_f32_e32 v40, v40
	v_exp_f32_e32 v34, v34
	v_cmp_ngt_f32_e32 vcc, s87, v7
	v_ldexp_f32 v34, v34, v40
	v_cndmask_b32_e32 v34, 0, v34, vcc
	v_cmp_nlt_f32_e32 vcc, s88, v7
	v_cndmask_b32_e32 v7, v30, v34, vcc
	v_add_f32_e32 v7, 1.0, v7
	v_rcp_f32_e32 v7, v7
	v_fma_f32 v7, v7, -2.0, 1.0
.LBB11_71:                              ;   in Loop: Header=BB11_3 Depth=1
	s_andn2_saveexec_b64 s[0:1], s[0:1]
; %bb.72:                               ;   in Loop: Header=BB11_3 Depth=1
	v_mul_f32_e32 v7, v6, v6
	v_mov_b32_e32 v34, 0x3ca908c9
	v_fmac_f32_e32 v34, 0xbbbac73d, v7
	v_fma_f32 v34, v7, v34, v26
	v_fma_f32 v34, v7, v34, v27
	;; [unrolled: 1-line block ×3, first 2 shown]
	v_mul_f32_e64 v34, |v6|, v34
	v_fma_f32 v7, v7, v34, |v6|
; %bb.73:                               ;   in Loop: Header=BB11_3 Depth=1
	s_or_b64 exec, exec, s[0:1]
	v_cvt_f32_f16_e32 v32, v32
	v_cvt_f32_f16_e32 v34, v36
	;; [unrolled: 1-line block ×5, first 2 shown]
	v_add_f32_e32 v32, v32, v34
	v_add_f32_e32 v32, v32, v36
	;; [unrolled: 1-line block ×3, first 2 shown]
	v_mul_f32_e32 v34, 0xbfb8aa3b, v32
	v_fma_f32 v36, v32, s89, -v34
	v_rndne_f32_e32 v40, v34
	v_fmac_f32_e32 v36, 0xb2a5705f, v32
	v_sub_f32_e32 v34, v34, v40
	v_cvt_f32_f16_e32 v37, v37
	v_add_f32_e32 v34, v34, v36
	v_cvt_f32_f16_e32 v3, v3
	v_cvt_i32_f32_e32 v36, v40
	v_exp_f32_e32 v34, v34
	v_cvt_f32_f16_e32 v42, v43
	v_add_f32_e32 v33, v33, v37
	v_add_f32_e32 v3, v33, v3
	v_ldexp_f32 v34, v34, v36
	v_cmp_nlt_f32_e32 vcc, s90, v32
	v_add_f32_e32 v3, v3, v42
	v_cndmask_b32_e32 v34, 0, v34, vcc
	v_cmp_ngt_f32_e32 vcc, s91, v32
	v_mul_f32_e32 v33, 0xbfb8aa3b, v3
	v_cndmask_b32_e32 v32, v30, v34, vcc
	v_fma_f32 v37, v3, s89, -v33
	v_rndne_f32_e32 v42, v33
	v_add_f32_e32 v32, 1.0, v32
	v_fmac_f32_e32 v37, 0xb2a5705f, v3
	v_sub_f32_e32 v33, v33, v42
	v_div_scale_f32 v34, s[0:1], v32, v32, 1.0
	v_add_f32_e32 v33, v33, v37
	v_rcp_f32_e32 v36, v34
	v_exp_f32_e32 v33, v33
	v_cvt_i32_f32_e32 v37, v42
	v_cmp_nlt_f32_e64 s[0:1], s90, v3
	v_fma_f32 v40, -v34, v36, 1.0
	v_fmac_f32_e32 v36, v40, v36
	v_ldexp_f32 v33, v33, v37
	v_div_scale_f32 v40, vcc, 1.0, v32, 1.0
	v_cndmask_b32_e64 v33, 0, v33, s[0:1]
	v_cmp_ngt_f32_e64 s[0:1], s91, v3
	v_mul_f32_e32 v43, v40, v36
	v_cndmask_b32_e64 v3, v30, v33, s[0:1]
	v_fma_f32 v42, -v34, v43, v40
	v_add_f32_e32 v33, 1.0, v3
	v_fmac_f32_e32 v43, v42, v36
	v_div_scale_f32 v37, s[0:1], v33, v33, 1.0
	v_fma_f32 v34, -v34, v43, v40
	v_rcp_f32_e32 v40, v37
	v_div_fmas_f32 v3, v34, v36, v43
	v_div_fixup_f32 v3, v3, v32, 1.0
	v_fma_f32 v32, -v37, v40, 1.0
	v_fmac_f32_e32 v40, v32, v40
	v_div_scale_f32 v32, vcc, 1.0, v33, 1.0
	v_mul_f32_e32 v34, v32, v40
	v_fma_f32 v36, -v37, v34, v32
	v_fmac_f32_e32 v34, v36, v40
	v_fma_f32 v32, -v37, v34, v32
	v_div_fmas_f32 v32, v32, v40, v34
	v_div_fixup_f32 v33, v32, v33, 1.0
	v_bfi_b32 v32, s92, v7, v6
	v_mul_f32_e32 v6, v3, v32
	s_waitcnt vmcnt(0)
	v_fma_mix_f32 v34, v33, v38, v6 op_sel_hi:[0,1,0]
	v_cmp_nlt_f32_e64 s[0:1], |v34|, s85
                                        ; implicit-def: $vgpr36
	s_and_saveexec_b64 s[68:69], s[0:1]
	s_xor_b64 s[0:1], exec, s[68:69]
	s_cbranch_execz .LBB11_75
; %bb.74:                               ;   in Loop: Header=BB11_3 Depth=1
	v_add_f32_e64 v6, |v34|, |v34|
	v_mul_f32_e32 v7, 0x3fb8aa3b, v6
	v_rndne_f32_e32 v36, v7
	v_sub_f32_e32 v37, v7, v36
	v_fma_f32 v7, v6, s86, -v7
	v_fmac_f32_e32 v7, 0x32a5705f, v6
	v_add_f32_e32 v7, v37, v7
	v_cvt_i32_f32_e32 v36, v36
	v_exp_f32_e32 v7, v7
	v_cmp_ngt_f32_e32 vcc, s87, v6
	v_ldexp_f32 v7, v7, v36
	v_cndmask_b32_e32 v7, 0, v7, vcc
	v_cmp_nlt_f32_e32 vcc, s88, v6
	v_cndmask_b32_e32 v6, v30, v7, vcc
	v_add_f32_e32 v6, 1.0, v6
	v_rcp_f32_e32 v6, v6
	v_fma_f32 v36, v6, -2.0, 1.0
.LBB11_75:                              ;   in Loop: Header=BB11_3 Depth=1
	s_andn2_saveexec_b64 s[0:1], s[0:1]
	s_cbranch_execz .LBB11_2
; %bb.76:                               ;   in Loop: Header=BB11_3 Depth=1
	v_mul_f32_e32 v6, v34, v34
	v_mov_b32_e32 v7, 0x3ca908c9
	v_fmac_f32_e32 v7, 0xbbbac73d, v6
	v_fma_f32 v7, v6, v7, v26
	v_fma_f32 v7, v6, v7, v27
	;; [unrolled: 1-line block ×3, first 2 shown]
	v_mul_f32_e64 v7, |v34|, v7
	v_fma_f32 v36, v6, v7, |v34|
	s_branch .LBB11_2
.LBB11_77:
	s_endpgm
	.section	.rodata,"a",@progbits
	.p2align	6, 0x0
	.amdhsa_kernel _ZN2at6native12_GLOBAL__N_16kernel17lstm_cell_forwardIN3c104HalfEflLi2EEEvNS_4cuda6detail10TensorInfoIT_T1_EESB_SB_SB_SB_SB_SB_SB_SA_SA_
		.amdhsa_group_segment_fixed_size 0
		.amdhsa_private_segment_fixed_size 0
		.amdhsa_kernarg_size 3600
		.amdhsa_user_sgpr_count 6
		.amdhsa_user_sgpr_private_segment_buffer 1
		.amdhsa_user_sgpr_dispatch_ptr 0
		.amdhsa_user_sgpr_queue_ptr 0
		.amdhsa_user_sgpr_kernarg_segment_ptr 1
		.amdhsa_user_sgpr_dispatch_id 0
		.amdhsa_user_sgpr_flat_scratch_init 0
		.amdhsa_user_sgpr_kernarg_preload_length 0
		.amdhsa_user_sgpr_kernarg_preload_offset 0
		.amdhsa_user_sgpr_private_segment_size 0
		.amdhsa_uses_dynamic_stack 0
		.amdhsa_system_sgpr_private_segment_wavefront_offset 0
		.amdhsa_system_sgpr_workgroup_id_x 1
		.amdhsa_system_sgpr_workgroup_id_y 0
		.amdhsa_system_sgpr_workgroup_id_z 0
		.amdhsa_system_sgpr_workgroup_info 0
		.amdhsa_system_vgpr_workitem_id 0
		.amdhsa_next_free_vgpr 56
		.amdhsa_next_free_sgpr 93
		.amdhsa_accum_offset 56
		.amdhsa_reserve_vcc 1
		.amdhsa_reserve_flat_scratch 0
		.amdhsa_float_round_mode_32 0
		.amdhsa_float_round_mode_16_64 0
		.amdhsa_float_denorm_mode_32 3
		.amdhsa_float_denorm_mode_16_64 3
		.amdhsa_dx10_clamp 1
		.amdhsa_ieee_mode 1
		.amdhsa_fp16_overflow 0
		.amdhsa_tg_split 0
		.amdhsa_exception_fp_ieee_invalid_op 0
		.amdhsa_exception_fp_denorm_src 0
		.amdhsa_exception_fp_ieee_div_zero 0
		.amdhsa_exception_fp_ieee_overflow 0
		.amdhsa_exception_fp_ieee_underflow 0
		.amdhsa_exception_fp_ieee_inexact 0
		.amdhsa_exception_int_div_zero 0
	.end_amdhsa_kernel
	.section	.text._ZN2at6native12_GLOBAL__N_16kernel17lstm_cell_forwardIN3c104HalfEflLi2EEEvNS_4cuda6detail10TensorInfoIT_T1_EESB_SB_SB_SB_SB_SB_SB_SA_SA_,"axG",@progbits,_ZN2at6native12_GLOBAL__N_16kernel17lstm_cell_forwardIN3c104HalfEflLi2EEEvNS_4cuda6detail10TensorInfoIT_T1_EESB_SB_SB_SB_SB_SB_SB_SA_SA_,comdat
.Lfunc_end11:
	.size	_ZN2at6native12_GLOBAL__N_16kernel17lstm_cell_forwardIN3c104HalfEflLi2EEEvNS_4cuda6detail10TensorInfoIT_T1_EESB_SB_SB_SB_SB_SB_SB_SA_SA_, .Lfunc_end11-_ZN2at6native12_GLOBAL__N_16kernel17lstm_cell_forwardIN3c104HalfEflLi2EEEvNS_4cuda6detail10TensorInfoIT_T1_EESB_SB_SB_SB_SB_SB_SB_SA_SA_
                                        ; -- End function
	.section	.AMDGPU.csdata,"",@progbits
; Kernel info:
; codeLenInByte = 17376
; NumSgprs: 97
; NumVgprs: 56
; NumAgprs: 0
; TotalNumVgprs: 56
; ScratchSize: 0
; MemoryBound: 0
; FloatMode: 240
; IeeeMode: 1
; LDSByteSize: 0 bytes/workgroup (compile time only)
; SGPRBlocks: 12
; VGPRBlocks: 6
; NumSGPRsForWavesPerEU: 97
; NumVGPRsForWavesPerEU: 56
; AccumOffset: 56
; Occupancy: 8
; WaveLimiterHint : 1
; COMPUTE_PGM_RSRC2:SCRATCH_EN: 0
; COMPUTE_PGM_RSRC2:USER_SGPR: 6
; COMPUTE_PGM_RSRC2:TRAP_HANDLER: 0
; COMPUTE_PGM_RSRC2:TGID_X_EN: 1
; COMPUTE_PGM_RSRC2:TGID_Y_EN: 0
; COMPUTE_PGM_RSRC2:TGID_Z_EN: 0
; COMPUTE_PGM_RSRC2:TIDIG_COMP_CNT: 0
; COMPUTE_PGM_RSRC3_GFX90A:ACCUM_OFFSET: 13
; COMPUTE_PGM_RSRC3_GFX90A:TG_SPLIT: 0
	.section	.text._ZN2at6native12_GLOBAL__N_16kernel17lstm_cell_forwardIN3c108BFloat16EfiLi1EEEvNS_4cuda6detail10TensorInfoIT_T1_EESB_SB_SB_SB_SB_SB_SB_SA_SA_,"axG",@progbits,_ZN2at6native12_GLOBAL__N_16kernel17lstm_cell_forwardIN3c108BFloat16EfiLi1EEEvNS_4cuda6detail10TensorInfoIT_T1_EESB_SB_SB_SB_SB_SB_SB_SA_SA_,comdat
	.globl	_ZN2at6native12_GLOBAL__N_16kernel17lstm_cell_forwardIN3c108BFloat16EfiLi1EEEvNS_4cuda6detail10TensorInfoIT_T1_EESB_SB_SB_SB_SB_SB_SB_SA_SA_ ; -- Begin function _ZN2at6native12_GLOBAL__N_16kernel17lstm_cell_forwardIN3c108BFloat16EfiLi1EEEvNS_4cuda6detail10TensorInfoIT_T1_EESB_SB_SB_SB_SB_SB_SB_SA_SA_
	.p2align	8
	.type	_ZN2at6native12_GLOBAL__N_16kernel17lstm_cell_forwardIN3c108BFloat16EfiLi1EEEvNS_4cuda6detail10TensorInfoIT_T1_EESB_SB_SB_SB_SB_SB_SB_SA_SA_,@function
_ZN2at6native12_GLOBAL__N_16kernel17lstm_cell_forwardIN3c108BFloat16EfiLi1EEEvNS_4cuda6detail10TensorInfoIT_T1_EESB_SB_SB_SB_SB_SB_SB_SA_SA_: ; @_ZN2at6native12_GLOBAL__N_16kernel17lstm_cell_forwardIN3c108BFloat16EfiLi1EEEvNS_4cuda6detail10TensorInfoIT_T1_EESB_SB_SB_SB_SB_SB_SB_SA_SA_
; %bb.0:
	s_load_dword s7, s[4:5], 0x6d4
	s_load_dwordx2 s[2:3], s[4:5], 0x6c0
	s_add_u32 s0, s4, 0x6c8
	s_addc_u32 s1, s5, 0
	s_waitcnt lgkmcnt(0)
	s_and_b32 s22, s7, 0xffff
	s_mul_i32 s6, s6, s22
	v_add_u32_e32 v0, s6, v0
	v_cmp_gt_i32_e32 vcc, s3, v0
	s_and_saveexec_b64 s[6:7], vcc
	s_cbranch_execz .LBB12_13
; %bb.1:
	s_load_dwordx2 s[6:7], s[4:5], 0x1b0
	s_load_dwordx2 s[8:9], s[4:5], 0x0
	s_load_dword s24, s[4:5], 0x6c
	s_load_dwordx2 s[10:11], s[4:5], 0xd8
	s_load_dword s25, s[4:5], 0x144
	s_load_dword s26, s[4:5], 0x21c
	s_load_dwordx2 s[12:13], s[4:5], 0x288
	s_load_dword s27, s[4:5], 0x2f4
	s_waitcnt lgkmcnt(0)
	s_cmp_lg_u64 s[6:7], 0
	s_cselect_b64 s[38:39], -1, 0
	s_abs_i32 s28, s2
	v_cvt_f32_u32_e32 v1, s28
	s_load_dwordx2 s[14:15], s[4:5], 0x360
	s_load_dword s23, s[4:5], 0x3cc
	s_load_dwordx2 s[16:17], s[4:5], 0x438
	s_load_dword s36, s[4:5], 0x4a4
	s_load_dword s30, s[0:1], 0x0
	s_load_dwordx2 s[18:19], s[4:5], 0x510
	s_nop 0
	s_load_dword s0, s[4:5], 0x57c
	s_load_dwordx2 s[20:21], s[4:5], 0x5e8
	s_load_dword s29, s[4:5], 0x654
	s_sub_i32 s1, 0, s28
	v_rcp_iflag_f32_e32 v1, v1
	v_cndmask_b32_e64 v3, 0, 1, s[38:39]
	s_waitcnt lgkmcnt(0)
	s_mul_i32 s30, s30, s22
	s_mov_b64 s[4:5], 0
	v_mul_f32_e32 v1, 0x4f7ffffe, v1
	v_cvt_u32_f32_e32 v1, v1
	s_ashr_i32 s31, s2, 31
	s_mul_i32 s33, s2, 3
	s_sub_i32 s34, 0, s2
	v_mul_lo_u32 v2, s1, v1
	v_mul_hi_u32 v2, v1, v2
	v_add_u32_e32 v1, v1, v2
	v_mul_lo_u32 v2, v0, s23
	s_mul_i32 s35, s30, s23
	v_mul_lo_u32 v4, v0, s36
	s_mul_i32 s36, s30, s36
	;; [unrolled: 2-line block ×3, first 2 shown]
	v_mov_b32_e32 v20, s9
	v_mov_b32_e32 v21, s11
	;; [unrolled: 1-line block ×3, first 2 shown]
	v_cmp_ne_u32_e64 s[0:1], 1, v3
	s_mov_b32 s9, 0x5040100
	s_mov_b32 s11, 0x3f200000
	;; [unrolled: 1-line block ×5, first 2 shown]
	v_mov_b32_e32 v23, 0xbd5c1c4e
	v_mov_b32_e32 v24, 0x3e088382
	;; [unrolled: 1-line block ×3, first 2 shown]
	s_mov_b32 s40, 0xbfb8aa3b
	s_mov_b32 s41, 0x42ce8ed0
	;; [unrolled: 1-line block ×3, first 2 shown]
	s_brev_b32 s43, -2
	s_movk_i32 s44, 0x7fff
	v_mov_b32_e32 v26, 0x7f800000
	v_mov_b32_e32 v27, 0x7fc0
	s_branch .LBB12_3
.LBB12_2:                               ;   in Loop: Header=BB12_3 Depth=1
	s_or_b64 exec, exec, s[22:23]
	v_lshlrev_b32_e32 v7, 16, v7
	v_lshlrev_b32_e32 v9, 16, v9
	v_add_f32_e32 v7, v7, v9
	v_lshlrev_b32_e32 v3, 16, v3
	v_add_f32_e32 v3, v7, v3
	;; [unrolled: 2-line block ×3, first 2 shown]
	v_mul_f32_e32 v7, 0xbfb8aa3b, v3
	v_fma_f32 v9, v3, s40, -v7
	v_rndne_f32_e32 v13, v7
	v_fmac_f32_e32 v9, 0xb2a5705f, v3
	v_sub_f32_e32 v7, v7, v13
	v_add_f32_e32 v7, v7, v9
	v_exp_f32_e32 v7, v7
	v_cvt_i32_f32_e32 v9, v13
	v_cmp_nlt_f32_e32 vcc, s41, v3
	v_mul_lo_u32 v8, v8, s29
	v_mul_lo_u32 v28, v5, s29
	v_ldexp_f32 v7, v7, v9
	v_cndmask_b32_e32 v7, 0, v7, vcc
	v_cmp_ngt_f32_e32 vcc, s42, v3
	v_cndmask_b32_e32 v3, v26, v7, vcc
	v_add_f32_e32 v3, 1.0, v3
	v_div_scale_f32 v7, s[22:23], v3, v3, 1.0
	v_rcp_f32_e32 v9, v7
	v_ashrrev_i32_e32 v29, 31, v28
	v_lshlrev_b64 v[28:29], 1, v[28:29]
	v_mul_lo_u32 v30, v10, s29
	v_fma_f32 v13, -v7, v9, 1.0
	v_fmac_f32_e32 v9, v13, v9
	v_div_scale_f32 v13, vcc, 1.0, v3, 1.0
	v_mul_f32_e32 v16, v13, v9
	v_fma_f32 v19, -v7, v16, v13
	v_fmac_f32_e32 v16, v19, v9
	v_fma_f32 v7, -v7, v16, v13
	v_div_fmas_f32 v7, v7, v9, v16
	v_ashrrev_i32_e32 v9, 31, v8
	v_lshlrev_b64 v[8:9], 1, v[8:9]
	v_div_fixup_f32 v3, v7, v3, 1.0
	v_mov_b32_e32 v7, s21
	v_add_co_u32_e32 v8, vcc, s20, v8
	v_addc_co_u32_e32 v9, vcc, v7, v9, vcc
	v_add_co_u32_e32 v28, vcc, s20, v28
	v_ashrrev_i32_e32 v31, 31, v30
	v_addc_co_u32_e32 v29, vcc, v7, v29, vcc
	v_lshlrev_b64 v[30:31], 1, v[30:31]
	v_mul_lo_u32 v12, v12, s29
	v_add_co_u32_e32 v30, vcc, s20, v30
	v_ashrrev_i32_e32 v13, 31, v12
	v_addc_co_u32_e32 v31, vcc, v7, v31, vcc
	v_lshlrev_b64 v[12:13], 1, v[12:13]
	v_add_co_u32_e32 v12, vcc, s20, v12
	v_ashrrev_i32_e32 v5, 31, v4
	v_addc_co_u32_e32 v13, vcc, v7, v13, vcc
	v_lshlrev_b64 v[32:33], 1, v[4:5]
	v_mov_b32_e32 v5, s17
	v_add_co_u32_e32 v32, vcc, s16, v32
	v_ashrrev_i32_e32 v7, 31, v6
	v_addc_co_u32_e32 v33, vcc, v5, v33, vcc
	v_lshlrev_b64 v[34:35], 1, v[6:7]
	v_mov_b32_e32 v5, s19
	v_add_co_u32_e32 v34, vcc, s18, v34
	v_addc_co_u32_e32 v35, vcc, v5, v35, vcc
	v_bfi_b32 v5, s43, v11, v18
	v_mul_f32_e32 v5, v3, v5
	v_bfe_u32 v7, v5, 16, 1
	v_add3_u32 v7, v5, v7, s44
	v_lshrrev_b32_e32 v7, 16, v7
	v_cmp_o_f32_e32 vcc, v5, v5
	v_cndmask_b32_e32 v5, v27, v7, vcc
	global_store_short v[32:33], v5, off
	v_bfe_u32 v5, v18, 16, 1
	v_add3_u32 v5, v18, v5, s44
	v_lshrrev_b32_e32 v5, 16, v5
	v_cmp_o_f32_e32 vcc, v18, v18
	v_cndmask_b32_e32 v5, v27, v5, vcc
	global_store_short v[34:35], v5, off
	;; [unrolled: 6-line block ×5, first 2 shown]
	v_bfe_u32 v5, v3, 16, 1
	v_add3_u32 v5, v3, v5, s44
	v_lshrrev_b32_e32 v5, 16, v5
	v_cmp_o_f32_e32 vcc, v3, v3
	v_add_u32_e32 v0, s30, v0
	v_cndmask_b32_e32 v3, v27, v5, vcc
	v_cmp_le_i32_e32 vcc, s3, v0
	v_add_u32_e32 v2, s35, v2
	v_add_u32_e32 v4, s36, v4
	s_or_b64 s[4:5], vcc, s[4:5]
	v_add_u32_e32 v6, s37, v6
	global_store_short v[12:13], v3, off
	s_andn2_b64 exec, exec, s[4:5]
	s_cbranch_execz .LBB12_13
.LBB12_3:                               ; =>This Inner Loop Header: Depth=1
	v_ashrrev_i32_e32 v3, 31, v0
	v_xor_b32_e32 v18, s31, v3
	v_sub_u32_e32 v3, 0, v0
	v_max_i32_e32 v3, v0, v3
	v_mul_hi_u32 v5, v3, v1
	v_mul_lo_u32 v7, v5, s28
	v_sub_u32_e32 v3, v3, v7
	v_add_u32_e32 v7, 1, v5
	v_cmp_le_u32_e32 vcc, s28, v3
	v_cndmask_b32_e32 v5, v5, v7, vcc
	v_subrev_u32_e32 v7, s28, v3
	v_cndmask_b32_e32 v3, v3, v7, vcc
	v_add_u32_e32 v7, 1, v5
	v_cmp_le_u32_e32 vcc, s28, v3
	v_cndmask_b32_e32 v3, v5, v7, vcc
	v_xor_b32_e32 v29, v3, v18
	v_sub_u32_e32 v30, v29, v18
	v_mad_u64_u32 v[8:9], s[22:23], s33, v30, v[0:1]
	v_lshl_add_u32 v3, v29, 1, v29
	v_mul_i32_i24_e32 v5, 3, v18
	v_mul_lo_u32 v10, v8, s24
	v_sub_u32_e32 v3, v3, v5
	v_ashrrev_i32_e32 v11, 31, v10
	v_mul_lo_u32 v5, s2, v3
	v_lshlrev_b64 v[10:11], 1, v[10:11]
	v_add3_u32 v5, v5, s2, v0
	v_add_co_u32_e32 v32, vcc, s8, v10
	v_mul_lo_u32 v10, v5, s24
	v_addc_co_u32_e32 v33, vcc, v20, v11, vcc
	v_ashrrev_i32_e32 v11, 31, v10
	v_lshlrev_b64 v[10:11], 1, v[10:11]
	v_add_co_u32_e32 v34, vcc, s8, v10
	v_add_u32_e32 v7, 2, v3
	v_addc_co_u32_e32 v35, vcc, v20, v11, vcc
	v_mad_u64_u32 v[10:11], s[22:23], s2, v7, v[0:1]
	v_mul_lo_u32 v12, v10, s24
	v_ashrrev_i32_e32 v13, 31, v12
	v_lshlrev_b64 v[12:13], 1, v[12:13]
	v_add_co_u32_e32 v36, vcc, s8, v12
	v_add_u32_e32 v3, 3, v3
	v_addc_co_u32_e32 v37, vcc, v20, v13, vcc
	v_mad_u64_u32 v[12:13], s[22:23], s2, v3, v[0:1]
	v_mul_lo_u32 v14, v12, s24
	v_ashrrev_i32_e32 v15, 31, v14
	v_lshlrev_b64 v[14:15], 1, v[14:15]
	v_add_co_u32_e32 v38, vcc, s8, v14
	v_addc_co_u32_e32 v39, vcc, v20, v15, vcc
	global_load_ushort v13, v[32:33], off
	global_load_ushort v14, v[34:35], off
	;; [unrolled: 1-line block ×4, first 2 shown]
	v_mul_lo_u32 v32, v8, s25
	v_ashrrev_i32_e32 v33, 31, v32
	v_lshlrev_b64 v[32:33], 1, v[32:33]
	v_mul_lo_u32 v34, v5, s25
	v_add_co_u32_e32 v32, vcc, s10, v32
	v_ashrrev_i32_e32 v35, 31, v34
	v_addc_co_u32_e32 v33, vcc, v21, v33, vcc
	v_lshlrev_b64 v[34:35], 1, v[34:35]
	v_mul_lo_u32 v36, v10, s25
	v_add_co_u32_e32 v34, vcc, s10, v34
	v_ashrrev_i32_e32 v37, 31, v36
	v_addc_co_u32_e32 v35, vcc, v21, v35, vcc
	;; [unrolled: 5-line block ×3, first 2 shown]
	v_lshlrev_b64 v[38:39], 1, v[38:39]
	v_add_co_u32_e32 v38, vcc, s10, v38
	v_ashrrev_i32_e32 v3, 31, v2
	v_addc_co_u32_e32 v39, vcc, v21, v39, vcc
	global_load_ushort v15, v[32:33], off
	global_load_ushort v16, v[34:35], off
	;; [unrolled: 1-line block ×4, first 2 shown]
	v_lshlrev_b64 v[32:33], 1, v[2:3]
	v_add_co_u32_e32 v32, vcc, s14, v32
	v_addc_co_u32_e32 v33, vcc, v22, v33, vcc
	global_load_ushort v11, v[32:33], off
	s_and_b64 vcc, exec, s[0:1]
	v_mov_b32_e32 v28, 0
	v_mov_b32_e32 v31, 0
	;; [unrolled: 1-line block ×6, first 2 shown]
	s_cbranch_vccnz .LBB12_5
; %bb.4:                                ;   in Loop: Header=BB12_3 Depth=1
	v_mad_u64_u32 v[30:31], s[22:23], s34, v30, v[0:1]
	v_mul_lo_u32 v32, v30, s26
	v_sub_u32_e32 v18, v18, v29
	v_ashrrev_i32_e32 v33, 31, v32
	v_mul_lo_u32 v28, s2, v18
	v_lshlrev_b64 v[32:33], 1, v[32:33]
	v_add3_u32 v42, v28, s2, v0
	v_mov_b32_e32 v3, s7
	v_add_co_u32_e32 v34, vcc, s6, v32
	v_mul_lo_u32 v28, v42, s26
	v_add_u32_e32 v31, 2, v18
	v_addc_co_u32_e32 v35, vcc, v3, v33, vcc
	v_ashrrev_i32_e32 v29, 31, v28
	v_mad_u64_u32 v[32:33], s[22:23], s2, v31, v[0:1]
	v_lshlrev_b64 v[28:29], 1, v[28:29]
	v_mul_lo_u32 v36, v32, s26
	v_add_u32_e32 v18, 3, v18
	v_add_co_u32_e32 v28, vcc, s6, v28
	v_ashrrev_i32_e32 v37, 31, v36
	v_mad_u64_u32 v[38:39], s[22:23], s2, v18, v[0:1]
	v_addc_co_u32_e32 v29, vcc, v3, v29, vcc
	v_lshlrev_b64 v[36:37], 1, v[36:37]
	v_mul_lo_u32 v40, v38, s26
	v_add_co_u32_e32 v36, vcc, s6, v36
	v_ashrrev_i32_e32 v41, 31, v40
	v_addc_co_u32_e32 v37, vcc, v3, v37, vcc
	v_lshlrev_b64 v[40:41], 1, v[40:41]
	v_add_co_u32_e32 v40, vcc, s6, v40
	v_addc_co_u32_e32 v41, vcc, v3, v41, vcc
	global_load_ushort v18, v[34:35], off
	global_load_ushort v43, v[28:29], off
	global_load_ushort v33, v[36:37], off
	global_load_ushort v3, v[40:41], off
	v_mul_lo_u32 v28, v30, s27
	v_ashrrev_i32_e32 v29, 31, v28
	v_lshlrev_b64 v[28:29], 1, v[28:29]
	v_mov_b32_e32 v34, s13
	v_add_co_u32_e32 v30, vcc, s12, v28
	v_mul_lo_u32 v28, v42, s27
	v_addc_co_u32_e32 v31, vcc, v34, v29, vcc
	v_ashrrev_i32_e32 v29, 31, v28
	v_lshlrev_b64 v[28:29], 1, v[28:29]
	v_add_co_u32_e32 v36, vcc, s12, v28
	v_mul_lo_u32 v28, v32, s27
	v_addc_co_u32_e32 v37, vcc, v34, v29, vcc
	v_ashrrev_i32_e32 v29, 31, v28
	v_lshlrev_b64 v[28:29], 1, v[28:29]
	;; [unrolled: 5-line block ×3, first 2 shown]
	v_add_co_u32_e32 v38, vcc, s12, v28
	v_addc_co_u32_e32 v39, vcc, v34, v29, vcc
	global_load_ushort v29, v[30:31], off
	global_load_ushort v32, v[36:37], off
	;; [unrolled: 1-line block ×4, first 2 shown]
	s_waitcnt vmcnt(6)
	v_perm_b32 v31, v18, v43, s9
	s_waitcnt vmcnt(2)
	v_perm_b32 v32, v29, v32, s9
.LBB12_5:                               ;   in Loop: Header=BB12_3 Depth=1
	s_waitcnt vmcnt(6)
	v_lshlrev_b32_e32 v17, 16, v17
	s_waitcnt vmcnt(2)
	v_lshlrev_b32_e32 v18, 16, v19
	v_add_f32_e32 v17, v18, v17
	v_lshlrev_b32_e32 v18, 16, v33
	v_add_f32_e32 v17, v17, v18
	s_waitcnt vmcnt(1)
	v_lshlrev_b32_e32 v18, 16, v34
	v_add_f32_e32 v17, v17, v18
	v_cmp_nlt_f32_e64 s[22:23], |v17|, s11
                                        ; implicit-def: $vgpr18
	s_and_saveexec_b64 s[46:47], s[22:23]
	s_xor_b64 s[22:23], exec, s[46:47]
	s_cbranch_execz .LBB12_7
; %bb.6:                                ;   in Loop: Header=BB12_3 Depth=1
	v_add_f32_e64 v18, |v17|, |v17|
	v_mul_f32_e32 v19, 0x3fb8aa3b, v18
	v_rndne_f32_e32 v29, v19
	v_sub_f32_e32 v30, v19, v29
	v_fma_f32 v19, v18, s15, -v19
	v_fmac_f32_e32 v19, 0x32a5705f, v18
	v_add_f32_e32 v19, v30, v19
	v_cvt_i32_f32_e32 v29, v29
	v_exp_f32_e32 v19, v19
	v_cmp_ngt_f32_e32 vcc, s38, v18
	v_ldexp_f32 v19, v19, v29
	v_cndmask_b32_e32 v19, 0, v19, vcc
	v_cmp_nlt_f32_e32 vcc, s39, v18
	v_cndmask_b32_e32 v18, v26, v19, vcc
	v_add_f32_e32 v18, 1.0, v18
	v_rcp_f32_e32 v18, v18
	v_fma_f32 v18, v18, -2.0, 1.0
.LBB12_7:                               ;   in Loop: Header=BB12_3 Depth=1
	s_andn2_saveexec_b64 s[22:23], s[22:23]
; %bb.8:                                ;   in Loop: Header=BB12_3 Depth=1
	v_mul_f32_e32 v18, v17, v17
	v_mov_b32_e32 v19, 0x3ca908c9
	v_fmac_f32_e32 v19, 0xbbbac73d, v18
	v_fma_f32 v19, v18, v19, v23
	v_fma_f32 v19, v18, v19, v24
	;; [unrolled: 1-line block ×3, first 2 shown]
	v_mul_f32_e64 v19, |v17|, v19
	v_fma_f32 v18, v18, v19, |v17|
; %bb.9:                                ;   in Loop: Header=BB12_3 Depth=1
	s_or_b64 exec, exec, s[22:23]
	v_lshlrev_b32_e32 v35, 16, v13
	v_lshlrev_b32_e32 v34, 16, v14
	;; [unrolled: 1-line block ×4, first 2 shown]
	v_pk_add_f32 v[14:15], v[34:35], v[14:15]
	v_and_b32_e32 v35, 0xffff0000, v31
	v_lshlrev_b32_e32 v34, 16, v31
	v_pk_add_f32 v[14:15], v[14:15], v[34:35]
	v_and_b32_e32 v31, 0xffff0000, v32
	v_lshlrev_b32_e32 v30, 16, v32
	v_pk_add_f32 v[14:15], v[14:15], v[30:31]
	v_mul_f32_e32 v13, 0xbfb8aa3b, v15
	v_fma_f32 v16, v15, s40, -v13
	v_rndne_f32_e32 v19, v13
	v_fmac_f32_e32 v16, 0xb2a5705f, v15
	v_sub_f32_e32 v13, v13, v19
	v_add_f32_e32 v13, v13, v16
	v_exp_f32_e32 v13, v13
	v_cvt_i32_f32_e32 v16, v19
	v_cmp_nlt_f32_e32 vcc, s41, v15
	v_bfi_b32 v17, s43, v18, v17
	v_ldexp_f32 v13, v13, v16
	v_mul_f32_e32 v16, 0xbfb8aa3b, v14
	v_fma_f32 v19, v14, s40, -v16
	v_rndne_f32_e32 v29, v16
	v_fmac_f32_e32 v19, 0xb2a5705f, v14
	v_sub_f32_e32 v16, v16, v29
	v_add_f32_e32 v16, v16, v19
	v_exp_f32_e32 v16, v16
	v_cvt_i32_f32_e32 v19, v29
	v_cndmask_b32_e32 v13, 0, v13, vcc
	v_cmp_ngt_f32_e32 vcc, s42, v15
	v_cndmask_b32_e32 v15, v26, v13, vcc
	v_ldexp_f32 v13, v16, v19
	v_cmp_nlt_f32_e32 vcc, s41, v14
	v_cndmask_b32_e32 v13, 0, v13, vcc
	v_cmp_ngt_f32_e32 vcc, s42, v14
	v_cndmask_b32_e32 v14, v26, v13, vcc
	v_pk_add_f32 v[14:15], v[14:15], 1.0 op_sel_hi:[1,0]
	v_div_scale_f32 v13, s[22:23], v15, v15, 1.0
	v_rcp_f32_e32 v16, v13
	v_fma_f32 v19, -v13, v16, 1.0
	v_fmac_f32_e32 v16, v19, v16
	v_div_scale_f32 v19, vcc, 1.0, v15, 1.0
	v_mul_f32_e32 v29, v19, v16
	v_fma_f32 v30, -v13, v29, v19
	v_fmac_f32_e32 v29, v30, v16
	v_fma_f32 v13, -v13, v29, v19
	v_div_scale_f32 v19, s[22:23], v14, v14, 1.0
	v_rcp_f32_e32 v30, v19
	v_div_fmas_f32 v13, v13, v16, v29
	v_div_fixup_f32 v15, v13, v15, 1.0
	v_fma_f32 v13, -v19, v30, 1.0
	v_fmac_f32_e32 v30, v13, v30
	v_div_scale_f32 v13, vcc, 1.0, v14, 1.0
	v_mul_f32_e32 v16, v13, v30
	v_fma_f32 v29, -v19, v16, v13
	v_fmac_f32_e32 v16, v29, v30
	v_fma_f32 v13, -v19, v16, v13
	v_div_fmas_f32 v13, v13, v30, v16
	v_div_fixup_f32 v14, v13, v14, 1.0
	s_waitcnt vmcnt(0)
	v_lshlrev_b32_e32 v16, 16, v11
	v_pk_mul_f32 v[18:19], v[14:15], v[16:17]
	v_mov_b32_e32 v18, v19
	v_pk_fma_f32 v[18:19], v[14:15], v[16:17], v[18:19]
	v_cmp_nlt_f32_e64 s[22:23], |v18|, s11
                                        ; implicit-def: $vgpr11
	s_and_saveexec_b64 s[46:47], s[22:23]
	s_xor_b64 s[22:23], exec, s[46:47]
	s_cbranch_execz .LBB12_11
; %bb.10:                               ;   in Loop: Header=BB12_3 Depth=1
	v_add_f32_e64 v11, |v18|, |v18|
	v_mul_f32_e32 v13, 0x3fb8aa3b, v11
	v_rndne_f32_e32 v16, v13
	v_sub_f32_e32 v19, v13, v16
	v_fma_f32 v13, v11, s15, -v13
	v_fmac_f32_e32 v13, 0x32a5705f, v11
	v_add_f32_e32 v13, v19, v13
	v_cvt_i32_f32_e32 v16, v16
	v_exp_f32_e32 v13, v13
	v_cmp_ngt_f32_e32 vcc, s38, v11
	v_ldexp_f32 v13, v13, v16
	v_cndmask_b32_e32 v13, 0, v13, vcc
	v_cmp_nlt_f32_e32 vcc, s39, v11
	v_cndmask_b32_e32 v11, v26, v13, vcc
	v_add_f32_e32 v11, 1.0, v11
	v_rcp_f32_e32 v11, v11
	v_fma_f32 v11, v11, -2.0, 1.0
.LBB12_11:                              ;   in Loop: Header=BB12_3 Depth=1
	s_andn2_saveexec_b64 s[22:23], s[22:23]
	s_cbranch_execz .LBB12_2
; %bb.12:                               ;   in Loop: Header=BB12_3 Depth=1
	v_mul_f32_e32 v11, v18, v18
	v_mov_b32_e32 v13, 0x3ca908c9
	v_fmac_f32_e32 v13, 0xbbbac73d, v11
	v_fma_f32 v13, v11, v13, v23
	v_fma_f32 v13, v11, v13, v24
	;; [unrolled: 1-line block ×3, first 2 shown]
	v_mul_f32_e64 v13, |v18|, v13
	v_fma_f32 v11, v11, v13, |v18|
	s_branch .LBB12_2
.LBB12_13:
	s_endpgm
	.section	.rodata,"a",@progbits
	.p2align	6, 0x0
	.amdhsa_kernel _ZN2at6native12_GLOBAL__N_16kernel17lstm_cell_forwardIN3c108BFloat16EfiLi1EEEvNS_4cuda6detail10TensorInfoIT_T1_EESB_SB_SB_SB_SB_SB_SB_SA_SA_
		.amdhsa_group_segment_fixed_size 0
		.amdhsa_private_segment_fixed_size 0
		.amdhsa_kernarg_size 1992
		.amdhsa_user_sgpr_count 6
		.amdhsa_user_sgpr_private_segment_buffer 1
		.amdhsa_user_sgpr_dispatch_ptr 0
		.amdhsa_user_sgpr_queue_ptr 0
		.amdhsa_user_sgpr_kernarg_segment_ptr 1
		.amdhsa_user_sgpr_dispatch_id 0
		.amdhsa_user_sgpr_flat_scratch_init 0
		.amdhsa_user_sgpr_kernarg_preload_length 0
		.amdhsa_user_sgpr_kernarg_preload_offset 0
		.amdhsa_user_sgpr_private_segment_size 0
		.amdhsa_uses_dynamic_stack 0
		.amdhsa_system_sgpr_private_segment_wavefront_offset 0
		.amdhsa_system_sgpr_workgroup_id_x 1
		.amdhsa_system_sgpr_workgroup_id_y 0
		.amdhsa_system_sgpr_workgroup_id_z 0
		.amdhsa_system_sgpr_workgroup_info 0
		.amdhsa_system_vgpr_workitem_id 0
		.amdhsa_next_free_vgpr 44
		.amdhsa_next_free_sgpr 48
		.amdhsa_accum_offset 44
		.amdhsa_reserve_vcc 1
		.amdhsa_reserve_flat_scratch 0
		.amdhsa_float_round_mode_32 0
		.amdhsa_float_round_mode_16_64 0
		.amdhsa_float_denorm_mode_32 3
		.amdhsa_float_denorm_mode_16_64 3
		.amdhsa_dx10_clamp 1
		.amdhsa_ieee_mode 1
		.amdhsa_fp16_overflow 0
		.amdhsa_tg_split 0
		.amdhsa_exception_fp_ieee_invalid_op 0
		.amdhsa_exception_fp_denorm_src 0
		.amdhsa_exception_fp_ieee_div_zero 0
		.amdhsa_exception_fp_ieee_overflow 0
		.amdhsa_exception_fp_ieee_underflow 0
		.amdhsa_exception_fp_ieee_inexact 0
		.amdhsa_exception_int_div_zero 0
	.end_amdhsa_kernel
	.section	.text._ZN2at6native12_GLOBAL__N_16kernel17lstm_cell_forwardIN3c108BFloat16EfiLi1EEEvNS_4cuda6detail10TensorInfoIT_T1_EESB_SB_SB_SB_SB_SB_SB_SA_SA_,"axG",@progbits,_ZN2at6native12_GLOBAL__N_16kernel17lstm_cell_forwardIN3c108BFloat16EfiLi1EEEvNS_4cuda6detail10TensorInfoIT_T1_EESB_SB_SB_SB_SB_SB_SB_SA_SA_,comdat
.Lfunc_end12:
	.size	_ZN2at6native12_GLOBAL__N_16kernel17lstm_cell_forwardIN3c108BFloat16EfiLi1EEEvNS_4cuda6detail10TensorInfoIT_T1_EESB_SB_SB_SB_SB_SB_SB_SA_SA_, .Lfunc_end12-_ZN2at6native12_GLOBAL__N_16kernel17lstm_cell_forwardIN3c108BFloat16EfiLi1EEEvNS_4cuda6detail10TensorInfoIT_T1_EESB_SB_SB_SB_SB_SB_SB_SA_SA_
                                        ; -- End function
	.section	.AMDGPU.csdata,"",@progbits
; Kernel info:
; codeLenInByte = 2720
; NumSgprs: 52
; NumVgprs: 44
; NumAgprs: 0
; TotalNumVgprs: 44
; ScratchSize: 0
; MemoryBound: 0
; FloatMode: 240
; IeeeMode: 1
; LDSByteSize: 0 bytes/workgroup (compile time only)
; SGPRBlocks: 6
; VGPRBlocks: 5
; NumSGPRsForWavesPerEU: 52
; NumVGPRsForWavesPerEU: 44
; AccumOffset: 44
; Occupancy: 8
; WaveLimiterHint : 1
; COMPUTE_PGM_RSRC2:SCRATCH_EN: 0
; COMPUTE_PGM_RSRC2:USER_SGPR: 6
; COMPUTE_PGM_RSRC2:TRAP_HANDLER: 0
; COMPUTE_PGM_RSRC2:TGID_X_EN: 1
; COMPUTE_PGM_RSRC2:TGID_Y_EN: 0
; COMPUTE_PGM_RSRC2:TGID_Z_EN: 0
; COMPUTE_PGM_RSRC2:TIDIG_COMP_CNT: 0
; COMPUTE_PGM_RSRC3_GFX90A:ACCUM_OFFSET: 10
; COMPUTE_PGM_RSRC3_GFX90A:TG_SPLIT: 0
	.section	.text._ZN2at6native12_GLOBAL__N_16kernel17lstm_cell_forwardIN3c108BFloat16EfiLi2EEEvNS_4cuda6detail10TensorInfoIT_T1_EESB_SB_SB_SB_SB_SB_SB_SA_SA_,"axG",@progbits,_ZN2at6native12_GLOBAL__N_16kernel17lstm_cell_forwardIN3c108BFloat16EfiLi2EEEvNS_4cuda6detail10TensorInfoIT_T1_EESB_SB_SB_SB_SB_SB_SB_SA_SA_,comdat
	.globl	_ZN2at6native12_GLOBAL__N_16kernel17lstm_cell_forwardIN3c108BFloat16EfiLi2EEEvNS_4cuda6detail10TensorInfoIT_T1_EESB_SB_SB_SB_SB_SB_SB_SA_SA_ ; -- Begin function _ZN2at6native12_GLOBAL__N_16kernel17lstm_cell_forwardIN3c108BFloat16EfiLi2EEEvNS_4cuda6detail10TensorInfoIT_T1_EESB_SB_SB_SB_SB_SB_SB_SA_SA_
	.p2align	8
	.type	_ZN2at6native12_GLOBAL__N_16kernel17lstm_cell_forwardIN3c108BFloat16EfiLi2EEEvNS_4cuda6detail10TensorInfoIT_T1_EESB_SB_SB_SB_SB_SB_SB_SA_SA_,@function
_ZN2at6native12_GLOBAL__N_16kernel17lstm_cell_forwardIN3c108BFloat16EfiLi2EEEvNS_4cuda6detail10TensorInfoIT_T1_EESB_SB_SB_SB_SB_SB_SB_SA_SA_: ; @_ZN2at6native12_GLOBAL__N_16kernel17lstm_cell_forwardIN3c108BFloat16EfiLi2EEEvNS_4cuda6detail10TensorInfoIT_T1_EESB_SB_SB_SB_SB_SB_SB_SA_SA_
; %bb.0:
	s_load_dword s2, s[4:5], 0x6d4
	s_load_dwordx2 s[0:1], s[4:5], 0x6c0
	s_add_u32 s34, s4, 0x6c8
	s_addc_u32 s35, s5, 0
	s_waitcnt lgkmcnt(0)
	s_and_b32 s36, s2, 0xffff
	s_mul_i32 s6, s6, s36
	v_add_u32_e32 v0, s6, v0
	v_cmp_gt_i32_e32 vcc, s1, v0
	s_and_saveexec_b64 s[2:3], vcc
	s_cbranch_execz .LBB13_13
; %bb.1:
	s_load_dwordx2 s[2:3], s[4:5], 0x0
	s_load_dword s33, s[4:5], 0xc
	s_load_dwordx2 s[6:7], s[4:5], 0x6c
	s_load_dwordx2 s[8:9], s[4:5], 0xd8
	s_load_dword s38, s[4:5], 0xe4
	s_load_dwordx2 s[10:11], s[4:5], 0x144
	;; [unrolled: 3-line block ×3, first 2 shown]
	s_load_dword s40, s[4:5], 0x2f4
	s_load_dwordx2 s[16:17], s[4:5], 0x360
	s_load_dword s37, s[4:5], 0x36c
	s_load_dwordx2 s[18:19], s[4:5], 0x3cc
	s_load_dwordx2 s[20:21], s[4:5], 0x438
	s_load_dword s60, s[4:5], 0x444
	s_load_dwordx2 s[22:23], s[4:5], 0x4a4
	s_waitcnt lgkmcnt(0)
	s_cmp_lg_u64 s[12:13], 0
	s_cselect_b64 s[24:25], -1, 0
	s_abs_i32 s41, s0
	v_cvt_f32_u32_e32 v1, s41
	s_load_dwordx2 s[26:27], s[4:5], 0x510
	s_load_dword s61, s[4:5], 0x51c
	s_load_dwordx2 s[28:29], s[4:5], 0x57c
	s_load_dwordx2 s[30:31], s[4:5], 0x5e8
	s_load_dword s43, s[34:35], 0x0
	s_abs_i32 s44, s33
	v_cvt_f32_u32_e32 v2, s44
	v_rcp_iflag_f32_e32 v1, v1
	s_abs_i32 s46, s38
	s_waitcnt lgkmcnt(0)
	s_mul_i32 s43, s43, s36
	s_sub_i32 s36, 0, s41
	v_mul_f32_e32 v1, 0x4f7ffffe, v1
	v_cvt_u32_f32_e32 v1, v1
	v_rcp_iflag_f32_e32 v2, v2
	s_load_dword s42, s[4:5], 0x5f4
	s_load_dwordx2 s[34:35], s[4:5], 0x654
	s_abs_i32 s50, s37
	v_mul_lo_u32 v3, s36, v1
	v_mul_hi_u32 v3, v1, v3
	v_add_u32_e32 v1, v1, v3
	v_cvt_f32_u32_e32 v3, s46
	v_mul_f32_e32 v2, 0x4f7ffffe, v2
	v_cvt_u32_f32_e32 v2, v2
	s_sub_i32 s36, 0, s44
	v_rcp_iflag_f32_e32 v3, v3
	s_waitcnt lgkmcnt(0)
	s_abs_i32 s48, s42
	v_mul_lo_u32 v4, s36, v2
	v_mul_hi_u32 v4, v2, v4
	v_add_u32_e32 v12, v2, v4
	v_mul_f32_e32 v2, 0x4f7ffffe, v3
	v_cvt_f32_u32_e32 v3, s48
	v_cvt_u32_f32_e32 v2, v2
	s_sub_i32 s36, 0, s46
	s_abs_i32 s53, s60
	v_rcp_iflag_f32_e32 v3, v3
	v_mul_lo_u32 v4, s36, v2
	v_mul_hi_u32 v4, v2, v4
	v_add_u32_e32 v13, v2, v4
	v_mul_f32_e32 v2, 0x4f7ffffe, v3
	v_cvt_f32_u32_e32 v3, s50
	v_cvt_u32_f32_e32 v2, v2
	s_sub_i32 s36, 0, s48
	s_abs_i32 s54, s61
	v_rcp_iflag_f32_e32 v3, v3
	v_mul_lo_u32 v4, s36, v2
	v_mul_hi_u32 v4, v2, v4
	v_add_u32_e32 v14, v2, v4
	v_mul_f32_e32 v2, 0x4f7ffffe, v3
	v_cvt_u32_f32_e32 v2, v2
	s_sub_i32 s36, 0, s50
	v_cvt_f32_u32_e32 v3, s53
	s_mov_b64 s[4:5], 0
	v_mul_lo_u32 v4, s36, v2
	v_mul_hi_u32 v4, v2, v4
	v_add_u32_e32 v15, v2, v4
	v_cvt_f32_u32_e32 v2, s54
	v_rcp_iflag_f32_e32 v3, v3
	s_sub_i32 s36, 0, s53
	s_ashr_i32 s45, s0, 31
	v_rcp_iflag_f32_e32 v2, v2
	v_mul_f32_e32 v3, 0x4f7ffffe, v3
	v_cvt_u32_f32_e32 v3, v3
	s_ashr_i32 s47, s33, 31
	v_mul_f32_e32 v2, 0x4f7ffffe, v2
	v_cvt_u32_f32_e32 v2, v2
	v_mul_lo_u32 v4, s36, v3
	v_mul_hi_u32 v4, v3, v4
	s_sub_i32 s36, 0, s54
	v_add_u32_e32 v16, v3, v4
	v_mul_lo_u32 v3, s36, v2
	v_mul_hi_u32 v3, v2, v3
	s_ashr_i32 s49, s38, 31
	s_ashr_i32 s51, s42, 31
	;; [unrolled: 1-line block ×5, first 2 shown]
	v_add_u32_e32 v17, v2, v3
	s_mul_i32 s57, s0, 3
	s_sub_i32 s58, 0, s0
	s_sub_i32 s59, 0, s37
	;; [unrolled: 1-line block ×4, first 2 shown]
	v_mov_b32_e32 v18, s3
	v_mov_b32_e32 v19, s9
	;; [unrolled: 1-line block ×3, first 2 shown]
	s_mov_b32 s3, 0x5040100
	s_mov_b32 s9, 0x3f200000
	;; [unrolled: 1-line block ×5, first 2 shown]
	v_mov_b32_e32 v21, 0xbd5c1c4e
	v_mov_b32_e32 v22, 0x3e088382
	;; [unrolled: 1-line block ×3, first 2 shown]
	s_mov_b32 s64, 0xbfb8aa3b
	s_mov_b32 s65, 0x42ce8ed0
	;; [unrolled: 1-line block ×3, first 2 shown]
	s_brev_b32 s67, -2
	s_movk_i32 s68, 0x7fff
	v_mov_b32_e32 v24, 0x7f800000
	v_mov_b32_e32 v25, 0x7fc0
	s_branch .LBB13_3
.LBB13_2:                               ;   in Loop: Header=BB13_3 Depth=1
	s_or_b64 exec, exec, s[36:37]
	v_lshlrev_b32_e32 v7, 16, v36
	v_lshlrev_b32_e32 v36, 16, v37
	v_add_f32_e32 v7, v7, v36
	v_lshlrev_b32_e32 v36, 16, v39
	v_add_f32_e32 v7, v7, v36
	;; [unrolled: 2-line block ×3, first 2 shown]
	v_mul_f32_e32 v36, 0xbfb8aa3b, v7
	v_fma_f32 v37, v7, s64, -v36
	v_rndne_f32_e32 v38, v36
	v_fmac_f32_e32 v37, 0xb2a5705f, v7
	v_sub_f32_e32 v36, v36, v38
	v_add_f32_e32 v36, v36, v37
	v_exp_f32_e32 v36, v36
	v_cvt_i32_f32_e32 v37, v38
	v_cmp_nlt_f32_e32 vcc, s65, v7
	v_xor_b32_e32 v9, s51, v9
	v_bfi_b32 v4, s67, v4, v6
	v_ldexp_f32 v36, v36, v37
	v_cndmask_b32_e32 v36, 0, v36, vcc
	v_cmp_ngt_f32_e32 vcc, s66, v7
	v_cndmask_b32_e32 v7, v24, v36, vcc
	v_add_f32_e32 v7, 1.0, v7
	v_div_scale_f32 v36, s[36:37], v7, v7, 1.0
	v_rcp_f32_e32 v37, v36
	v_fma_f32 v38, -v36, v37, 1.0
	v_fmac_f32_e32 v37, v38, v37
	v_div_scale_f32 v38, vcc, 1.0, v7, 1.0
	v_mul_f32_e32 v39, v38, v37
	v_fma_f32 v40, -v36, v39, v38
	v_fmac_f32_e32 v39, v40, v37
	v_fma_f32 v36, -v36, v39, v38
	v_div_fmas_f32 v36, v36, v37, v39
	v_div_fixup_f32 v7, v36, v7, 1.0
	v_mul_hi_u32 v36, v11, v14
	v_mul_lo_u32 v37, v36, s48
	v_sub_u32_e32 v11, v11, v37
	v_add_u32_e32 v37, 1, v36
	v_cmp_le_u32_e32 vcc, s48, v11
	v_cndmask_b32_e32 v36, v36, v37, vcc
	v_subrev_u32_e32 v37, s48, v11
	v_cndmask_b32_e32 v11, v11, v37, vcc
	v_add_u32_e32 v37, 1, v36
	v_cmp_le_u32_e32 vcc, s48, v11
	v_cndmask_b32_e32 v11, v36, v37, vcc
	v_xor_b32_e32 v11, v11, v9
	v_sub_u32_e32 v9, v11, v9
	v_mul_lo_u32 v11, v9, s42
	v_sub_u32_e32 v8, v8, v11
	v_add_u32_e32 v8, v0, v8
	v_mul_lo_u32 v8, v8, s35
	v_mad_u64_u32 v[8:9], s[36:37], v9, s34, v[8:9]
	v_ashrrev_i32_e32 v9, 31, v8
	v_lshlrev_b64 v[8:9], 1, v[8:9]
	v_xor_b32_e32 v11, s51, v30
	v_mul_hi_u32 v30, v31, v14
	v_mov_b32_e32 v36, s31
	v_add_co_u32_e32 v8, vcc, s30, v8
	v_mul_lo_u32 v37, v30, s48
	v_addc_co_u32_e32 v9, vcc, v36, v9, vcc
	v_sub_u32_e32 v31, v31, v37
	v_add_u32_e32 v37, 1, v30
	v_cmp_le_u32_e32 vcc, s48, v31
	v_cndmask_b32_e32 v30, v30, v37, vcc
	v_subrev_u32_e32 v37, s48, v31
	v_cndmask_b32_e32 v31, v31, v37, vcc
	v_add_u32_e32 v37, 1, v30
	v_cmp_le_u32_e32 vcc, s48, v31
	v_cndmask_b32_e32 v30, v30, v37, vcc
	v_xor_b32_e32 v30, v30, v11
	v_sub_u32_e32 v11, v30, v11
	v_mul_lo_u32 v30, v11, s42
	v_sub_u32_e32 v10, v10, v30
	v_add_u32_e32 v10, v0, v10
	v_mul_lo_u32 v10, v10, s35
	v_mad_u64_u32 v[10:11], s[36:37], v11, s34, v[10:11]
	v_ashrrev_i32_e32 v11, 31, v10
	v_lshlrev_b64 v[10:11], 1, v[10:11]
	v_mul_hi_u32 v31, v33, v14
	v_add_co_u32_e32 v10, vcc, s30, v10
	v_xor_b32_e32 v30, s51, v32
	v_mul_lo_u32 v32, v31, s48
	v_addc_co_u32_e32 v11, vcc, v36, v11, vcc
	v_sub_u32_e32 v32, v33, v32
	v_add_u32_e32 v33, 1, v31
	v_cmp_le_u32_e32 vcc, s48, v32
	v_cndmask_b32_e32 v31, v31, v33, vcc
	v_subrev_u32_e32 v33, s48, v32
	v_cndmask_b32_e32 v32, v32, v33, vcc
	v_add_u32_e32 v33, 1, v31
	v_cmp_le_u32_e32 vcc, s48, v32
	v_cndmask_b32_e32 v31, v31, v33, vcc
	v_xor_b32_e32 v31, v31, v30
	v_sub_u32_e32 v30, v31, v30
	v_mul_lo_u32 v31, v30, s42
	v_sub_u32_e32 v28, v28, v31
	v_add_u32_e32 v28, v0, v28
	v_mul_lo_u32 v28, v28, s35
	v_mad_u64_u32 v[30:31], s[36:37], v30, s34, v[28:29]
	v_ashrrev_i32_e32 v31, 31, v30
	v_lshlrev_b64 v[30:31], 1, v[30:31]
	v_mul_hi_u32 v32, v35, v14
	v_add_co_u32_e32 v30, vcc, s30, v30
	v_mul_lo_u32 v33, v32, s48
	v_addc_co_u32_e32 v31, vcc, v36, v31, vcc
	v_sub_u32_e32 v33, v35, v33
	v_xor_b32_e32 v28, s51, v34
	v_add_u32_e32 v34, 1, v32
	v_cmp_le_u32_e32 vcc, s48, v33
	v_cndmask_b32_e32 v32, v32, v34, vcc
	v_subrev_u32_e32 v34, s48, v33
	v_cndmask_b32_e32 v33, v33, v34, vcc
	v_add_u32_e32 v34, 1, v32
	v_cmp_le_u32_e32 vcc, s48, v33
	v_cndmask_b32_e32 v32, v32, v34, vcc
	v_xor_b32_e32 v32, v32, v28
	v_sub_u32_e32 v32, v32, v28
	v_mul_lo_u32 v28, v32, s42
	v_sub_u32_e32 v28, v29, v28
	v_add_u32_e32 v28, v0, v28
	v_mul_lo_u32 v28, v28, s35
	v_mad_u64_u32 v[28:29], s[36:37], v32, s34, v[28:29]
	v_ashrrev_i32_e32 v29, 31, v28
	v_lshlrev_b64 v[28:29], 1, v[28:29]
	v_mul_hi_u32 v33, v27, v16
	v_add_co_u32_e32 v28, vcc, s30, v28
	v_mul_lo_u32 v34, v33, s53
	v_addc_co_u32_e32 v29, vcc, v36, v29, vcc
	v_sub_u32_e32 v34, v27, v34
	v_add_u32_e32 v35, 1, v33
	v_cmp_le_u32_e32 vcc, s53, v34
	v_cndmask_b32_e32 v33, v33, v35, vcc
	v_subrev_u32_e32 v35, s53, v34
	v_cndmask_b32_e32 v34, v34, v35, vcc
	v_add_u32_e32 v35, 1, v33
	v_cmp_le_u32_e32 vcc, s53, v34
	v_xor_b32_e32 v32, s55, v26
	v_cndmask_b32_e32 v33, v33, v35, vcc
	v_xor_b32_e32 v33, v33, v32
	v_sub_u32_e32 v34, v33, v32
	v_mad_u64_u32 v[32:33], s[36:37], s60, v34, v[0:1]
	v_mul_lo_u32 v32, v32, s23
	v_mad_u64_u32 v[32:33], s[36:37], v34, s22, v[32:33]
	v_ashrrev_i32_e32 v33, 31, v32
	v_lshlrev_b64 v[32:33], 1, v[32:33]
	v_mov_b32_e32 v34, s21
	v_add_co_u32_e32 v32, vcc, s20, v32
	v_addc_co_u32_e32 v33, vcc, v34, v33, vcc
	v_mul_hi_u32 v34, v27, v17
	v_mul_lo_u32 v35, v34, s54
	v_sub_u32_e32 v27, v27, v35
	v_add_u32_e32 v35, 1, v34
	v_cmp_le_u32_e32 vcc, s54, v27
	v_cndmask_b32_e32 v34, v34, v35, vcc
	v_subrev_u32_e32 v35, s54, v27
	v_cndmask_b32_e32 v27, v27, v35, vcc
	v_add_u32_e32 v35, 1, v34
	v_cmp_le_u32_e32 vcc, s54, v27
	v_xor_b32_e32 v26, s56, v26
	v_cndmask_b32_e32 v27, v34, v35, vcc
	v_xor_b32_e32 v27, v27, v26
	v_sub_u32_e32 v34, v27, v26
	v_mad_u64_u32 v[26:27], s[36:37], s61, v34, v[0:1]
	v_mul_lo_u32 v26, v26, s29
	v_mad_u64_u32 v[26:27], s[36:37], v34, s28, v[26:27]
	v_ashrrev_i32_e32 v27, 31, v26
	v_lshlrev_b64 v[26:27], 1, v[26:27]
	v_mov_b32_e32 v34, s27
	v_add_co_u32_e32 v26, vcc, s26, v26
	v_mul_f32_e32 v4, v7, v4
	v_addc_co_u32_e32 v27, vcc, v34, v27, vcc
	v_bfe_u32 v34, v4, 16, 1
	v_add3_u32 v34, v4, v34, s68
	v_lshrrev_b32_e32 v34, 16, v34
	v_cmp_o_f32_e32 vcc, v4, v4
	v_cndmask_b32_e32 v4, v25, v34, vcc
	global_store_short v[32:33], v4, off
	v_bfe_u32 v4, v6, 16, 1
	v_add3_u32 v4, v6, v4, s68
	v_lshrrev_b32_e32 v4, 16, v4
	v_cmp_o_f32_e32 vcc, v6, v6
	v_cndmask_b32_e32 v4, v25, v4, vcc
	global_store_short v[26:27], v4, off
	v_bfe_u32 v4, v3, 16, 1
	v_add3_u32 v4, v3, v4, s68
	v_lshrrev_b32_e32 v4, 16, v4
	v_cmp_o_f32_e32 vcc, v3, v3
	v_cndmask_b32_e32 v3, v25, v4, vcc
	global_store_short v[8:9], v3, off
	v_bfe_u32 v3, v2, 16, 1
	v_add3_u32 v3, v2, v3, s68
	v_lshrrev_b32_e32 v3, 16, v3
	v_cmp_o_f32_e32 vcc, v2, v2
	v_cndmask_b32_e32 v2, v25, v3, vcc
	global_store_short v[10:11], v2, off
	v_bfe_u32 v2, v5, 16, 1
	v_add3_u32 v2, v5, v2, s68
	v_lshrrev_b32_e32 v2, 16, v2
	v_cmp_o_f32_e32 vcc, v5, v5
	v_cndmask_b32_e32 v2, v25, v2, vcc
	global_store_short v[30:31], v2, off
	v_bfe_u32 v2, v7, 16, 1
	v_add3_u32 v2, v7, v2, s68
	v_lshrrev_b32_e32 v2, 16, v2
	v_cmp_o_f32_e32 vcc, v7, v7
	v_add_u32_e32 v0, s43, v0
	v_cndmask_b32_e32 v2, v25, v2, vcc
	v_cmp_le_i32_e32 vcc, s1, v0
	s_or_b64 s[4:5], vcc, s[4:5]
	global_store_short v[28:29], v2, off
	s_andn2_b64 exec, exec, s[4:5]
	s_cbranch_execz .LBB13_13
.LBB13_3:                               ; =>This Inner Loop Header: Depth=1
	v_sub_u32_e32 v3, 0, v0
	v_max_i32_e32 v27, v0, v3
	v_mul_hi_u32 v3, v27, v1
	v_mul_lo_u32 v4, v3, s41
	v_sub_u32_e32 v4, v27, v4
	v_add_u32_e32 v5, 1, v3
	v_cmp_le_u32_e32 vcc, s41, v4
	v_cndmask_b32_e32 v3, v3, v5, vcc
	v_subrev_u32_e32 v5, s41, v4
	v_cndmask_b32_e32 v4, v4, v5, vcc
	v_ashrrev_i32_e32 v26, 31, v0
	v_add_u32_e32 v5, 1, v3
	v_cmp_le_u32_e32 vcc, s41, v4
	v_xor_b32_e32 v2, s45, v26
	v_cndmask_b32_e32 v3, v3, v5, vcc
	v_xor_b32_e32 v5, v3, v2
	v_sub_u32_e32 v6, v5, v2
	v_mul_lo_u32 v8, s57, v6
	v_add_u32_e32 v3, v0, v8
	v_ashrrev_i32_e32 v9, 31, v3
	v_add3_u32 v4, v9, v8, v0
	v_xor_b32_e32 v11, v4, v9
	v_mul_hi_u32 v4, v11, v12
	v_mul_lo_u32 v7, v4, s44
	v_sub_u32_e32 v7, v11, v7
	v_add_u32_e32 v10, 1, v4
	v_cmp_le_u32_e32 vcc, s44, v7
	v_cndmask_b32_e32 v4, v4, v10, vcc
	v_subrev_u32_e32 v10, s44, v7
	v_cndmask_b32_e32 v7, v7, v10, vcc
	v_add_u32_e32 v10, 1, v4
	v_cmp_le_u32_e32 vcc, s44, v7
	v_xor_b32_e32 v3, s47, v9
	v_cndmask_b32_e32 v4, v4, v10, vcc
	v_xor_b32_e32 v4, v4, v3
	v_sub_u32_e32 v3, v4, v3
	v_mul_lo_u32 v4, v3, s33
	v_sub_u32_e32 v4, v8, v4
	v_add_u32_e32 v4, v0, v4
	v_mul_lo_u32 v4, v4, s7
	v_mad_u64_u32 v[28:29], s[36:37], v3, s6, v[4:5]
	v_lshl_add_u32 v3, v5, 1, v5
	v_mul_i32_i24_e32 v4, 3, v2
	v_sub_u32_e32 v3, v3, v4
	v_mul_lo_u32 v4, s0, v3
	v_add_u32_e32 v10, s0, v4
	v_add_u32_e32 v4, v0, v10
	v_ashrrev_i32_e32 v30, 31, v4
	v_add3_u32 v7, v30, v10, v0
	v_ashrrev_i32_e32 v29, 31, v28
	v_xor_b32_e32 v31, v7, v30
	v_lshlrev_b64 v[28:29], 1, v[28:29]
	v_mul_hi_u32 v7, v31, v12
	v_add_co_u32_e32 v36, vcc, s2, v28
	v_mul_lo_u32 v28, v7, s44
	v_addc_co_u32_e32 v37, vcc, v18, v29, vcc
	v_sub_u32_e32 v28, v31, v28
	v_add_u32_e32 v29, 1, v7
	v_cmp_le_u32_e32 vcc, s44, v28
	v_cndmask_b32_e32 v7, v7, v29, vcc
	v_subrev_u32_e32 v29, s44, v28
	v_cndmask_b32_e32 v28, v28, v29, vcc
	v_add_u32_e32 v29, 1, v7
	v_cmp_le_u32_e32 vcc, s44, v28
	v_xor_b32_e32 v4, s47, v30
	v_cndmask_b32_e32 v7, v7, v29, vcc
	v_xor_b32_e32 v7, v7, v4
	v_sub_u32_e32 v7, v7, v4
	v_mul_lo_u32 v4, v7, s33
	v_sub_u32_e32 v4, v10, v4
	v_add_u32_e32 v4, v0, v4
	v_mul_lo_u32 v4, v4, s7
	v_mad_u64_u32 v[28:29], s[36:37], v7, s6, v[4:5]
	v_ashrrev_i32_e32 v29, 31, v28
	v_lshlrev_b64 v[28:29], 1, v[28:29]
	v_add_u32_e32 v4, 2, v3
	v_add_co_u32_e32 v38, vcc, s2, v28
	v_mul_lo_u32 v28, s0, v4
	v_add_u32_e32 v4, v0, v28
	v_ashrrev_i32_e32 v32, 31, v4
	v_add3_u32 v7, v32, v28, v0
	v_xor_b32_e32 v33, v7, v32
	v_mul_hi_u32 v7, v33, v12
	v_addc_co_u32_e32 v39, vcc, v18, v29, vcc
	v_mul_lo_u32 v29, v7, s44
	v_sub_u32_e32 v29, v33, v29
	v_add_u32_e32 v34, 1, v7
	v_cmp_le_u32_e32 vcc, s44, v29
	v_cndmask_b32_e32 v7, v7, v34, vcc
	v_subrev_u32_e32 v34, s44, v29
	v_cndmask_b32_e32 v29, v29, v34, vcc
	v_add_u32_e32 v34, 1, v7
	v_cmp_le_u32_e32 vcc, s44, v29
	v_xor_b32_e32 v4, s47, v32
	v_cndmask_b32_e32 v7, v7, v34, vcc
	v_xor_b32_e32 v7, v7, v4
	v_sub_u32_e32 v7, v7, v4
	v_mul_lo_u32 v4, v7, s33
	v_sub_u32_e32 v4, v28, v4
	v_add_u32_e32 v4, v0, v4
	v_mul_lo_u32 v4, v4, s7
	v_mad_u64_u32 v[34:35], s[36:37], v7, s6, v[4:5]
	v_add_u32_e32 v3, 3, v3
	v_ashrrev_i32_e32 v35, 31, v34
	v_mul_lo_u32 v29, s0, v3
	v_lshlrev_b64 v[34:35], 1, v[34:35]
	v_add_u32_e32 v3, v0, v29
	v_add_co_u32_e32 v40, vcc, s2, v34
	v_ashrrev_i32_e32 v34, 31, v3
	v_add3_u32 v4, v34, v29, v0
	v_addc_co_u32_e32 v41, vcc, v18, v35, vcc
	v_xor_b32_e32 v35, v4, v34
	v_mul_hi_u32 v4, v35, v12
	v_mul_lo_u32 v7, v4, s44
	v_sub_u32_e32 v7, v35, v7
	v_add_u32_e32 v42, 1, v4
	v_cmp_le_u32_e32 vcc, s44, v7
	v_cndmask_b32_e32 v4, v4, v42, vcc
	v_subrev_u32_e32 v42, s44, v7
	v_cndmask_b32_e32 v7, v7, v42, vcc
	v_add_u32_e32 v42, 1, v4
	v_cmp_le_u32_e32 vcc, s44, v7
	v_xor_b32_e32 v3, s47, v34
	v_cndmask_b32_e32 v4, v4, v42, vcc
	v_xor_b32_e32 v4, v4, v3
	v_sub_u32_e32 v3, v4, v3
	v_mul_lo_u32 v4, v3, s33
	v_sub_u32_e32 v4, v29, v4
	v_add_u32_e32 v4, v0, v4
	v_mul_lo_u32 v4, v4, s7
	v_mad_u64_u32 v[42:43], s[36:37], v3, s6, v[4:5]
	v_ashrrev_i32_e32 v43, 31, v42
	v_lshlrev_b64 v[42:43], 1, v[42:43]
	v_add_co_u32_e32 v42, vcc, s2, v42
	v_addc_co_u32_e32 v43, vcc, v18, v43, vcc
	global_load_ushort v3, v[36:37], off
	global_load_ushort v4, v[38:39], off
	;; [unrolled: 1-line block ×3, first 2 shown]
	s_nop 0
	global_load_ushort v36, v[42:43], off
	v_mul_hi_u32 v38, v11, v13
	v_mul_lo_u32 v39, v38, s46
	v_sub_u32_e32 v39, v11, v39
	v_add_u32_e32 v40, 1, v38
	v_cmp_le_u32_e32 vcc, s46, v39
	v_cndmask_b32_e32 v38, v38, v40, vcc
	v_subrev_u32_e32 v40, s46, v39
	v_cndmask_b32_e32 v39, v39, v40, vcc
	v_add_u32_e32 v40, 1, v38
	v_cmp_le_u32_e32 vcc, s46, v39
	v_xor_b32_e32 v37, s49, v9
	v_cndmask_b32_e32 v38, v38, v40, vcc
	v_xor_b32_e32 v38, v38, v37
	v_sub_u32_e32 v37, v38, v37
	v_mul_lo_u32 v38, v37, s38
	v_sub_u32_e32 v38, v8, v38
	v_add_u32_e32 v38, v0, v38
	v_mul_lo_u32 v38, v38, s11
	v_mad_u64_u32 v[38:39], s[36:37], v37, s10, v[38:39]
	v_ashrrev_i32_e32 v39, 31, v38
	v_lshlrev_b64 v[38:39], 1, v[38:39]
	v_mul_hi_u32 v40, v31, v13
	v_add_co_u32_e32 v38, vcc, s8, v38
	v_mul_lo_u32 v41, v40, s46
	v_addc_co_u32_e32 v39, vcc, v19, v39, vcc
	v_sub_u32_e32 v41, v31, v41
	v_add_u32_e32 v42, 1, v40
	v_cmp_le_u32_e32 vcc, s46, v41
	v_cndmask_b32_e32 v40, v40, v42, vcc
	v_subrev_u32_e32 v42, s46, v41
	v_cndmask_b32_e32 v41, v41, v42, vcc
	v_add_u32_e32 v42, 1, v40
	v_cmp_le_u32_e32 vcc, s46, v41
	v_xor_b32_e32 v37, s49, v30
	v_cndmask_b32_e32 v40, v40, v42, vcc
	v_xor_b32_e32 v40, v40, v37
	v_sub_u32_e32 v37, v40, v37
	v_mul_lo_u32 v40, v37, s38
	v_sub_u32_e32 v40, v10, v40
	v_add_u32_e32 v40, v0, v40
	v_mul_lo_u32 v40, v40, s11
	v_mad_u64_u32 v[40:41], s[36:37], v37, s10, v[40:41]
	v_ashrrev_i32_e32 v41, 31, v40
	v_lshlrev_b64 v[40:41], 1, v[40:41]
	v_add_co_u32_e32 v42, vcc, s8, v40
	v_mul_hi_u32 v40, v33, v13
	v_addc_co_u32_e32 v43, vcc, v19, v41, vcc
	v_mul_lo_u32 v41, v40, s46
	v_sub_u32_e32 v41, v33, v41
	v_add_u32_e32 v44, 1, v40
	v_cmp_le_u32_e32 vcc, s46, v41
	v_cndmask_b32_e32 v40, v40, v44, vcc
	v_subrev_u32_e32 v44, s46, v41
	v_cndmask_b32_e32 v41, v41, v44, vcc
	v_add_u32_e32 v44, 1, v40
	v_cmp_le_u32_e32 vcc, s46, v41
	v_xor_b32_e32 v37, s49, v32
	v_cndmask_b32_e32 v40, v40, v44, vcc
	v_xor_b32_e32 v40, v40, v37
	v_sub_u32_e32 v37, v40, v37
	v_mul_lo_u32 v40, v37, s38
	v_sub_u32_e32 v40, v28, v40
	v_add_u32_e32 v40, v0, v40
	v_mul_lo_u32 v40, v40, s11
	v_mad_u64_u32 v[40:41], s[36:37], v37, s10, v[40:41]
	v_ashrrev_i32_e32 v41, 31, v40
	v_lshlrev_b64 v[40:41], 1, v[40:41]
	v_add_co_u32_e32 v44, vcc, s8, v40
	v_mul_hi_u32 v40, v35, v13
	v_addc_co_u32_e32 v45, vcc, v19, v41, vcc
	v_mul_lo_u32 v41, v40, s46
	v_sub_u32_e32 v41, v35, v41
	v_add_u32_e32 v46, 1, v40
	v_cmp_le_u32_e32 vcc, s46, v41
	v_cndmask_b32_e32 v40, v40, v46, vcc
	v_subrev_u32_e32 v46, s46, v41
	v_cndmask_b32_e32 v41, v41, v46, vcc
	v_add_u32_e32 v46, 1, v40
	v_cmp_le_u32_e32 vcc, s46, v41
	v_xor_b32_e32 v37, s49, v34
	v_cndmask_b32_e32 v40, v40, v46, vcc
	v_xor_b32_e32 v40, v40, v37
	v_sub_u32_e32 v37, v40, v37
	v_mul_lo_u32 v40, v37, s38
	v_sub_u32_e32 v40, v29, v40
	v_add_u32_e32 v40, v0, v40
	v_mul_lo_u32 v40, v40, s11
	v_mad_u64_u32 v[40:41], s[36:37], v37, s10, v[40:41]
	v_ashrrev_i32_e32 v41, 31, v40
	v_lshlrev_b64 v[40:41], 1, v[40:41]
	v_add_co_u32_e32 v46, vcc, s8, v40
	v_addc_co_u32_e32 v47, vcc, v19, v41, vcc
	global_load_ushort v41, v[38:39], off
	s_nop 0
	global_load_ushort v42, v[42:43], off
	s_nop 0
	global_load_ushort v43, v[44:45], off
	global_load_ushort v37, v[46:47], off
	v_mul_hi_u32 v39, v27, v15
	v_mul_lo_u32 v40, v39, s50
	v_sub_u32_e32 v40, v27, v40
	v_add_u32_e32 v44, 1, v39
	v_cmp_le_u32_e32 vcc, s50, v40
	v_cndmask_b32_e32 v39, v39, v44, vcc
	v_subrev_u32_e32 v44, s50, v40
	v_cndmask_b32_e32 v40, v40, v44, vcc
	v_add_u32_e32 v44, 1, v39
	v_cmp_le_u32_e32 vcc, s50, v40
	v_xor_b32_e32 v38, s52, v26
	v_cndmask_b32_e32 v39, v39, v44, vcc
	v_xor_b32_e32 v39, v39, v38
	v_sub_u32_e32 v40, v39, v38
	v_mad_u64_u32 v[38:39], s[36:37], s59, v40, v[0:1]
	v_mul_lo_u32 v38, v38, s19
	v_mad_u64_u32 v[38:39], s[36:37], v40, s18, v[38:39]
	v_ashrrev_i32_e32 v39, 31, v38
	v_lshlrev_b64 v[38:39], 1, v[38:39]
	v_add_co_u32_e32 v38, vcc, s16, v38
	v_addc_co_u32_e32 v39, vcc, v20, v39, vcc
	global_load_ushort v38, v[38:39], off
	s_andn2_b64 vcc, exec, s[24:25]
	v_mov_b32_e32 v40, 0
	v_mov_b32_e32 v44, 0
	;; [unrolled: 1-line block ×6, first 2 shown]
	s_cbranch_vccnz .LBB13_5
; %bb.4:                                ;   in Loop: Header=BB13_3 Depth=1
	v_mad_u64_u32 v[44:45], s[36:37], s58, v6, v[0:1]
	v_sub_u32_e32 v2, v2, v5
	v_mul_lo_u32 v46, v44, s39
	v_mul_lo_u32 v5, s0, v2
	v_ashrrev_i32_e32 v47, 31, v46
	v_add3_u32 v5, v5, s0, v0
	v_lshlrev_b64 v[46:47], 1, v[46:47]
	v_mul_lo_u32 v48, v5, s39
	v_add_u32_e32 v39, 2, v2
	v_mov_b32_e32 v6, s13
	v_add_co_u32_e32 v46, vcc, s12, v46
	v_ashrrev_i32_e32 v49, 31, v48
	v_mad_u64_u32 v[50:51], s[36:37], s0, v39, v[0:1]
	v_addc_co_u32_e32 v47, vcc, v6, v47, vcc
	v_lshlrev_b64 v[48:49], 1, v[48:49]
	v_mul_lo_u32 v52, v50, s39
	v_add_u32_e32 v2, 3, v2
	v_add_co_u32_e32 v48, vcc, s12, v48
	v_ashrrev_i32_e32 v53, 31, v52
	v_mad_u64_u32 v[54:55], s[36:37], s0, v2, v[0:1]
	v_addc_co_u32_e32 v49, vcc, v6, v49, vcc
	v_lshlrev_b64 v[52:53], 1, v[52:53]
	v_mul_lo_u32 v56, v54, s39
	v_add_co_u32_e32 v52, vcc, s12, v52
	v_ashrrev_i32_e32 v57, 31, v56
	v_addc_co_u32_e32 v53, vcc, v6, v53, vcc
	v_lshlrev_b64 v[56:57], 1, v[56:57]
	v_mul_lo_u32 v44, v44, s40
	v_add_co_u32_e32 v56, vcc, s12, v56
	v_ashrrev_i32_e32 v45, 31, v44
	v_addc_co_u32_e32 v57, vcc, v6, v57, vcc
	global_load_ushort v2, v[46:47], off
	global_load_ushort v6, v[48:49], off
	s_nop 0
	global_load_ushort v46, v[52:53], off
	global_load_ushort v39, v[56:57], off
	v_lshlrev_b64 v[44:45], 1, v[44:45]
	v_mul_lo_u32 v48, v5, s40
	v_mov_b32_e32 v40, s15
	v_add_co_u32_e32 v44, vcc, s14, v44
	v_ashrrev_i32_e32 v49, 31, v48
	v_addc_co_u32_e32 v45, vcc, v40, v45, vcc
	v_lshlrev_b64 v[48:49], 1, v[48:49]
	v_mul_lo_u32 v50, v50, s40
	v_add_co_u32_e32 v48, vcc, s14, v48
	v_ashrrev_i32_e32 v51, 31, v50
	v_addc_co_u32_e32 v49, vcc, v40, v49, vcc
	v_lshlrev_b64 v[50:51], 1, v[50:51]
	v_mul_lo_u32 v52, v54, s40
	v_add_co_u32_e32 v50, vcc, s14, v50
	v_ashrrev_i32_e32 v53, 31, v52
	v_addc_co_u32_e32 v51, vcc, v40, v51, vcc
	v_lshlrev_b64 v[52:53], 1, v[52:53]
	v_add_co_u32_e32 v52, vcc, s14, v52
	v_addc_co_u32_e32 v53, vcc, v40, v53, vcc
	global_load_ushort v5, v[44:45], off
	s_nop 0
	global_load_ushort v45, v[48:49], off
	global_load_ushort v47, v[50:51], off
	;; [unrolled: 1-line block ×3, first 2 shown]
	s_waitcnt vmcnt(6)
	v_perm_b32 v44, v2, v6, s3
	s_waitcnt vmcnt(2)
	v_perm_b32 v45, v5, v45, s3
.LBB13_5:                               ;   in Loop: Header=BB13_3 Depth=1
	s_waitcnt vmcnt(6)
	v_lshlrev_b32_e32 v2, 16, v7
	s_waitcnt vmcnt(2)
	v_lshlrev_b32_e32 v5, 16, v43
	v_add_f32_e32 v2, v5, v2
	v_lshlrev_b32_e32 v5, 16, v46
	v_add_f32_e32 v2, v2, v5
	s_waitcnt vmcnt(1)
	v_lshlrev_b32_e32 v5, 16, v47
	v_add_f32_e32 v5, v2, v5
	v_cmp_nlt_f32_e64 s[36:37], |v5|, s9
                                        ; implicit-def: $vgpr6
	s_and_saveexec_b64 s[70:71], s[36:37]
	s_xor_b64 s[36:37], exec, s[70:71]
	s_cbranch_execz .LBB13_7
; %bb.6:                                ;   in Loop: Header=BB13_3 Depth=1
	v_add_f32_e64 v2, |v5|, |v5|
	v_mul_f32_e32 v6, 0x3fb8aa3b, v2
	v_rndne_f32_e32 v7, v6
	v_sub_f32_e32 v43, v6, v7
	v_fma_f32 v6, v2, s17, -v6
	v_fmac_f32_e32 v6, 0x32a5705f, v2
	v_add_f32_e32 v6, v43, v6
	v_cvt_i32_f32_e32 v7, v7
	v_exp_f32_e32 v6, v6
	v_cmp_ngt_f32_e32 vcc, s62, v2
	v_ldexp_f32 v6, v6, v7
	v_cndmask_b32_e32 v6, 0, v6, vcc
	v_cmp_nlt_f32_e32 vcc, s63, v2
	v_cndmask_b32_e32 v2, v24, v6, vcc
	v_add_f32_e32 v2, 1.0, v2
	v_rcp_f32_e32 v2, v2
	v_fma_f32 v6, v2, -2.0, 1.0
.LBB13_7:                               ;   in Loop: Header=BB13_3 Depth=1
	s_andn2_saveexec_b64 s[36:37], s[36:37]
; %bb.8:                                ;   in Loop: Header=BB13_3 Depth=1
	v_mul_f32_e32 v2, v5, v5
	v_mov_b32_e32 v6, 0x3ca908c9
	v_fmac_f32_e32 v6, 0xbbbac73d, v2
	v_fma_f32 v6, v2, v6, v21
	v_fma_f32 v6, v2, v6, v22
	v_fma_f32 v6, v2, v6, v23
	v_mul_f32_e64 v6, |v5|, v6
	v_fma_f32 v6, v2, v6, |v5|
; %bb.9:                                ;   in Loop: Header=BB13_3 Depth=1
	s_or_b64 exec, exec, s[36:37]
	v_lshlrev_b32_e32 v3, 16, v3
	v_lshlrev_b32_e32 v2, 16, v4
	;; [unrolled: 1-line block ×4, first 2 shown]
	v_pk_add_f32 v[2:3], v[2:3], v[42:43]
	v_and_b32_e32 v43, 0xffff0000, v44
	v_lshlrev_b32_e32 v42, 16, v44
	v_pk_add_f32 v[2:3], v[2:3], v[42:43]
	v_and_b32_e32 v43, 0xffff0000, v45
	v_lshlrev_b32_e32 v42, 16, v45
	v_pk_add_f32 v[2:3], v[2:3], v[42:43]
	v_mul_f32_e32 v4, 0xbfb8aa3b, v3
	v_fma_f32 v7, v3, s64, -v4
	v_rndne_f32_e32 v41, v4
	v_fmac_f32_e32 v7, 0xb2a5705f, v3
	v_sub_f32_e32 v4, v4, v41
	v_add_f32_e32 v4, v4, v7
	v_exp_f32_e32 v4, v4
	v_cvt_i32_f32_e32 v7, v41
	v_cmp_nlt_f32_e32 vcc, s65, v3
	v_bfi_b32 v5, s67, v6, v5
	v_ldexp_f32 v4, v4, v7
	v_mul_f32_e32 v7, 0xbfb8aa3b, v2
	v_fma_f32 v41, v2, s64, -v7
	v_rndne_f32_e32 v42, v7
	v_fmac_f32_e32 v41, 0xb2a5705f, v2
	v_sub_f32_e32 v7, v7, v42
	v_add_f32_e32 v7, v7, v41
	v_exp_f32_e32 v7, v7
	v_cvt_i32_f32_e32 v41, v42
	v_cndmask_b32_e32 v4, 0, v4, vcc
	v_cmp_ngt_f32_e32 vcc, s66, v3
	v_cndmask_b32_e32 v3, v24, v4, vcc
	v_ldexp_f32 v4, v7, v41
	v_cmp_nlt_f32_e32 vcc, s65, v2
	v_cndmask_b32_e32 v4, 0, v4, vcc
	v_cmp_ngt_f32_e32 vcc, s66, v2
	v_cndmask_b32_e32 v2, v24, v4, vcc
	v_pk_add_f32 v[2:3], v[2:3], 1.0 op_sel_hi:[1,0]
	v_div_scale_f32 v4, s[36:37], v3, v3, 1.0
	v_rcp_f32_e32 v7, v4
	v_fma_f32 v41, -v4, v7, 1.0
	v_fmac_f32_e32 v7, v41, v7
	v_div_scale_f32 v41, vcc, 1.0, v3, 1.0
	v_mul_f32_e32 v42, v41, v7
	v_fma_f32 v43, -v4, v42, v41
	v_fmac_f32_e32 v42, v43, v7
	v_fma_f32 v4, -v4, v42, v41
	v_div_scale_f32 v41, s[36:37], v2, v2, 1.0
	v_rcp_f32_e32 v43, v41
	v_div_fmas_f32 v4, v4, v7, v42
	v_div_fixup_f32 v3, v4, v3, 1.0
	v_fma_f32 v4, -v41, v43, 1.0
	v_fmac_f32_e32 v43, v4, v43
	v_div_scale_f32 v4, vcc, 1.0, v2, 1.0
	v_mul_f32_e32 v7, v4, v43
	v_fma_f32 v42, -v41, v7, v4
	v_fmac_f32_e32 v7, v42, v43
	v_fma_f32 v4, -v41, v7, v4
	v_div_fmas_f32 v4, v4, v43, v7
	v_div_fixup_f32 v2, v4, v2, 1.0
	s_waitcnt vmcnt(0)
	v_lshlrev_b32_e32 v4, 16, v38
	v_pk_mul_f32 v[6:7], v[2:3], v[4:5]
	v_mov_b32_e32 v6, v7
	v_pk_fma_f32 v[6:7], v[2:3], v[4:5], v[6:7]
	v_cmp_nlt_f32_e64 s[36:37], |v6|, s9
                                        ; implicit-def: $vgpr4
	s_and_saveexec_b64 s[70:71], s[36:37]
	s_xor_b64 s[36:37], exec, s[70:71]
	s_cbranch_execz .LBB13_11
; %bb.10:                               ;   in Loop: Header=BB13_3 Depth=1
	v_add_f32_e64 v4, |v6|, |v6|
	v_mul_f32_e32 v7, 0x3fb8aa3b, v4
	v_rndne_f32_e32 v38, v7
	v_sub_f32_e32 v41, v7, v38
	v_fma_f32 v7, v4, s17, -v7
	v_fmac_f32_e32 v7, 0x32a5705f, v4
	v_add_f32_e32 v7, v41, v7
	v_cvt_i32_f32_e32 v38, v38
	v_exp_f32_e32 v7, v7
	v_cmp_ngt_f32_e32 vcc, s62, v4
	v_ldexp_f32 v7, v7, v38
	v_cndmask_b32_e32 v7, 0, v7, vcc
	v_cmp_nlt_f32_e32 vcc, s63, v4
	v_cndmask_b32_e32 v4, v24, v7, vcc
	v_add_f32_e32 v4, 1.0, v4
	v_rcp_f32_e32 v4, v4
	v_fma_f32 v4, v4, -2.0, 1.0
.LBB13_11:                              ;   in Loop: Header=BB13_3 Depth=1
	s_andn2_saveexec_b64 s[36:37], s[36:37]
	s_cbranch_execz .LBB13_2
; %bb.12:                               ;   in Loop: Header=BB13_3 Depth=1
	v_mul_f32_e32 v4, v6, v6
	v_mov_b32_e32 v7, 0x3ca908c9
	v_fmac_f32_e32 v7, 0xbbbac73d, v4
	v_fma_f32 v7, v4, v7, v21
	v_fma_f32 v7, v4, v7, v22
	;; [unrolled: 1-line block ×3, first 2 shown]
	v_mul_f32_e64 v7, |v6|, v7
	v_fma_f32 v4, v4, v7, |v6|
	s_branch .LBB13_2
.LBB13_13:
	s_endpgm
	.section	.rodata,"a",@progbits
	.p2align	6, 0x0
	.amdhsa_kernel _ZN2at6native12_GLOBAL__N_16kernel17lstm_cell_forwardIN3c108BFloat16EfiLi2EEEvNS_4cuda6detail10TensorInfoIT_T1_EESB_SB_SB_SB_SB_SB_SB_SA_SA_
		.amdhsa_group_segment_fixed_size 0
		.amdhsa_private_segment_fixed_size 0
		.amdhsa_kernarg_size 1992
		.amdhsa_user_sgpr_count 6
		.amdhsa_user_sgpr_private_segment_buffer 1
		.amdhsa_user_sgpr_dispatch_ptr 0
		.amdhsa_user_sgpr_queue_ptr 0
		.amdhsa_user_sgpr_kernarg_segment_ptr 1
		.amdhsa_user_sgpr_dispatch_id 0
		.amdhsa_user_sgpr_flat_scratch_init 0
		.amdhsa_user_sgpr_kernarg_preload_length 0
		.amdhsa_user_sgpr_kernarg_preload_offset 0
		.amdhsa_user_sgpr_private_segment_size 0
		.amdhsa_uses_dynamic_stack 0
		.amdhsa_system_sgpr_private_segment_wavefront_offset 0
		.amdhsa_system_sgpr_workgroup_id_x 1
		.amdhsa_system_sgpr_workgroup_id_y 0
		.amdhsa_system_sgpr_workgroup_id_z 0
		.amdhsa_system_sgpr_workgroup_info 0
		.amdhsa_system_vgpr_workitem_id 0
		.amdhsa_next_free_vgpr 58
		.amdhsa_next_free_sgpr 72
		.amdhsa_accum_offset 60
		.amdhsa_reserve_vcc 1
		.amdhsa_reserve_flat_scratch 0
		.amdhsa_float_round_mode_32 0
		.amdhsa_float_round_mode_16_64 0
		.amdhsa_float_denorm_mode_32 3
		.amdhsa_float_denorm_mode_16_64 3
		.amdhsa_dx10_clamp 1
		.amdhsa_ieee_mode 1
		.amdhsa_fp16_overflow 0
		.amdhsa_tg_split 0
		.amdhsa_exception_fp_ieee_invalid_op 0
		.amdhsa_exception_fp_denorm_src 0
		.amdhsa_exception_fp_ieee_div_zero 0
		.amdhsa_exception_fp_ieee_overflow 0
		.amdhsa_exception_fp_ieee_underflow 0
		.amdhsa_exception_fp_ieee_inexact 0
		.amdhsa_exception_int_div_zero 0
	.end_amdhsa_kernel
	.section	.text._ZN2at6native12_GLOBAL__N_16kernel17lstm_cell_forwardIN3c108BFloat16EfiLi2EEEvNS_4cuda6detail10TensorInfoIT_T1_EESB_SB_SB_SB_SB_SB_SB_SA_SA_,"axG",@progbits,_ZN2at6native12_GLOBAL__N_16kernel17lstm_cell_forwardIN3c108BFloat16EfiLi2EEEvNS_4cuda6detail10TensorInfoIT_T1_EESB_SB_SB_SB_SB_SB_SB_SA_SA_,comdat
.Lfunc_end13:
	.size	_ZN2at6native12_GLOBAL__N_16kernel17lstm_cell_forwardIN3c108BFloat16EfiLi2EEEvNS_4cuda6detail10TensorInfoIT_T1_EESB_SB_SB_SB_SB_SB_SB_SA_SA_, .Lfunc_end13-_ZN2at6native12_GLOBAL__N_16kernel17lstm_cell_forwardIN3c108BFloat16EfiLi2EEEvNS_4cuda6detail10TensorInfoIT_T1_EESB_SB_SB_SB_SB_SB_SB_SA_SA_
                                        ; -- End function
	.section	.AMDGPU.csdata,"",@progbits
; Kernel info:
; codeLenInByte = 4444
; NumSgprs: 76
; NumVgprs: 58
; NumAgprs: 0
; TotalNumVgprs: 58
; ScratchSize: 0
; MemoryBound: 0
; FloatMode: 240
; IeeeMode: 1
; LDSByteSize: 0 bytes/workgroup (compile time only)
; SGPRBlocks: 9
; VGPRBlocks: 7
; NumSGPRsForWavesPerEU: 76
; NumVGPRsForWavesPerEU: 58
; AccumOffset: 60
; Occupancy: 8
; WaveLimiterHint : 1
; COMPUTE_PGM_RSRC2:SCRATCH_EN: 0
; COMPUTE_PGM_RSRC2:USER_SGPR: 6
; COMPUTE_PGM_RSRC2:TRAP_HANDLER: 0
; COMPUTE_PGM_RSRC2:TGID_X_EN: 1
; COMPUTE_PGM_RSRC2:TGID_Y_EN: 0
; COMPUTE_PGM_RSRC2:TGID_Z_EN: 0
; COMPUTE_PGM_RSRC2:TIDIG_COMP_CNT: 0
; COMPUTE_PGM_RSRC3_GFX90A:ACCUM_OFFSET: 14
; COMPUTE_PGM_RSRC3_GFX90A:TG_SPLIT: 0
	.section	.text._ZN2at6native12_GLOBAL__N_16kernel17lstm_cell_forwardIN3c108BFloat16EflLi1EEEvNS_4cuda6detail10TensorInfoIT_T1_EESB_SB_SB_SB_SB_SB_SB_SA_SA_,"axG",@progbits,_ZN2at6native12_GLOBAL__N_16kernel17lstm_cell_forwardIN3c108BFloat16EflLi1EEEvNS_4cuda6detail10TensorInfoIT_T1_EESB_SB_SB_SB_SB_SB_SB_SA_SA_,comdat
	.globl	_ZN2at6native12_GLOBAL__N_16kernel17lstm_cell_forwardIN3c108BFloat16EflLi1EEEvNS_4cuda6detail10TensorInfoIT_T1_EESB_SB_SB_SB_SB_SB_SB_SA_SA_ ; -- Begin function _ZN2at6native12_GLOBAL__N_16kernel17lstm_cell_forwardIN3c108BFloat16EflLi1EEEvNS_4cuda6detail10TensorInfoIT_T1_EESB_SB_SB_SB_SB_SB_SB_SA_SA_
	.p2align	8
	.type	_ZN2at6native12_GLOBAL__N_16kernel17lstm_cell_forwardIN3c108BFloat16EflLi1EEEvNS_4cuda6detail10TensorInfoIT_T1_EESB_SB_SB_SB_SB_SB_SB_SA_SA_,@function
_ZN2at6native12_GLOBAL__N_16kernel17lstm_cell_forwardIN3c108BFloat16EflLi1EEEvNS_4cuda6detail10TensorInfoIT_T1_EESB_SB_SB_SB_SB_SB_SB_SA_SA_: ; @_ZN2at6native12_GLOBAL__N_16kernel17lstm_cell_forwardIN3c108BFloat16EflLi1EEEvNS_4cuda6detail10TensorInfoIT_T1_EESB_SB_SB_SB_SB_SB_SB_SA_SA_
; %bb.0:
	s_load_dword s2, s[4:5], 0xd1c
	s_load_dwordx4 s[8:11], s[4:5], 0xd00
	s_add_u32 s0, s4, 0xd10
	s_addc_u32 s1, s5, 0
	v_mov_b32_e32 v2, 0
	s_waitcnt lgkmcnt(0)
	s_and_b32 s30, s2, 0xffff
	s_mul_i32 s6, s6, s30
	v_add_u32_e32 v0, s6, v0
	v_mov_b32_e32 v1, v2
	v_cmp_gt_i64_e32 vcc, s[10:11], v[0:1]
	s_and_saveexec_b64 s[2:3], vcc
	s_cbranch_execz .LBB14_17
; %bb.1:
	s_load_dwordx2 s[2:3], s[4:5], 0x0
	s_load_dwordx2 s[6:7], s[4:5], 0xd0
	;; [unrolled: 1-line block ×12, first 2 shown]
	s_load_dword s31, s[0:1], 0x0
	s_load_dwordx2 s[42:43], s[4:5], 0x9c0
	s_load_dwordx2 s[50:51], s[4:5], 0xa90
                                        ; kill: killed $sgpr0 killed $sgpr1
	s_load_dwordx2 s[24:25], s[4:5], 0xb60
	s_load_dwordx2 s[26:27], s[4:5], 0xc30
	s_waitcnt lgkmcnt(0)
	s_cmp_lg_u64 s[16:17], 0
	s_mul_i32 s0, s9, 3
	s_mul_hi_u32 s1, s8, 3
	s_cselect_b64 s[28:29], -1, 0
	s_add_i32 s45, s1, s0
	v_mul_lo_u32 v3, 0, s36
	v_mul_lo_u32 v6, v0, s37
	v_mad_u64_u32 v[4:5], s[0:1], v0, s36, 0
	s_mul_i32 s33, s31, s30
	v_add3_u32 v5, v5, v6, v3
	s_sub_u32 s47, 0, s8
	v_lshlrev_b64 v[4:5], 1, v[4:5]
	s_mul_i32 s0, s33, s37
	s_mul_hi_u32 s1, s33, s36
	s_subb_u32 s48, 0, s9
	v_mov_b32_e32 v3, s35
	v_add_co_u32_e32 v4, vcc, s34, v4
	s_add_i32 s1, s1, s0
	s_mul_i32 s0, s33, s36
	v_addc_co_u32_e32 v5, vcc, v3, v5, vcc
	s_lshl_b64 s[30:31], s[0:1], 1
	v_mul_lo_u32 v3, 0, s40
	v_mul_lo_u32 v8, v0, s41
	v_mad_u64_u32 v[6:7], s[0:1], v0, s40, 0
	v_add3_u32 v7, v7, v8, v3
	v_lshlrev_b64 v[6:7], 1, v[6:7]
	s_mul_i32 s0, s33, s41
	s_mul_hi_u32 s1, s33, s40
	v_mov_b32_e32 v3, s39
	v_add_co_u32_e32 v6, vcc, s38, v6
	s_add_i32 s1, s1, s0
	s_mul_i32 s0, s33, s40
	v_addc_co_u32_e32 v7, vcc, v3, v7, vcc
	s_lshl_b64 s[34:35], s[0:1], 1
	v_mul_lo_u32 v3, 0, s50
	v_mul_lo_u32 v10, v0, s51
	v_mad_u64_u32 v[8:9], s[0:1], v0, s50, 0
	v_add3_u32 v9, v9, v10, v3
	v_lshlrev_b64 v[8:9], 1, v[8:9]
	s_mul_i32 s0, s33, s51
	s_mul_hi_u32 s1, s33, s50
	v_mov_b32_e32 v3, s43
	v_add_co_u32_e32 v8, vcc, s42, v8
	s_add_i32 s1, s1, s0
	s_mul_i32 s0, s33, s50
	s_mov_b64 s[4:5], 0
	s_mov_b32 s44, 0
	s_mul_i32 s46, s8, 3
	v_addc_co_u32_e32 v9, vcc, v3, v9, vcc
	s_lshl_b64 s[36:37], s[0:1], 1
	s_mov_b32 s49, 0x5040100
	s_mov_b32 s50, 0x3f200000
	;; [unrolled: 1-line block ×5, first 2 shown]
	v_mov_b32_e32 v24, 0xbd5c1c4e
	v_mov_b32_e32 v25, 0x3e088382
	;; [unrolled: 1-line block ×3, first 2 shown]
	s_mov_b32 s54, 0xbfb8aa3b
	s_mov_b32 s55, 0x42ce8ed0
	;; [unrolled: 1-line block ×3, first 2 shown]
	s_brev_b32 s57, -2
	s_movk_i32 s58, 0x7fff
	v_mov_b32_e32 v27, 0x7f800000
	v_mov_b32_e32 v28, 0x7fc0
	s_branch .LBB14_3
.LBB14_2:                               ;   in Loop: Header=BB14_3 Depth=1
	s_or_b64 exec, exec, s[0:1]
	v_lshlrev_b32_e32 v17, 16, v17
	v_lshlrev_b32_e32 v23, 16, v29
	v_add_f32_e32 v17, v17, v23
	v_lshlrev_b32_e32 v23, 16, v30
	v_add_f32_e32 v17, v17, v23
	v_lshlrev_b32_e32 v23, 16, v31
	v_add_f32_e32 v17, v17, v23
	v_mul_f32_e32 v23, 0xbfb8aa3b, v17
	v_fma_f32 v29, v17, s54, -v23
	v_rndne_f32_e32 v30, v23
	v_fmac_f32_e32 v29, 0xb2a5705f, v17
	v_sub_f32_e32 v23, v23, v30
	v_add_f32_e32 v23, v23, v29
	v_exp_f32_e32 v23, v23
	v_cvt_i32_f32_e32 v29, v30
	v_cmp_nlt_f32_e32 vcc, s55, v17
	v_mul_lo_u32 v3, v3, s26
	v_ldexp_f32 v23, v23, v29
	v_cndmask_b32_e32 v23, 0, v23, vcc
	v_cmp_ngt_f32_e32 vcc, s56, v17
	v_cndmask_b32_e32 v17, v27, v23, vcc
	v_add_f32_e32 v17, 1.0, v17
	v_div_scale_f32 v23, s[0:1], v17, v17, 1.0
	v_rcp_f32_e32 v29, v23
	v_fma_f32 v30, -v23, v29, 1.0
	v_fmac_f32_e32 v29, v30, v29
	v_div_scale_f32 v30, vcc, 1.0, v17, 1.0
	v_mul_f32_e32 v31, v30, v29
	v_fma_f32 v32, -v23, v31, v30
	v_fmac_f32_e32 v31, v32, v29
	v_fma_f32 v23, -v23, v31, v30
	v_div_fmas_f32 v23, v23, v29, v31
	v_div_fixup_f32 v17, v23, v17, 1.0
	v_mul_lo_u32 v23, v10, s27
	v_mad_u64_u32 v[30:31], s[0:1], v10, s26, 0
	v_add3_u32 v31, v31, v23, v3
	v_lshlrev_b64 v[30:31], 1, v[30:31]
	v_mul_lo_u32 v23, v11, s26
	v_mul_lo_u32 v29, v12, s27
	v_mad_u64_u32 v[10:11], s[0:1], v12, s26, 0
	v_mov_b32_e32 v3, s25
	v_add_co_u32_e32 v30, vcc, s24, v30
	v_add3_u32 v11, v11, v29, v23
	v_addc_co_u32_e32 v31, vcc, v3, v31, vcc
	v_lshlrev_b64 v[10:11], 1, v[10:11]
	v_mul_lo_u32 v23, v13, s26
	v_mul_lo_u32 v29, v14, s27
	v_mad_u64_u32 v[12:13], s[0:1], v14, s26, 0
	v_add_co_u32_e32 v10, vcc, s24, v10
	v_add3_u32 v13, v13, v29, v23
	v_addc_co_u32_e32 v11, vcc, v3, v11, vcc
	v_lshlrev_b64 v[12:13], 1, v[12:13]
	v_mul_lo_u32 v23, v15, s26
	v_mul_lo_u32 v29, v16, s27
	v_mad_u64_u32 v[14:15], s[0:1], v16, s26, 0
	v_add_co_u32_e32 v12, vcc, s24, v12
	v_add3_u32 v15, v15, v29, v23
	v_addc_co_u32_e32 v13, vcc, v3, v13, vcc
	v_lshlrev_b64 v[14:15], 1, v[14:15]
	v_add_co_u32_e32 v14, vcc, s24, v14
	v_addc_co_u32_e32 v15, vcc, v3, v15, vcc
	v_bfi_b32 v3, s57, v20, v22
	v_mul_f32_e32 v3, v17, v3
	v_bfe_u32 v16, v3, 16, 1
	v_add3_u32 v16, v3, v16, s58
	v_lshrrev_b32_e32 v16, 16, v16
	v_cmp_o_f32_e32 vcc, v3, v3
	v_cndmask_b32_e32 v3, v28, v16, vcc
	global_store_short v[6:7], v3, off
	v_bfe_u32 v3, v22, 16, 1
	v_add3_u32 v3, v22, v3, s58
	v_lshrrev_b32_e32 v3, 16, v3
	v_cmp_o_f32_e32 vcc, v22, v22
	v_cndmask_b32_e32 v3, v28, v3, vcc
	global_store_short v[8:9], v3, off
	v_bfe_u32 v3, v19, 16, 1
	v_add3_u32 v3, v19, v3, s58
	v_lshrrev_b32_e32 v3, 16, v3
	v_cmp_o_f32_e32 vcc, v19, v19
	v_cndmask_b32_e32 v3, v28, v3, vcc
	global_store_short v[30:31], v3, off
	v_bfe_u32 v3, v18, 16, 1
	v_add3_u32 v3, v18, v3, s58
	v_lshrrev_b32_e32 v3, 16, v3
	v_cmp_o_f32_e32 vcc, v18, v18
	v_cndmask_b32_e32 v3, v28, v3, vcc
	global_store_short v[10:11], v3, off
	v_bfe_u32 v3, v21, 16, 1
	v_add3_u32 v3, v21, v3, s58
	v_lshrrev_b32_e32 v3, 16, v3
	v_cmp_o_f32_e32 vcc, v21, v21
	v_cndmask_b32_e32 v3, v28, v3, vcc
	global_store_short v[12:13], v3, off
	v_bfe_u32 v3, v17, 16, 1
	v_add3_u32 v3, v17, v3, s58
	v_lshrrev_b32_e32 v3, 16, v3
	v_cmp_o_f32_e32 vcc, v17, v17
	v_cndmask_b32_e32 v3, v28, v3, vcc
	global_store_short v[14:15], v3, off
	v_mov_b32_e32 v3, s44
	v_add_co_u32_e32 v0, vcc, s33, v0
	v_addc_co_u32_e32 v1, vcc, v1, v3, vcc
	v_mov_b32_e32 v3, s31
	v_add_co_u32_e32 v4, vcc, s30, v4
	v_addc_co_u32_e32 v5, vcc, v5, v3, vcc
	;; [unrolled: 3-line block ×3, first 2 shown]
	v_cmp_le_i64_e32 vcc, s[10:11], v[0:1]
	v_mov_b32_e32 v3, s37
	s_or_b64 s[4:5], vcc, s[4:5]
	v_add_co_u32_e32 v8, vcc, s36, v8
	v_addc_co_u32_e32 v9, vcc, v9, v3, vcc
	s_andn2_b64 exec, exec, s[4:5]
	s_cbranch_execz .LBB14_17
.LBB14_3:                               ; =>This Inner Loop Header: Depth=1
	v_or_b32_e32 v3, s9, v1
	v_cmp_ne_u64_e32 vcc, 0, v[2:3]
                                        ; implicit-def: $vgpr18_vgpr19
	s_and_saveexec_b64 s[0:1], vcc
	s_xor_b64 s[38:39], exec, s[0:1]
	s_cbranch_execz .LBB14_5
; %bb.4:                                ;   in Loop: Header=BB14_3 Depth=1
	s_ashr_i32 s40, s9, 31
	s_add_u32 s0, s8, s40
	s_mov_b32 s41, s40
	s_addc_u32 s1, s9, s40
	s_xor_b64 s[42:43], s[0:1], s[40:41]
	v_cvt_f32_u32_e32 v3, s42
	v_cvt_f32_u32_e32 v10, s43
	s_sub_u32 s0, 0, s42
	s_subb_u32 s1, 0, s43
	v_mac_f32_e32 v3, 0x4f800000, v10
	v_rcp_f32_e32 v3, v3
	v_mul_f32_e32 v3, 0x5f7ffffc, v3
	v_mul_f32_e32 v10, 0x2f800000, v3
	v_trunc_f32_e32 v10, v10
	v_mac_f32_e32 v3, 0xcf800000, v10
	v_cvt_u32_f32_e32 v10, v10
	v_cvt_u32_f32_e32 v3, v3
	v_mul_lo_u32 v11, s0, v10
	v_mul_hi_u32 v13, s0, v3
	v_mul_lo_u32 v12, s1, v3
	v_add_u32_e32 v11, v13, v11
	v_mul_lo_u32 v14, s0, v3
	v_add_u32_e32 v11, v11, v12
	v_mul_lo_u32 v13, v3, v11
	v_mul_hi_u32 v15, v3, v14
	v_mul_hi_u32 v12, v3, v11
	v_add_co_u32_e32 v13, vcc, v15, v13
	v_addc_co_u32_e32 v12, vcc, 0, v12, vcc
	v_mul_hi_u32 v16, v10, v14
	v_mul_lo_u32 v14, v10, v14
	v_add_co_u32_e32 v13, vcc, v13, v14
	v_mul_hi_u32 v15, v10, v11
	v_addc_co_u32_e32 v12, vcc, v12, v16, vcc
	v_addc_co_u32_e32 v13, vcc, 0, v15, vcc
	v_mul_lo_u32 v11, v10, v11
	v_add_co_u32_e32 v11, vcc, v12, v11
	v_addc_co_u32_e32 v12, vcc, 0, v13, vcc
	v_add_co_u32_e32 v3, vcc, v3, v11
	v_addc_co_u32_e32 v10, vcc, v10, v12, vcc
	v_mul_lo_u32 v11, s0, v10
	v_mul_hi_u32 v12, s0, v3
	v_add_u32_e32 v11, v12, v11
	v_mul_lo_u32 v12, s1, v3
	v_add_u32_e32 v11, v11, v12
	v_mul_lo_u32 v13, s0, v3
	v_mul_hi_u32 v14, v10, v13
	v_mul_lo_u32 v15, v10, v13
	v_mul_lo_u32 v17, v3, v11
	v_mul_hi_u32 v13, v3, v13
	v_mul_hi_u32 v16, v3, v11
	v_add_co_u32_e32 v13, vcc, v13, v17
	v_addc_co_u32_e32 v16, vcc, 0, v16, vcc
	v_add_co_u32_e32 v13, vcc, v13, v15
	v_mul_hi_u32 v12, v10, v11
	v_addc_co_u32_e32 v13, vcc, v16, v14, vcc
	v_addc_co_u32_e32 v12, vcc, 0, v12, vcc
	v_mul_lo_u32 v11, v10, v11
	v_add_co_u32_e32 v11, vcc, v13, v11
	v_addc_co_u32_e32 v12, vcc, 0, v12, vcc
	v_add_co_u32_e32 v3, vcc, v3, v11
	v_addc_co_u32_e32 v12, vcc, v10, v12, vcc
	v_ashrrev_i32_e32 v14, 31, v1
	v_add_co_u32_e32 v10, vcc, v0, v14
	v_addc_co_u32_e32 v11, vcc, v1, v14, vcc
	v_xor_b32_e32 v16, v10, v14
	v_xor_b32_e32 v15, v11, v14
	v_mad_u64_u32 v[10:11], s[0:1], v16, v12, 0
	v_mul_hi_u32 v13, v16, v3
	v_add_co_u32_e32 v17, vcc, v13, v10
	v_addc_co_u32_e32 v18, vcc, 0, v11, vcc
	v_mad_u64_u32 v[10:11], s[0:1], v15, v12, 0
	v_mad_u64_u32 v[12:13], s[0:1], v15, v3, 0
	v_add_co_u32_e32 v3, vcc, v17, v12
	v_addc_co_u32_e32 v3, vcc, v18, v13, vcc
	v_addc_co_u32_e32 v11, vcc, 0, v11, vcc
	v_add_co_u32_e32 v3, vcc, v3, v10
	v_addc_co_u32_e32 v12, vcc, 0, v11, vcc
	v_mul_lo_u32 v13, s43, v3
	v_mul_lo_u32 v17, s42, v12
	v_mad_u64_u32 v[10:11], s[0:1], s42, v3, 0
	v_add3_u32 v11, v11, v17, v13
	v_sub_u32_e32 v13, v15, v11
	v_mov_b32_e32 v17, s43
	v_sub_co_u32_e32 v10, vcc, v16, v10
	v_subb_co_u32_e64 v13, s[0:1], v13, v17, vcc
	v_subrev_co_u32_e64 v16, s[0:1], s42, v10
	v_subbrev_co_u32_e64 v13, s[0:1], 0, v13, s[0:1]
	v_cmp_le_u32_e64 s[0:1], s43, v13
	v_cndmask_b32_e64 v17, 0, -1, s[0:1]
	v_cmp_le_u32_e64 s[0:1], s42, v16
	v_cndmask_b32_e64 v16, 0, -1, s[0:1]
	v_cmp_eq_u32_e64 s[0:1], s43, v13
	v_cndmask_b32_e64 v13, v17, v16, s[0:1]
	v_add_co_u32_e64 v16, s[0:1], 2, v3
	v_subb_co_u32_e32 v11, vcc, v15, v11, vcc
	v_addc_co_u32_e64 v17, s[0:1], 0, v12, s[0:1]
	v_cmp_le_u32_e32 vcc, s43, v11
	v_add_co_u32_e64 v18, s[0:1], 1, v3
	v_cndmask_b32_e64 v15, 0, -1, vcc
	v_cmp_le_u32_e32 vcc, s42, v10
	v_addc_co_u32_e64 v19, s[0:1], 0, v12, s[0:1]
	v_cndmask_b32_e64 v10, 0, -1, vcc
	v_cmp_eq_u32_e32 vcc, s43, v11
	v_cmp_ne_u32_e64 s[0:1], 0, v13
	v_cndmask_b32_e32 v10, v15, v10, vcc
	v_cmp_ne_u32_e32 vcc, 0, v10
	v_cndmask_b32_e64 v11, v18, v16, s[0:1]
	v_cndmask_b32_e64 v13, v19, v17, s[0:1]
	v_cndmask_b32_e32 v3, v3, v11, vcc
	v_xor_b32_e32 v11, s40, v14
	v_cndmask_b32_e32 v10, v12, v13, vcc
	v_xor_b32_e32 v3, v3, v11
	v_xor_b32_e32 v10, v10, v11
	v_sub_co_u32_e32 v18, vcc, v3, v11
	v_subb_co_u32_e32 v19, vcc, v10, v11, vcc
.LBB14_5:                               ;   in Loop: Header=BB14_3 Depth=1
	s_andn2_saveexec_b64 s[0:1], s[38:39]
	s_cbranch_execz .LBB14_7
; %bb.6:                                ;   in Loop: Header=BB14_3 Depth=1
	v_cvt_f32_u32_e32 v3, s8
	s_sub_i32 s38, 0, s8
	v_mov_b32_e32 v19, v2
	v_rcp_iflag_f32_e32 v3, v3
	v_mul_f32_e32 v3, 0x4f7ffffe, v3
	v_cvt_u32_f32_e32 v3, v3
	v_mul_lo_u32 v10, s38, v3
	v_mul_hi_u32 v10, v3, v10
	v_add_u32_e32 v3, v3, v10
	v_mul_hi_u32 v3, v0, v3
	v_mul_lo_u32 v10, v3, s8
	v_sub_u32_e32 v10, v0, v10
	v_add_u32_e32 v11, 1, v3
	v_subrev_u32_e32 v12, s8, v10
	v_cmp_le_u32_e32 vcc, s8, v10
	v_cndmask_b32_e32 v10, v10, v12, vcc
	v_cndmask_b32_e32 v3, v3, v11, vcc
	v_add_u32_e32 v11, 1, v3
	v_cmp_le_u32_e32 vcc, s8, v10
	v_cndmask_b32_e32 v18, v3, v11, vcc
.LBB14_7:                               ;   in Loop: Header=BB14_3 Depth=1
	s_or_b64 exec, exec, s[0:1]
	v_mad_u64_u32 v[10:11], s[0:1], s46, v18, v[0:1]
	v_mul_lo_u32 v3, s46, v19
	v_mul_lo_u32 v12, s45, v18
	v_add3_u32 v3, v12, v11, v3
	v_mul_lo_u32 v11, v10, s7
	v_mul_lo_u32 v14, v3, s6
	v_mad_u64_u32 v[12:13], s[0:1], v10, s6, 0
	v_add3_u32 v13, v13, v11, v14
	v_lshlrev_b64 v[12:13], 1, v[12:13]
	v_mov_b32_e32 v29, s3
	v_add_co_u32_e32 v20, vcc, s2, v12
	v_addc_co_u32_e32 v21, vcc, v29, v13, vcc
	v_mad_u64_u32 v[12:13], s[0:1], v18, 3, 1
	v_lshl_add_u32 v32, v19, 1, v19
	v_add_u32_e32 v11, v32, v13
	v_mul_lo_u32 v14, s9, v12
	v_mul_lo_u32 v11, s8, v11
	v_mad_u64_u32 v[12:13], s[0:1], s8, v12, v[0:1]
	v_add3_u32 v11, v14, v13, v11
	v_mul_lo_u32 v13, v11, s6
	v_mul_lo_u32 v16, v12, s7
	v_mad_u64_u32 v[14:15], s[0:1], v12, s6, 0
	v_add3_u32 v15, v15, v16, v13
	v_lshlrev_b64 v[14:15], 1, v[14:15]
	v_add_co_u32_e32 v22, vcc, s2, v14
	v_addc_co_u32_e32 v23, vcc, v29, v15, vcc
	v_mad_u64_u32 v[14:15], s[0:1], v18, 3, 2
	v_add_u32_e32 v13, v32, v15
	v_mul_lo_u32 v16, s9, v14
	v_mul_lo_u32 v13, s8, v13
	v_mad_u64_u32 v[14:15], s[0:1], s8, v14, v[0:1]
	v_add3_u32 v13, v16, v15, v13
	v_mul_lo_u32 v15, v13, s6
	v_mul_lo_u32 v30, v14, s7
	v_mad_u64_u32 v[16:17], s[0:1], v14, s6, 0
	v_add3_u32 v17, v17, v30, v15
	v_lshlrev_b64 v[16:17], 1, v[16:17]
	v_add_co_u32_e32 v30, vcc, s2, v16
	v_addc_co_u32_e32 v31, vcc, v29, v17, vcc
	v_mad_u64_u32 v[16:17], s[0:1], v18, 3, 3
	v_add_u32_e32 v15, v32, v17
	v_mul_lo_u32 v32, s9, v16
	v_mul_lo_u32 v15, s8, v15
	v_mad_u64_u32 v[16:17], s[0:1], s8, v16, v[0:1]
	v_add3_u32 v15, v32, v17, v15
	v_mul_lo_u32 v17, v15, s6
	v_mul_lo_u32 v34, v16, s7
	v_mad_u64_u32 v[32:33], s[0:1], v16, s6, 0
	v_add3_u32 v33, v33, v34, v17
	v_lshlrev_b64 v[32:33], 1, v[32:33]
	v_add_co_u32_e32 v34, vcc, s2, v32
	v_addc_co_u32_e32 v35, vcc, v29, v33, vcc
	global_load_ushort v21, v[20:21], off
	s_nop 0
	global_load_ushort v22, v[22:23], off
	s_nop 0
	global_load_ushort v33, v[30:31], off
	global_load_ushort v17, v[34:35], off
	v_mul_lo_u32 v20, v10, s15
	v_mul_lo_u32 v23, v3, s14
	v_mad_u64_u32 v[30:31], s[0:1], v10, s14, 0
	v_add3_u32 v31, v31, v20, v23
	v_lshlrev_b64 v[30:31], 1, v[30:31]
	v_mul_lo_u32 v23, v11, s14
	v_mul_lo_u32 v29, v12, s15
	v_mad_u64_u32 v[34:35], s[0:1], v12, s14, 0
	v_mov_b32_e32 v20, s13
	v_add_co_u32_e32 v30, vcc, s12, v30
	v_add3_u32 v35, v35, v29, v23
	v_addc_co_u32_e32 v31, vcc, v20, v31, vcc
	v_lshlrev_b64 v[34:35], 1, v[34:35]
	v_mul_lo_u32 v23, v13, s14
	v_mul_lo_u32 v29, v14, s15
	v_mad_u64_u32 v[36:37], s[0:1], v14, s14, 0
	v_add_co_u32_e32 v34, vcc, s12, v34
	v_add3_u32 v37, v37, v29, v23
	v_addc_co_u32_e32 v35, vcc, v20, v35, vcc
	v_lshlrev_b64 v[36:37], 1, v[36:37]
	v_mul_lo_u32 v23, v15, s14
	v_mul_lo_u32 v29, v16, s15
	v_mad_u64_u32 v[38:39], s[0:1], v16, s14, 0
	v_add_co_u32_e32 v36, vcc, s12, v36
	v_add3_u32 v39, v39, v29, v23
	v_addc_co_u32_e32 v37, vcc, v20, v37, vcc
	v_lshlrev_b64 v[38:39], 1, v[38:39]
	v_add_co_u32_e32 v38, vcc, s12, v38
	v_addc_co_u32_e32 v39, vcc, v20, v39, vcc
	global_load_ushort v23, v[30:31], off
	global_load_ushort v32, v[34:35], off
	s_nop 0
	global_load_ushort v34, v[36:37], off
	global_load_ushort v29, v[38:39], off
	global_load_ushort v20, v[4:5], off
	s_andn2_b64 vcc, exec, s[28:29]
	v_mov_b32_e32 v31, 0
	v_mov_b32_e32 v35, 0
	;; [unrolled: 1-line block ×6, first 2 shown]
	s_cbranch_vccnz .LBB14_9
; %bb.8:                                ;   in Loop: Header=BB14_3 Depth=1
	v_mad_u64_u32 v[36:37], s[0:1], s47, v18, v[0:1]
	v_mul_lo_u32 v30, s47, v19
	v_mul_lo_u32 v31, s48, v18
	v_add3_u32 v35, v31, v37, v30
	v_mul_lo_u32 v37, v36, s19
	v_mul_lo_u32 v38, v35, s18
	v_mad_u64_u32 v[30:31], s[0:1], v36, s18, 0
	v_add3_u32 v31, v31, v37, v38
	v_lshlrev_b64 v[30:31], 1, v[30:31]
	v_mov_b32_e32 v37, s17
	v_add_co_u32_e32 v30, vcc, s16, v30
	v_addc_co_u32_e32 v31, vcc, v37, v31, vcc
	v_sub_co_u32_e32 v38, vcc, 1, v18
	v_subb_co_u32_e32 v39, vcc, 0, v19, vcc
	v_mul_lo_u32 v40, s8, v39
	v_mul_lo_u32 v41, s9, v38
	v_mad_u64_u32 v[38:39], s[0:1], s8, v38, v[0:1]
	v_add3_u32 v39, v41, v39, v40
	v_mul_lo_u32 v42, v39, s18
	v_mul_lo_u32 v43, v38, s19
	v_mad_u64_u32 v[40:41], s[0:1], v38, s18, 0
	v_add3_u32 v41, v41, v43, v42
	v_lshlrev_b64 v[40:41], 1, v[40:41]
	v_add_co_u32_e32 v40, vcc, s16, v40
	v_addc_co_u32_e32 v41, vcc, v37, v41, vcc
	v_sub_co_u32_e32 v42, vcc, 2, v18
	v_subb_co_u32_e32 v43, vcc, 0, v19, vcc
	v_mul_lo_u32 v44, s8, v43
	v_mul_lo_u32 v45, s9, v42
	v_mad_u64_u32 v[42:43], s[0:1], s8, v42, v[0:1]
	v_add3_u32 v43, v45, v43, v44
	v_mul_lo_u32 v46, v43, s18
	v_mul_lo_u32 v47, v42, s19
	v_mad_u64_u32 v[44:45], s[0:1], v42, s18, 0
	v_add3_u32 v45, v45, v47, v46
	v_lshlrev_b64 v[44:45], 1, v[44:45]
	;; [unrolled: 13-line block ×3, first 2 shown]
	v_add_co_u32_e32 v46, vcc, s16, v46
	v_addc_co_u32_e32 v47, vcc, v37, v47, vcc
	global_load_ushort v48, v[30:31], off
	global_load_ushort v49, v[40:41], off
	;; [unrolled: 1-line block ×3, first 2 shown]
	s_nop 0
	global_load_ushort v30, v[46:47], off
	v_mul_lo_u32 v31, v36, s23
	v_mul_lo_u32 v35, v35, s22
	v_mad_u64_u32 v[40:41], s[0:1], v36, s22, 0
	v_add3_u32 v41, v41, v31, v35
	v_lshlrev_b64 v[40:41], 1, v[40:41]
	v_mul_lo_u32 v35, v39, s22
	v_mul_lo_u32 v36, v38, s23
	v_mad_u64_u32 v[38:39], s[0:1], v38, s22, 0
	v_mov_b32_e32 v31, s21
	v_add_co_u32_e32 v40, vcc, s20, v40
	v_add3_u32 v39, v39, v36, v35
	v_addc_co_u32_e32 v41, vcc, v31, v41, vcc
	v_lshlrev_b64 v[38:39], 1, v[38:39]
	v_mul_lo_u32 v35, v43, s22
	v_mul_lo_u32 v36, v42, s23
	v_mad_u64_u32 v[42:43], s[0:1], v42, s22, 0
	v_add_co_u32_e32 v38, vcc, s20, v38
	v_add3_u32 v43, v43, v36, v35
	v_addc_co_u32_e32 v39, vcc, v31, v39, vcc
	v_lshlrev_b64 v[42:43], 1, v[42:43]
	v_mul_lo_u32 v35, v19, s22
	v_mul_lo_u32 v36, v18, s23
	v_mad_u64_u32 v[18:19], s[0:1], v18, s22, 0
	v_add_co_u32_e32 v42, vcc, s20, v42
	v_add3_u32 v19, v19, v36, v35
	v_addc_co_u32_e32 v43, vcc, v31, v43, vcc
	v_lshlrev_b64 v[18:19], 1, v[18:19]
	v_add_co_u32_e32 v18, vcc, s20, v18
	v_addc_co_u32_e32 v19, vcc, v31, v19, vcc
	global_load_ushort v36, v[40:41], off
	s_nop 0
	global_load_ushort v39, v[38:39], off
	s_nop 0
	global_load_ushort v38, v[42:43], off
	global_load_ushort v31, v[18:19], off
	s_waitcnt vmcnt(6)
	v_perm_b32 v35, v48, v49, s49
	s_waitcnt vmcnt(2)
	v_perm_b32 v36, v36, v39, s49
.LBB14_9:                               ;   in Loop: Header=BB14_3 Depth=1
	s_waitcnt vmcnt(6)
	v_lshlrev_b32_e32 v18, 16, v33
	s_waitcnt vmcnt(2)
	v_lshlrev_b32_e32 v19, 16, v34
	v_add_f32_e32 v18, v19, v18
	v_lshlrev_b32_e32 v19, 16, v37
	v_add_f32_e32 v18, v18, v19
	s_waitcnt vmcnt(1)
	v_lshlrev_b32_e32 v19, 16, v38
	v_add_f32_e32 v33, v18, v19
	v_cmp_nlt_f32_e64 s[0:1], |v33|, s50
                                        ; implicit-def: $vgpr34
	s_and_saveexec_b64 s[38:39], s[0:1]
	s_xor_b64 s[0:1], exec, s[38:39]
	s_cbranch_execz .LBB14_11
; %bb.10:                               ;   in Loop: Header=BB14_3 Depth=1
	v_add_f32_e64 v18, |v33|, |v33|
	v_mul_f32_e32 v19, 0x3fb8aa3b, v18
	v_rndne_f32_e32 v34, v19
	v_sub_f32_e32 v37, v19, v34
	v_fma_f32 v19, v18, s51, -v19
	v_fmac_f32_e32 v19, 0x32a5705f, v18
	v_add_f32_e32 v19, v37, v19
	v_cvt_i32_f32_e32 v34, v34
	v_exp_f32_e32 v19, v19
	v_cmp_ngt_f32_e32 vcc, s52, v18
	v_ldexp_f32 v19, v19, v34
	v_cndmask_b32_e32 v19, 0, v19, vcc
	v_cmp_nlt_f32_e32 vcc, s53, v18
	v_cndmask_b32_e32 v18, v27, v19, vcc
	v_add_f32_e32 v18, 1.0, v18
	v_rcp_f32_e32 v18, v18
	v_fma_f32 v34, v18, -2.0, 1.0
.LBB14_11:                              ;   in Loop: Header=BB14_3 Depth=1
	s_andn2_saveexec_b64 s[0:1], s[0:1]
; %bb.12:                               ;   in Loop: Header=BB14_3 Depth=1
	v_mul_f32_e32 v18, v33, v33
	v_mov_b32_e32 v19, 0x3ca908c9
	v_fmac_f32_e32 v19, 0xbbbac73d, v18
	v_fma_f32 v19, v18, v19, v24
	v_fma_f32 v19, v18, v19, v25
	;; [unrolled: 1-line block ×3, first 2 shown]
	v_mul_f32_e64 v19, |v33|, v19
	v_fma_f32 v34, v18, v19, |v33|
; %bb.13:                               ;   in Loop: Header=BB14_3 Depth=1
	s_or_b64 exec, exec, s[0:1]
	v_lshlrev_b32_e32 v19, 16, v21
	v_lshlrev_b32_e32 v18, 16, v22
	;; [unrolled: 1-line block ×4, first 2 shown]
	v_pk_add_f32 v[18:19], v[18:19], v[22:23]
	v_and_b32_e32 v23, 0xffff0000, v35
	v_lshlrev_b32_e32 v22, 16, v35
	v_pk_add_f32 v[18:19], v[18:19], v[22:23]
	v_and_b32_e32 v23, 0xffff0000, v36
	v_lshlrev_b32_e32 v22, 16, v36
	v_pk_add_f32 v[18:19], v[18:19], v[22:23]
	v_mul_f32_e32 v21, 0xbfb8aa3b, v19
	v_fma_f32 v22, v19, s54, -v21
	v_rndne_f32_e32 v23, v21
	v_fmac_f32_e32 v22, 0xb2a5705f, v19
	v_sub_f32_e32 v21, v21, v23
	v_add_f32_e32 v21, v21, v22
	v_exp_f32_e32 v21, v21
	v_cvt_i32_f32_e32 v22, v23
	v_cmp_nlt_f32_e32 vcc, s55, v19
	s_waitcnt vmcnt(0)
	v_lshlrev_b32_e32 v20, 16, v20
	v_ldexp_f32 v21, v21, v22
	v_mul_f32_e32 v22, 0xbfb8aa3b, v18
	v_fma_f32 v23, v18, s54, -v22
	v_rndne_f32_e32 v32, v22
	v_fmac_f32_e32 v23, 0xb2a5705f, v18
	v_sub_f32_e32 v22, v22, v32
	v_add_f32_e32 v22, v22, v23
	v_exp_f32_e32 v22, v22
	v_cvt_i32_f32_e32 v23, v32
	v_cndmask_b32_e32 v21, 0, v21, vcc
	v_cmp_ngt_f32_e32 vcc, s56, v19
	v_cndmask_b32_e32 v19, v27, v21, vcc
	v_ldexp_f32 v21, v22, v23
	v_cmp_nlt_f32_e32 vcc, s55, v18
	v_cndmask_b32_e32 v21, 0, v21, vcc
	v_cmp_ngt_f32_e32 vcc, s56, v18
	v_cndmask_b32_e32 v18, v27, v21, vcc
	v_pk_add_f32 v[18:19], v[18:19], 1.0 op_sel_hi:[1,0]
	v_div_scale_f32 v21, s[0:1], v19, v19, 1.0
	v_rcp_f32_e32 v22, v21
	v_fma_f32 v23, -v21, v22, 1.0
	v_fmac_f32_e32 v22, v23, v22
	v_div_scale_f32 v23, vcc, 1.0, v19, 1.0
	v_mul_f32_e32 v32, v23, v22
	v_fma_f32 v35, -v21, v32, v23
	v_fmac_f32_e32 v32, v35, v22
	v_fma_f32 v21, -v21, v32, v23
	v_div_scale_f32 v23, s[0:1], v18, v18, 1.0
	v_rcp_f32_e32 v35, v23
	v_div_fmas_f32 v21, v21, v22, v32
	v_div_fixup_f32 v19, v21, v19, 1.0
	v_fma_f32 v21, -v23, v35, 1.0
	v_fmac_f32_e32 v35, v21, v35
	v_div_scale_f32 v21, vcc, 1.0, v18, 1.0
	v_mul_f32_e32 v22, v21, v35
	v_fma_f32 v32, -v23, v22, v21
	v_fmac_f32_e32 v22, v32, v35
	v_fma_f32 v21, -v23, v22, v21
	v_div_fmas_f32 v21, v21, v35, v22
	v_div_fixup_f32 v18, v21, v18, 1.0
	v_bfi_b32 v21, s57, v34, v33
	v_pk_mul_f32 v[22:23], v[18:19], v[20:21]
	v_mov_b32_e32 v22, v23
	v_pk_fma_f32 v[22:23], v[18:19], v[20:21], v[22:23]
	v_cmp_nlt_f32_e64 s[0:1], |v22|, s50
                                        ; implicit-def: $vgpr20
	s_and_saveexec_b64 s[38:39], s[0:1]
	s_xor_b64 s[0:1], exec, s[38:39]
	s_cbranch_execz .LBB14_15
; %bb.14:                               ;   in Loop: Header=BB14_3 Depth=1
	v_add_f32_e64 v20, |v22|, |v22|
	v_mul_f32_e32 v23, 0x3fb8aa3b, v20
	v_rndne_f32_e32 v32, v23
	v_sub_f32_e32 v33, v23, v32
	v_fma_f32 v23, v20, s51, -v23
	v_fmac_f32_e32 v23, 0x32a5705f, v20
	v_add_f32_e32 v23, v33, v23
	v_cvt_i32_f32_e32 v32, v32
	v_exp_f32_e32 v23, v23
	v_cmp_ngt_f32_e32 vcc, s52, v20
	v_ldexp_f32 v23, v23, v32
	v_cndmask_b32_e32 v23, 0, v23, vcc
	v_cmp_nlt_f32_e32 vcc, s53, v20
	v_cndmask_b32_e32 v20, v27, v23, vcc
	v_add_f32_e32 v20, 1.0, v20
	v_rcp_f32_e32 v20, v20
	v_fma_f32 v20, v20, -2.0, 1.0
.LBB14_15:                              ;   in Loop: Header=BB14_3 Depth=1
	s_andn2_saveexec_b64 s[0:1], s[0:1]
	s_cbranch_execz .LBB14_2
; %bb.16:                               ;   in Loop: Header=BB14_3 Depth=1
	v_mul_f32_e32 v20, v22, v22
	v_mov_b32_e32 v23, 0x3ca908c9
	v_fmac_f32_e32 v23, 0xbbbac73d, v20
	v_fma_f32 v23, v20, v23, v24
	v_fma_f32 v23, v20, v23, v25
	;; [unrolled: 1-line block ×3, first 2 shown]
	v_mul_f32_e64 v23, |v22|, v23
	v_fma_f32 v20, v20, v23, |v22|
	s_branch .LBB14_2
.LBB14_17:
	s_endpgm
	.section	.rodata,"a",@progbits
	.p2align	6, 0x0
	.amdhsa_kernel _ZN2at6native12_GLOBAL__N_16kernel17lstm_cell_forwardIN3c108BFloat16EflLi1EEEvNS_4cuda6detail10TensorInfoIT_T1_EESB_SB_SB_SB_SB_SB_SB_SA_SA_
		.amdhsa_group_segment_fixed_size 0
		.amdhsa_private_segment_fixed_size 0
		.amdhsa_kernarg_size 3600
		.amdhsa_user_sgpr_count 6
		.amdhsa_user_sgpr_private_segment_buffer 1
		.amdhsa_user_sgpr_dispatch_ptr 0
		.amdhsa_user_sgpr_queue_ptr 0
		.amdhsa_user_sgpr_kernarg_segment_ptr 1
		.amdhsa_user_sgpr_dispatch_id 0
		.amdhsa_user_sgpr_flat_scratch_init 0
		.amdhsa_user_sgpr_kernarg_preload_length 0
		.amdhsa_user_sgpr_kernarg_preload_offset 0
		.amdhsa_user_sgpr_private_segment_size 0
		.amdhsa_uses_dynamic_stack 0
		.amdhsa_system_sgpr_private_segment_wavefront_offset 0
		.amdhsa_system_sgpr_workgroup_id_x 1
		.amdhsa_system_sgpr_workgroup_id_y 0
		.amdhsa_system_sgpr_workgroup_id_z 0
		.amdhsa_system_sgpr_workgroup_info 0
		.amdhsa_system_vgpr_workitem_id 0
		.amdhsa_next_free_vgpr 50
		.amdhsa_next_free_sgpr 59
		.amdhsa_accum_offset 52
		.amdhsa_reserve_vcc 1
		.amdhsa_reserve_flat_scratch 0
		.amdhsa_float_round_mode_32 0
		.amdhsa_float_round_mode_16_64 0
		.amdhsa_float_denorm_mode_32 3
		.amdhsa_float_denorm_mode_16_64 3
		.amdhsa_dx10_clamp 1
		.amdhsa_ieee_mode 1
		.amdhsa_fp16_overflow 0
		.amdhsa_tg_split 0
		.amdhsa_exception_fp_ieee_invalid_op 0
		.amdhsa_exception_fp_denorm_src 0
		.amdhsa_exception_fp_ieee_div_zero 0
		.amdhsa_exception_fp_ieee_overflow 0
		.amdhsa_exception_fp_ieee_underflow 0
		.amdhsa_exception_fp_ieee_inexact 0
		.amdhsa_exception_int_div_zero 0
	.end_amdhsa_kernel
	.section	.text._ZN2at6native12_GLOBAL__N_16kernel17lstm_cell_forwardIN3c108BFloat16EflLi1EEEvNS_4cuda6detail10TensorInfoIT_T1_EESB_SB_SB_SB_SB_SB_SB_SA_SA_,"axG",@progbits,_ZN2at6native12_GLOBAL__N_16kernel17lstm_cell_forwardIN3c108BFloat16EflLi1EEEvNS_4cuda6detail10TensorInfoIT_T1_EESB_SB_SB_SB_SB_SB_SB_SA_SA_,comdat
.Lfunc_end14:
	.size	_ZN2at6native12_GLOBAL__N_16kernel17lstm_cell_forwardIN3c108BFloat16EflLi1EEEvNS_4cuda6detail10TensorInfoIT_T1_EESB_SB_SB_SB_SB_SB_SB_SA_SA_, .Lfunc_end14-_ZN2at6native12_GLOBAL__N_16kernel17lstm_cell_forwardIN3c108BFloat16EflLi1EEEvNS_4cuda6detail10TensorInfoIT_T1_EESB_SB_SB_SB_SB_SB_SB_SA_SA_
                                        ; -- End function
	.section	.AMDGPU.csdata,"",@progbits
; Kernel info:
; codeLenInByte = 4168
; NumSgprs: 63
; NumVgprs: 50
; NumAgprs: 0
; TotalNumVgprs: 50
; ScratchSize: 0
; MemoryBound: 0
; FloatMode: 240
; IeeeMode: 1
; LDSByteSize: 0 bytes/workgroup (compile time only)
; SGPRBlocks: 7
; VGPRBlocks: 6
; NumSGPRsForWavesPerEU: 63
; NumVGPRsForWavesPerEU: 50
; AccumOffset: 52
; Occupancy: 8
; WaveLimiterHint : 1
; COMPUTE_PGM_RSRC2:SCRATCH_EN: 0
; COMPUTE_PGM_RSRC2:USER_SGPR: 6
; COMPUTE_PGM_RSRC2:TRAP_HANDLER: 0
; COMPUTE_PGM_RSRC2:TGID_X_EN: 1
; COMPUTE_PGM_RSRC2:TGID_Y_EN: 0
; COMPUTE_PGM_RSRC2:TGID_Z_EN: 0
; COMPUTE_PGM_RSRC2:TIDIG_COMP_CNT: 0
; COMPUTE_PGM_RSRC3_GFX90A:ACCUM_OFFSET: 12
; COMPUTE_PGM_RSRC3_GFX90A:TG_SPLIT: 0
	.section	.text._ZN2at6native12_GLOBAL__N_16kernel17lstm_cell_forwardIN3c108BFloat16EflLi2EEEvNS_4cuda6detail10TensorInfoIT_T1_EESB_SB_SB_SB_SB_SB_SB_SA_SA_,"axG",@progbits,_ZN2at6native12_GLOBAL__N_16kernel17lstm_cell_forwardIN3c108BFloat16EflLi2EEEvNS_4cuda6detail10TensorInfoIT_T1_EESB_SB_SB_SB_SB_SB_SB_SA_SA_,comdat
	.globl	_ZN2at6native12_GLOBAL__N_16kernel17lstm_cell_forwardIN3c108BFloat16EflLi2EEEvNS_4cuda6detail10TensorInfoIT_T1_EESB_SB_SB_SB_SB_SB_SB_SA_SA_ ; -- Begin function _ZN2at6native12_GLOBAL__N_16kernel17lstm_cell_forwardIN3c108BFloat16EflLi2EEEvNS_4cuda6detail10TensorInfoIT_T1_EESB_SB_SB_SB_SB_SB_SB_SA_SA_
	.p2align	8
	.type	_ZN2at6native12_GLOBAL__N_16kernel17lstm_cell_forwardIN3c108BFloat16EflLi2EEEvNS_4cuda6detail10TensorInfoIT_T1_EESB_SB_SB_SB_SB_SB_SB_SA_SA_,@function
_ZN2at6native12_GLOBAL__N_16kernel17lstm_cell_forwardIN3c108BFloat16EflLi2EEEvNS_4cuda6detail10TensorInfoIT_T1_EESB_SB_SB_SB_SB_SB_SB_SA_SA_: ; @_ZN2at6native12_GLOBAL__N_16kernel17lstm_cell_forwardIN3c108BFloat16EflLi2EEEvNS_4cuda6detail10TensorInfoIT_T1_EESB_SB_SB_SB_SB_SB_SB_SA_SA_
; %bb.0:
	s_load_dword s2, s[4:5], 0xd1c
	s_load_dwordx4 s[8:11], s[4:5], 0xd00
	s_add_u32 s0, s4, 0xd10
	s_addc_u32 s1, s5, 0
	v_mov_b32_e32 v2, 0
	s_waitcnt lgkmcnt(0)
	s_and_b32 s7, s2, 0xffff
	s_mul_i32 s6, s6, s7
	v_add_u32_e32 v0, s6, v0
	v_mov_b32_e32 v1, v2
	v_cmp_gt_i64_e32 vcc, s[10:11], v[0:1]
	s_and_saveexec_b64 s[2:3], vcc
	s_cbranch_execz .LBB15_77
; %bb.1:
	v_cvt_f32_u32_e32 v3, s8
	s_load_dwordx2 s[2:3], s[4:5], 0x0
	s_load_dwordx2 s[34:35], s[4:5], 0x10
	s_load_dwordx4 s[12:15], s[4:5], 0xd0
	s_load_dwordx2 s[36:37], s[4:5], 0x1a0
	s_load_dwordx2 s[38:39], s[4:5], 0x340
	;; [unrolled: 1-line block ×7, first 2 shown]
	s_load_dwordx4 s[16:19], s[4:5], 0x750
	s_load_dwordx2 s[50:51], s[4:5], 0x820
	s_load_dwordx2 s[52:53], s[4:5], 0x830
	s_load_dwordx4 s[20:23], s[4:5], 0x8f0
	s_load_dwordx2 s[54:55], s[4:5], 0x9c0
	s_load_dwordx2 s[56:57], s[4:5], 0x9d0
	s_nop 0
	s_load_dword s0, s[0:1], 0x0
	s_nop 0
	s_load_dwordx4 s[24:27], s[4:5], 0xa90
	s_load_dwordx2 s[58:59], s[4:5], 0xb60
	s_load_dwordx2 s[60:61], s[4:5], 0xb70
	s_waitcnt lgkmcnt(0)
	s_cmp_lg_u64 s[38:39], 0
	s_mul_i32 s33, s0, s7
	s_mul_i32 s0, s9, 3
	s_mul_hi_u32 s1, s8, 3
	s_cselect_b64 s[62:63], -1, 0
	s_add_i32 s75, s1, s0
	v_rcp_iflag_f32_e32 v3, v3
	s_sub_u32 s77, 0, s8
	s_subb_u32 s78, 0, s9
	s_sub_u32 s79, 0, s48
	s_load_dwordx2 s[64:65], s[4:5], 0x1b0
	s_load_dwordx4 s[28:31], s[4:5], 0x270
	s_nop 0
	s_load_dwordx4 s[4:7], s[4:5], 0xc30
	s_subb_u32 s80, 0, s49
	v_mul_f32_e32 v3, 0x4f7ffffe, v3
	s_sub_u32 s81, 0, s52
	v_cvt_u32_f32_e32 v33, v3
	s_subb_u32 s82, 0, s53
	s_sub_u32 s83, 0, s56
	s_mov_b32 s74, 0
	s_mul_i32 s76, s8, 3
	s_subb_u32 s84, 0, s57
	s_mov_b32 s85, 0x5040100
	s_mov_b32 s86, 0x3f200000
	;; [unrolled: 1-line block ×5, first 2 shown]
	v_mov_b32_e32 v30, 0xbd5c1c4e
	v_mov_b32_e32 v31, 0x3e088382
	v_mov_b32_e32 v32, 0xbeaaaa99
	s_mov_b32 s90, 0xbfb8aa3b
	s_mov_b32 s91, 0x42ce8ed0
	s_mov_b32 s92, 0xc2b17218
	s_brev_b32 s93, -2
	s_movk_i32 s94, 0x7fff
	v_mov_b32_e32 v34, 0x7f800000
	v_mov_b32_e32 v35, 0x7fc0
	s_mov_b64 s[66:67], 0
	s_branch .LBB15_3
.LBB15_2:                               ;   in Loop: Header=BB15_3 Depth=1
	s_or_b64 exec, exec, s[0:1]
	v_lshlrev_b32_e32 v29, 16, v36
	v_lshlrev_b32_e32 v36, 16, v42
	v_add_f32_e32 v29, v29, v36
	v_lshlrev_b32_e32 v3, 16, v3
	v_add_f32_e32 v3, v29, v3
	;; [unrolled: 2-line block ×3, first 2 shown]
	v_mul_f32_e32 v29, 0xbfb8aa3b, v3
	v_fma_f32 v36, v3, s90, -v29
	v_rndne_f32_e32 v37, v29
	v_fmac_f32_e32 v36, 0xb2a5705f, v3
	v_sub_f32_e32 v29, v29, v37
	v_add_f32_e32 v29, v29, v36
	v_exp_f32_e32 v29, v29
	v_cvt_i32_f32_e32 v36, v37
	v_cmp_nlt_f32_e32 vcc, s91, v3
	v_ldexp_f32 v29, v29, v36
	v_cndmask_b32_e32 v29, 0, v29, vcc
	v_cmp_ngt_f32_e32 vcc, s92, v3
	v_cndmask_b32_e32 v3, v34, v29, vcc
	v_add_f32_e32 v3, 1.0, v3
	v_div_scale_f32 v29, s[0:1], v3, v3, 1.0
	v_rcp_f32_e32 v36, v29
	v_fma_f32 v37, -v29, v36, 1.0
	v_fmac_f32_e32 v36, v37, v36
	v_div_scale_f32 v37, vcc, 1.0, v3, 1.0
	v_mul_f32_e32 v38, v37, v36
	v_fma_f32 v39, -v29, v38, v37
	v_fmac_f32_e32 v38, v39, v36
	v_fma_f32 v29, -v29, v38, v37
	v_div_fmas_f32 v29, v29, v36, v38
	v_div_fixup_f32 v3, v29, v3, 1.0
	v_mad_u64_u32 v[36:37], s[0:1], s83, v24, v[0:1]
	v_mul_lo_u32 v29, s83, v25
	v_mul_lo_u32 v38, s84, v24
	v_add3_u32 v29, v38, v37, v29
	v_mul_lo_u32 v38, v36, s27
	v_mul_lo_u32 v29, v29, s26
	v_mad_u64_u32 v[36:37], s[0:1], v36, s26, 0
	v_add3_u32 v37, v37, v38, v29
	v_mul_lo_u32 v29, v25, s24
	v_mul_lo_u32 v38, v24, s25
	v_mad_u64_u32 v[24:25], s[0:1], v24, s24, 0
	v_add3_u32 v25, v25, v38, v29
	v_lshlrev_b64 v[24:25], 1, v[24:25]
	v_mov_b32_e32 v29, s55
	v_add_co_u32_e32 v38, vcc, s54, v24
	v_addc_co_u32_e32 v29, vcc, v29, v25, vcc
	v_lshlrev_b64 v[24:25], 1, v[36:37]
	v_add_co_u32_e32 v24, vcc, v38, v24
	v_addc_co_u32_e32 v25, vcc, v29, v25, vcc
	v_mad_u64_u32 v[36:37], s[0:1], s81, v20, v[0:1]
	v_mul_lo_u32 v29, s81, v21
	v_mul_lo_u32 v38, s82, v20
	v_add3_u32 v29, v38, v37, v29
	v_mul_lo_u32 v38, v36, s23
	v_mul_lo_u32 v29, v29, s22
	v_mad_u64_u32 v[36:37], s[0:1], v36, s22, 0
	v_add3_u32 v37, v37, v38, v29
	v_mul_lo_u32 v29, v21, s20
	v_mul_lo_u32 v38, v20, s21
	v_mad_u64_u32 v[20:21], s[0:1], v20, s20, 0
	v_add3_u32 v21, v21, v38, v29
	v_lshlrev_b64 v[20:21], 1, v[20:21]
	v_mov_b32_e32 v29, s51
	v_add_co_u32_e32 v38, vcc, s50, v20
	v_addc_co_u32_e32 v29, vcc, v29, v21, vcc
	v_lshlrev_b64 v[20:21], 1, v[36:37]
	v_add_co_u32_e32 v20, vcc, v38, v20
	v_addc_co_u32_e32 v21, vcc, v29, v21, vcc
	v_mul_lo_u32 v29, v19, s60
	v_mul_lo_u32 v38, v18, s61
	v_mad_u64_u32 v[36:37], s[0:1], v18, s60, 0
	v_add3_u32 v29, v37, v38, v29
	v_sub_co_u32_e32 v12, vcc, v12, v36
	v_subb_co_u32_e32 v13, vcc, v13, v29, vcc
	v_add_co_u32_e32 v12, vcc, v0, v12
	v_addc_co_u32_e32 v13, vcc, v1, v13, vcc
	v_mul_lo_u32 v29, v13, s6
	v_mul_lo_u32 v36, v12, s7
	v_mad_u64_u32 v[12:13], s[0:1], v12, s6, 0
	v_add3_u32 v13, v13, v36, v29
	v_mul_lo_u32 v29, v19, s4
	v_mul_lo_u32 v36, v18, s5
	v_mad_u64_u32 v[18:19], s[0:1], v18, s4, 0
	v_add3_u32 v19, v19, v36, v29
	v_lshlrev_b64 v[18:19], 1, v[18:19]
	v_mov_b32_e32 v29, s59
	v_add_co_u32_e32 v18, vcc, s58, v18
	v_addc_co_u32_e32 v19, vcc, v29, v19, vcc
	v_lshlrev_b64 v[12:13], 1, v[12:13]
	v_add_co_u32_e32 v12, vcc, v18, v12
	v_addc_co_u32_e32 v13, vcc, v19, v13, vcc
	v_mul_lo_u32 v36, v17, s60
	v_mul_lo_u32 v37, v16, s61
	v_mad_u64_u32 v[18:19], s[0:1], v16, s60, 0
	v_add3_u32 v19, v19, v37, v36
	v_sub_co_u32_e32 v10, vcc, v10, v18
	v_subb_co_u32_e32 v11, vcc, v11, v19, vcc
	v_add_co_u32_e32 v10, vcc, v0, v10
	v_addc_co_u32_e32 v11, vcc, v1, v11, vcc
	v_mul_lo_u32 v18, v11, s6
	v_mul_lo_u32 v19, v10, s7
	v_mad_u64_u32 v[10:11], s[0:1], v10, s6, 0
	v_add3_u32 v11, v11, v19, v18
	v_mul_lo_u32 v18, v17, s4
	v_mul_lo_u32 v19, v16, s5
	v_mad_u64_u32 v[16:17], s[0:1], v16, s4, 0
	v_add3_u32 v17, v17, v19, v18
	v_lshlrev_b64 v[16:17], 1, v[16:17]
	v_add_co_u32_e32 v16, vcc, s58, v16
	v_addc_co_u32_e32 v17, vcc, v29, v17, vcc
	v_lshlrev_b64 v[10:11], 1, v[10:11]
	v_add_co_u32_e32 v10, vcc, v16, v10
	v_addc_co_u32_e32 v11, vcc, v17, v11, vcc
	v_mul_lo_u32 v18, v15, s60
	v_mul_lo_u32 v19, v14, s61
	v_mad_u64_u32 v[16:17], s[0:1], v14, s60, 0
	v_add3_u32 v17, v17, v19, v18
	v_sub_co_u32_e32 v8, vcc, v8, v16
	v_subb_co_u32_e32 v9, vcc, v9, v17, vcc
	v_add_co_u32_e32 v8, vcc, v0, v8
	v_addc_co_u32_e32 v9, vcc, v1, v9, vcc
	v_mul_lo_u32 v16, v9, s6
	v_mul_lo_u32 v17, v8, s7
	v_mad_u64_u32 v[8:9], s[0:1], v8, s6, 0
	v_add3_u32 v9, v9, v17, v16
	v_mul_lo_u32 v16, v15, s4
	v_mul_lo_u32 v17, v14, s5
	v_mad_u64_u32 v[14:15], s[0:1], v14, s4, 0
	v_add3_u32 v15, v15, v17, v16
	v_lshlrev_b64 v[14:15], 1, v[14:15]
	;; [unrolled: 22-line block ×3, first 2 shown]
	v_add_co_u32_e32 v14, vcc, s58, v14
	v_addc_co_u32_e32 v15, vcc, v29, v15, vcc
	v_lshlrev_b64 v[4:5], 1, v[4:5]
	v_add_co_u32_e32 v4, vcc, v14, v4
	v_bfi_b32 v14, s93, v26, v28
	v_mul_f32_e32 v14, v3, v14
	v_addc_co_u32_e32 v5, vcc, v15, v5, vcc
	v_bfe_u32 v15, v14, 16, 1
	v_add3_u32 v15, v14, v15, s94
	v_lshrrev_b32_e32 v15, 16, v15
	v_cmp_o_f32_e32 vcc, v14, v14
	v_cndmask_b32_e32 v14, v35, v15, vcc
	global_store_short v[20:21], v14, off
	v_bfe_u32 v14, v28, 16, 1
	v_add3_u32 v14, v28, v14, s94
	v_lshrrev_b32_e32 v14, 16, v14
	v_cmp_o_f32_e32 vcc, v28, v28
	v_cndmask_b32_e32 v14, v35, v14, vcc
	global_store_short v[24:25], v14, off
	v_bfe_u32 v14, v7, 16, 1
	v_add3_u32 v14, v7, v14, s94
	v_lshrrev_b32_e32 v14, 16, v14
	v_cmp_o_f32_e32 vcc, v7, v7
	v_cndmask_b32_e32 v7, v35, v14, vcc
	global_store_short v[4:5], v7, off
	v_bfe_u32 v4, v6, 16, 1
	v_add3_u32 v4, v6, v4, s94
	v_lshrrev_b32_e32 v4, 16, v4
	v_cmp_o_f32_e32 vcc, v6, v6
	v_cndmask_b32_e32 v4, v35, v4, vcc
	global_store_short v[8:9], v4, off
	v_bfe_u32 v4, v27, 16, 1
	v_add3_u32 v4, v27, v4, s94
	v_lshrrev_b32_e32 v4, 16, v4
	v_cmp_o_f32_e32 vcc, v27, v27
	v_cndmask_b32_e32 v4, v35, v4, vcc
	global_store_short v[10:11], v4, off
	v_bfe_u32 v4, v3, 16, 1
	v_add3_u32 v4, v3, v4, s94
	v_lshrrev_b32_e32 v4, 16, v4
	v_cmp_o_f32_e32 vcc, v3, v3
	v_cndmask_b32_e32 v3, v35, v4, vcc
	v_mov_b32_e32 v4, s74
	v_add_co_u32_e32 v0, vcc, s33, v0
	v_addc_co_u32_e32 v1, vcc, v1, v4, vcc
	v_cmp_le_i64_e32 vcc, s[10:11], v[0:1]
	s_or_b64 s[66:67], vcc, s[66:67]
	global_store_short v[12:13], v3, off
	s_andn2_b64 exec, exec, s[66:67]
	s_cbranch_execz .LBB15_77
.LBB15_3:                               ; =>This Inner Loop Header: Depth=1
	v_or_b32_e32 v3, s9, v1
	v_cmp_ne_u64_e32 vcc, 0, v[2:3]
	v_ashrrev_i32_e32 v26, 31, v1
                                        ; implicit-def: $vgpr6_vgpr7
	s_and_saveexec_b64 s[0:1], vcc
	s_xor_b64 s[68:69], exec, s[0:1]
	s_cbranch_execz .LBB15_5
; %bb.4:                                ;   in Loop: Header=BB15_3 Depth=1
	s_ashr_i32 s70, s9, 31
	s_add_u32 s0, s8, s70
	s_mov_b32 s71, s70
	s_addc_u32 s1, s9, s70
	s_xor_b64 s[72:73], s[0:1], s[70:71]
	v_cvt_f32_u32_e32 v3, s72
	v_cvt_f32_u32_e32 v4, s73
	s_sub_u32 s0, 0, s72
	s_subb_u32 s1, 0, s73
	v_mac_f32_e32 v3, 0x4f800000, v4
	v_rcp_f32_e32 v3, v3
	v_mul_f32_e32 v3, 0x5f7ffffc, v3
	v_mul_f32_e32 v4, 0x2f800000, v3
	v_trunc_f32_e32 v4, v4
	v_mac_f32_e32 v3, 0xcf800000, v4
	v_cvt_u32_f32_e32 v4, v4
	v_cvt_u32_f32_e32 v3, v3
	v_mul_lo_u32 v5, s0, v4
	v_mul_hi_u32 v7, s0, v3
	v_mul_lo_u32 v6, s1, v3
	v_add_u32_e32 v5, v7, v5
	v_mul_lo_u32 v8, s0, v3
	v_add_u32_e32 v5, v5, v6
	v_mul_lo_u32 v7, v3, v5
	v_mul_hi_u32 v9, v3, v8
	v_mul_hi_u32 v6, v3, v5
	v_add_co_u32_e32 v7, vcc, v9, v7
	v_addc_co_u32_e32 v6, vcc, 0, v6, vcc
	v_mul_hi_u32 v10, v4, v8
	v_mul_lo_u32 v8, v4, v8
	v_add_co_u32_e32 v7, vcc, v7, v8
	v_mul_hi_u32 v9, v4, v5
	v_addc_co_u32_e32 v6, vcc, v6, v10, vcc
	v_addc_co_u32_e32 v7, vcc, 0, v9, vcc
	v_mul_lo_u32 v5, v4, v5
	v_add_co_u32_e32 v5, vcc, v6, v5
	v_addc_co_u32_e32 v6, vcc, 0, v7, vcc
	v_add_co_u32_e32 v3, vcc, v3, v5
	v_addc_co_u32_e32 v4, vcc, v4, v6, vcc
	v_mul_lo_u32 v5, s0, v4
	v_mul_hi_u32 v6, s0, v3
	v_add_u32_e32 v5, v6, v5
	v_mul_lo_u32 v6, s1, v3
	v_add_u32_e32 v5, v5, v6
	v_mul_lo_u32 v7, s0, v3
	v_mul_hi_u32 v8, v4, v7
	v_mul_lo_u32 v9, v4, v7
	v_mul_lo_u32 v11, v3, v5
	v_mul_hi_u32 v7, v3, v7
	v_mul_hi_u32 v10, v3, v5
	v_add_co_u32_e32 v7, vcc, v7, v11
	v_addc_co_u32_e32 v10, vcc, 0, v10, vcc
	v_add_co_u32_e32 v7, vcc, v7, v9
	v_mul_hi_u32 v6, v4, v5
	v_addc_co_u32_e32 v7, vcc, v10, v8, vcc
	v_addc_co_u32_e32 v6, vcc, 0, v6, vcc
	v_mul_lo_u32 v5, v4, v5
	v_add_co_u32_e32 v5, vcc, v7, v5
	v_addc_co_u32_e32 v6, vcc, 0, v6, vcc
	v_add_co_u32_e32 v3, vcc, v3, v5
	v_addc_co_u32_e32 v6, vcc, v4, v6, vcc
	;; [unrolled: 2-line block ×3, first 2 shown]
	v_xor_b32_e32 v9, v4, v26
	v_xor_b32_e32 v8, v5, v26
	v_mad_u64_u32 v[4:5], s[0:1], v9, v6, 0
	v_mul_hi_u32 v7, v9, v3
	v_add_co_u32_e32 v10, vcc, v7, v4
	v_addc_co_u32_e32 v11, vcc, 0, v5, vcc
	v_mad_u64_u32 v[4:5], s[0:1], v8, v6, 0
	v_mad_u64_u32 v[6:7], s[0:1], v8, v3, 0
	v_add_co_u32_e32 v3, vcc, v10, v6
	v_addc_co_u32_e32 v3, vcc, v11, v7, vcc
	v_addc_co_u32_e32 v5, vcc, 0, v5, vcc
	v_add_co_u32_e32 v3, vcc, v3, v4
	v_addc_co_u32_e32 v6, vcc, 0, v5, vcc
	v_mul_lo_u32 v7, s73, v3
	v_mul_lo_u32 v10, s72, v6
	v_mad_u64_u32 v[4:5], s[0:1], s72, v3, 0
	v_add3_u32 v5, v5, v10, v7
	v_sub_u32_e32 v7, v8, v5
	v_mov_b32_e32 v10, s73
	v_sub_co_u32_e32 v4, vcc, v9, v4
	v_subb_co_u32_e64 v7, s[0:1], v7, v10, vcc
	v_subrev_co_u32_e64 v9, s[0:1], s72, v4
	v_subbrev_co_u32_e64 v7, s[0:1], 0, v7, s[0:1]
	v_cmp_le_u32_e64 s[0:1], s73, v7
	v_cndmask_b32_e64 v10, 0, -1, s[0:1]
	v_cmp_le_u32_e64 s[0:1], s72, v9
	v_cndmask_b32_e64 v9, 0, -1, s[0:1]
	v_cmp_eq_u32_e64 s[0:1], s73, v7
	v_cndmask_b32_e64 v7, v10, v9, s[0:1]
	v_add_co_u32_e64 v9, s[0:1], 2, v3
	v_subb_co_u32_e32 v5, vcc, v8, v5, vcc
	v_addc_co_u32_e64 v10, s[0:1], 0, v6, s[0:1]
	v_cmp_le_u32_e32 vcc, s73, v5
	v_add_co_u32_e64 v11, s[0:1], 1, v3
	v_cndmask_b32_e64 v8, 0, -1, vcc
	v_cmp_le_u32_e32 vcc, s72, v4
	v_addc_co_u32_e64 v12, s[0:1], 0, v6, s[0:1]
	v_cndmask_b32_e64 v4, 0, -1, vcc
	v_cmp_eq_u32_e32 vcc, s73, v5
	v_cmp_ne_u32_e64 s[0:1], 0, v7
	v_cndmask_b32_e32 v4, v8, v4, vcc
	v_cmp_ne_u32_e32 vcc, 0, v4
	v_cndmask_b32_e64 v5, v11, v9, s[0:1]
	v_cndmask_b32_e64 v7, v12, v10, s[0:1]
	v_cndmask_b32_e32 v3, v3, v5, vcc
	v_xor_b32_e32 v5, s70, v26
	v_cndmask_b32_e32 v4, v6, v7, vcc
	v_xor_b32_e32 v3, v3, v5
	v_xor_b32_e32 v4, v4, v5
	v_sub_co_u32_e32 v6, vcc, v3, v5
	v_subb_co_u32_e32 v7, vcc, v4, v5, vcc
.LBB15_5:                               ;   in Loop: Header=BB15_3 Depth=1
	s_andn2_saveexec_b64 s[0:1], s[68:69]
	s_cbranch_execz .LBB15_7
; %bb.6:                                ;   in Loop: Header=BB15_3 Depth=1
	s_sub_i32 s68, 0, s8
	v_mul_lo_u32 v3, s68, v33
	v_mul_hi_u32 v3, v33, v3
	v_add_u32_e32 v3, v33, v3
	v_mul_hi_u32 v3, v0, v3
	v_mul_lo_u32 v4, v3, s8
	v_sub_u32_e32 v4, v0, v4
	v_subrev_u32_e32 v5, s8, v4
	v_cmp_le_u32_e32 vcc, s8, v4
	v_cndmask_b32_e32 v4, v4, v5, vcc
	v_add_u32_e32 v5, 1, v3
	v_cndmask_b32_e32 v3, v3, v5, vcc
	v_add_u32_e32 v5, 1, v3
	v_cmp_le_u32_e32 vcc, s8, v4
	v_cndmask_b32_e32 v6, v3, v5, vcc
	v_mov_b32_e32 v7, v2
.LBB15_7:                               ;   in Loop: Header=BB15_3 Depth=1
	s_or_b64 exec, exec, s[0:1]
	v_mul_lo_u32 v10, s75, v6
	v_mul_lo_u32 v11, s76, v7
	v_mad_u64_u32 v[14:15], s[0:1], s76, v6, v[0:1]
	v_add3_u32 v15, v10, v15, v11
	v_or_b32_e32 v3, s35, v15
	v_cmp_ne_u64_e32 vcc, 0, v[2:3]
	v_ashrrev_i32_e32 v24, 31, v15
                                        ; implicit-def: $vgpr8_vgpr9
	s_and_saveexec_b64 s[0:1], vcc
	s_xor_b64 s[68:69], exec, s[0:1]
	s_cbranch_execz .LBB15_9
; %bb.8:                                ;   in Loop: Header=BB15_3 Depth=1
	s_ashr_i32 s70, s35, 31
	s_add_u32 s0, s34, s70
	s_mov_b32 s71, s70
	s_addc_u32 s1, s35, s70
	s_xor_b64 s[72:73], s[0:1], s[70:71]
	v_cvt_f32_u32_e32 v3, s72
	v_cvt_f32_u32_e32 v4, s73
	s_sub_u32 s0, 0, s72
	s_subb_u32 s1, 0, s73
	v_mac_f32_e32 v3, 0x4f800000, v4
	v_rcp_f32_e32 v3, v3
	v_mul_f32_e32 v3, 0x5f7ffffc, v3
	v_mul_f32_e32 v4, 0x2f800000, v3
	v_trunc_f32_e32 v4, v4
	v_mac_f32_e32 v3, 0xcf800000, v4
	v_cvt_u32_f32_e32 v4, v4
	v_cvt_u32_f32_e32 v3, v3
	v_mul_lo_u32 v5, s0, v4
	v_mul_hi_u32 v9, s0, v3
	v_mul_lo_u32 v8, s1, v3
	v_add_u32_e32 v5, v9, v5
	v_mul_lo_u32 v12, s0, v3
	v_add_u32_e32 v5, v5, v8
	v_mul_lo_u32 v9, v3, v5
	v_mul_hi_u32 v13, v3, v12
	v_mul_hi_u32 v8, v3, v5
	v_add_co_u32_e32 v9, vcc, v13, v9
	v_addc_co_u32_e32 v8, vcc, 0, v8, vcc
	v_mul_hi_u32 v16, v4, v12
	v_mul_lo_u32 v12, v4, v12
	v_add_co_u32_e32 v9, vcc, v9, v12
	v_mul_hi_u32 v13, v4, v5
	v_addc_co_u32_e32 v8, vcc, v8, v16, vcc
	v_addc_co_u32_e32 v9, vcc, 0, v13, vcc
	v_mul_lo_u32 v5, v4, v5
	v_add_co_u32_e32 v5, vcc, v8, v5
	v_addc_co_u32_e32 v8, vcc, 0, v9, vcc
	v_add_co_u32_e32 v3, vcc, v3, v5
	v_addc_co_u32_e32 v4, vcc, v4, v8, vcc
	v_mul_lo_u32 v5, s0, v4
	v_mul_hi_u32 v8, s0, v3
	v_add_u32_e32 v5, v8, v5
	v_mul_lo_u32 v8, s1, v3
	v_add_u32_e32 v5, v5, v8
	v_mul_lo_u32 v9, s0, v3
	v_mul_hi_u32 v12, v4, v9
	v_mul_lo_u32 v13, v4, v9
	v_mul_lo_u32 v17, v3, v5
	v_mul_hi_u32 v9, v3, v9
	v_mul_hi_u32 v16, v3, v5
	v_add_co_u32_e32 v9, vcc, v9, v17
	v_addc_co_u32_e32 v16, vcc, 0, v16, vcc
	v_add_co_u32_e32 v9, vcc, v9, v13
	v_mul_hi_u32 v8, v4, v5
	v_addc_co_u32_e32 v9, vcc, v16, v12, vcc
	v_addc_co_u32_e32 v8, vcc, 0, v8, vcc
	v_mul_lo_u32 v5, v4, v5
	v_add_co_u32_e32 v5, vcc, v9, v5
	v_addc_co_u32_e32 v8, vcc, 0, v8, vcc
	v_add_co_u32_e32 v3, vcc, v3, v5
	v_addc_co_u32_e32 v8, vcc, v4, v8, vcc
	;; [unrolled: 2-line block ×3, first 2 shown]
	v_xor_b32_e32 v13, v4, v24
	v_xor_b32_e32 v12, v5, v24
	v_mad_u64_u32 v[4:5], s[0:1], v13, v8, 0
	v_mul_hi_u32 v9, v13, v3
	v_add_co_u32_e32 v16, vcc, v9, v4
	v_addc_co_u32_e32 v17, vcc, 0, v5, vcc
	v_mad_u64_u32 v[4:5], s[0:1], v12, v8, 0
	v_mad_u64_u32 v[8:9], s[0:1], v12, v3, 0
	v_add_co_u32_e32 v3, vcc, v16, v8
	v_addc_co_u32_e32 v3, vcc, v17, v9, vcc
	v_addc_co_u32_e32 v5, vcc, 0, v5, vcc
	v_add_co_u32_e32 v3, vcc, v3, v4
	v_addc_co_u32_e32 v8, vcc, 0, v5, vcc
	v_mul_lo_u32 v9, s73, v3
	v_mul_lo_u32 v16, s72, v8
	v_mad_u64_u32 v[4:5], s[0:1], s72, v3, 0
	v_add3_u32 v5, v5, v16, v9
	v_sub_u32_e32 v9, v12, v5
	v_mov_b32_e32 v16, s73
	v_sub_co_u32_e32 v4, vcc, v13, v4
	v_subb_co_u32_e64 v9, s[0:1], v9, v16, vcc
	v_subrev_co_u32_e64 v13, s[0:1], s72, v4
	v_subbrev_co_u32_e64 v9, s[0:1], 0, v9, s[0:1]
	v_cmp_le_u32_e64 s[0:1], s73, v9
	v_cndmask_b32_e64 v16, 0, -1, s[0:1]
	v_cmp_le_u32_e64 s[0:1], s72, v13
	v_cndmask_b32_e64 v13, 0, -1, s[0:1]
	v_cmp_eq_u32_e64 s[0:1], s73, v9
	v_cndmask_b32_e64 v9, v16, v13, s[0:1]
	v_add_co_u32_e64 v13, s[0:1], 2, v3
	v_subb_co_u32_e32 v5, vcc, v12, v5, vcc
	v_addc_co_u32_e64 v16, s[0:1], 0, v8, s[0:1]
	v_cmp_le_u32_e32 vcc, s73, v5
	v_add_co_u32_e64 v17, s[0:1], 1, v3
	v_cndmask_b32_e64 v12, 0, -1, vcc
	v_cmp_le_u32_e32 vcc, s72, v4
	v_addc_co_u32_e64 v18, s[0:1], 0, v8, s[0:1]
	v_cndmask_b32_e64 v4, 0, -1, vcc
	v_cmp_eq_u32_e32 vcc, s73, v5
	v_cmp_ne_u32_e64 s[0:1], 0, v9
	v_cndmask_b32_e32 v4, v12, v4, vcc
	v_cmp_ne_u32_e32 vcc, 0, v4
	v_cndmask_b32_e64 v5, v17, v13, s[0:1]
	v_cndmask_b32_e64 v9, v18, v16, s[0:1]
	v_cndmask_b32_e32 v3, v3, v5, vcc
	v_xor_b32_e32 v5, s70, v24
	v_cndmask_b32_e32 v4, v8, v9, vcc
	v_xor_b32_e32 v3, v3, v5
	v_xor_b32_e32 v4, v4, v5
	v_sub_co_u32_e32 v8, vcc, v3, v5
	v_subb_co_u32_e32 v9, vcc, v4, v5, vcc
.LBB15_9:                               ;   in Loop: Header=BB15_3 Depth=1
	s_or_saveexec_b64 s[0:1], s[68:69]
	v_cvt_f32_u32_e32 v36, s34
	s_xor_b64 exec, exec, s[0:1]
	s_cbranch_execz .LBB15_11
; %bb.10:                               ;   in Loop: Header=BB15_3 Depth=1
	v_rcp_iflag_f32_e32 v3, v36
	s_sub_i32 s68, 0, s34
	v_mov_b32_e32 v9, v2
	v_mul_f32_e32 v3, 0x4f7ffffe, v3
	v_cvt_u32_f32_e32 v3, v3
	v_mul_lo_u32 v4, s68, v3
	v_mul_hi_u32 v4, v3, v4
	v_add_u32_e32 v3, v3, v4
	v_mul_hi_u32 v3, v14, v3
	v_mul_lo_u32 v4, v3, s34
	v_sub_u32_e32 v4, v14, v4
	v_add_u32_e32 v5, 1, v3
	v_subrev_u32_e32 v8, s34, v4
	v_cmp_le_u32_e32 vcc, s34, v4
	v_cndmask_b32_e32 v4, v4, v8, vcc
	v_cndmask_b32_e32 v3, v3, v5, vcc
	v_add_u32_e32 v5, 1, v3
	v_cmp_le_u32_e32 vcc, s34, v4
	v_cndmask_b32_e32 v8, v3, v5, vcc
.LBB15_11:                              ;   in Loop: Header=BB15_3 Depth=1
	s_or_b64 exec, exec, s[0:1]
	v_mad_u64_u32 v[4:5], s[0:1], s76, v6, 0
	v_add3_u32 v5, v5, v11, v10
	v_mul_lo_u32 v3, v9, s34
	v_mul_lo_u32 v12, v8, s35
	v_mad_u64_u32 v[10:11], s[0:1], v8, s34, 0
	v_add3_u32 v3, v11, v12, v3
	v_sub_co_u32_e32 v10, vcc, v4, v10
	v_subb_co_u32_e32 v3, vcc, v5, v3, vcc
	v_add_co_u32_e32 v10, vcc, v0, v10
	v_addc_co_u32_e32 v3, vcc, v1, v3, vcc
	v_mul_lo_u32 v3, v3, s14
	v_mul_lo_u32 v12, v10, s15
	v_mad_u64_u32 v[10:11], s[0:1], v10, s14, 0
	v_add3_u32 v11, v11, v12, v3
	v_mul_lo_u32 v3, v9, s12
	v_mul_lo_u32 v12, v8, s13
	v_mad_u64_u32 v[8:9], s[0:1], v8, s12, 0
	v_add3_u32 v9, v9, v12, v3
	v_lshlrev_b64 v[8:9], 1, v[8:9]
	v_mov_b32_e32 v3, s3
	v_add_co_u32_e32 v12, vcc, s2, v8
	v_addc_co_u32_e32 v3, vcc, v3, v9, vcc
	v_lshlrev_b64 v[8:9], 1, v[10:11]
	v_add_co_u32_e32 v8, vcc, v12, v8
	v_addc_co_u32_e32 v9, vcc, v3, v9, vcc
	global_load_ushort v27, v[8:9], off
	v_lshl_add_u32 v18, v7, 1, v7
	v_mad_u64_u32 v[8:9], s[0:1], v6, 3, 1
	v_add_u32_e32 v3, v18, v9
	v_mul_lo_u32 v12, s9, v8
	v_mul_lo_u32 v13, s8, v3
	v_mad_u64_u32 v[16:17], s[0:1], s8, v8, v[0:1]
	v_add3_u32 v17, v12, v17, v13
	v_or_b32_e32 v3, s35, v17
	v_cmp_ne_u64_e32 vcc, 0, v[2:3]
	v_ashrrev_i32_e32 v25, 31, v17
                                        ; implicit-def: $vgpr10_vgpr11
	s_and_saveexec_b64 s[0:1], vcc
	s_xor_b64 s[68:69], exec, s[0:1]
	s_cbranch_execz .LBB15_13
; %bb.12:                               ;   in Loop: Header=BB15_3 Depth=1
	s_ashr_i32 s70, s35, 31
	s_add_u32 s0, s34, s70
	s_mov_b32 s71, s70
	s_addc_u32 s1, s35, s70
	s_xor_b64 s[72:73], s[0:1], s[70:71]
	v_cvt_f32_u32_e32 v3, s72
	v_cvt_f32_u32_e32 v9, s73
	s_sub_u32 s0, 0, s72
	s_subb_u32 s1, 0, s73
	v_mac_f32_e32 v3, 0x4f800000, v9
	v_rcp_f32_e32 v3, v3
	v_mul_f32_e32 v3, 0x5f7ffffc, v3
	v_mul_f32_e32 v9, 0x2f800000, v3
	v_trunc_f32_e32 v9, v9
	v_mac_f32_e32 v3, 0xcf800000, v9
	v_cvt_u32_f32_e32 v9, v9
	v_cvt_u32_f32_e32 v3, v3
	v_mul_lo_u32 v10, s0, v9
	v_mul_hi_u32 v19, s0, v3
	v_mul_lo_u32 v11, s1, v3
	v_add_u32_e32 v10, v19, v10
	v_mul_lo_u32 v20, s0, v3
	v_add_u32_e32 v10, v10, v11
	v_mul_lo_u32 v19, v3, v10
	v_mul_hi_u32 v21, v3, v20
	v_mul_hi_u32 v11, v3, v10
	v_add_co_u32_e32 v19, vcc, v21, v19
	v_addc_co_u32_e32 v11, vcc, 0, v11, vcc
	v_mul_hi_u32 v22, v9, v20
	v_mul_lo_u32 v20, v9, v20
	v_add_co_u32_e32 v19, vcc, v19, v20
	v_mul_hi_u32 v21, v9, v10
	v_addc_co_u32_e32 v11, vcc, v11, v22, vcc
	v_addc_co_u32_e32 v19, vcc, 0, v21, vcc
	v_mul_lo_u32 v10, v9, v10
	v_add_co_u32_e32 v10, vcc, v11, v10
	v_addc_co_u32_e32 v11, vcc, 0, v19, vcc
	v_add_co_u32_e32 v3, vcc, v3, v10
	v_addc_co_u32_e32 v9, vcc, v9, v11, vcc
	v_mul_lo_u32 v10, s0, v9
	v_mul_hi_u32 v11, s0, v3
	v_add_u32_e32 v10, v11, v10
	v_mul_lo_u32 v11, s1, v3
	v_add_u32_e32 v10, v10, v11
	v_mul_lo_u32 v19, s0, v3
	v_mul_hi_u32 v20, v9, v19
	v_mul_lo_u32 v21, v9, v19
	v_mul_lo_u32 v23, v3, v10
	v_mul_hi_u32 v19, v3, v19
	v_mul_hi_u32 v22, v3, v10
	v_add_co_u32_e32 v19, vcc, v19, v23
	v_addc_co_u32_e32 v22, vcc, 0, v22, vcc
	v_add_co_u32_e32 v19, vcc, v19, v21
	v_mul_hi_u32 v11, v9, v10
	v_addc_co_u32_e32 v19, vcc, v22, v20, vcc
	v_addc_co_u32_e32 v11, vcc, 0, v11, vcc
	v_mul_lo_u32 v10, v9, v10
	v_add_co_u32_e32 v10, vcc, v19, v10
	v_addc_co_u32_e32 v11, vcc, 0, v11, vcc
	v_add_co_u32_e32 v3, vcc, v3, v10
	v_addc_co_u32_e32 v9, vcc, v9, v11, vcc
	;; [unrolled: 2-line block ×3, first 2 shown]
	v_xor_b32_e32 v22, v10, v25
	v_xor_b32_e32 v19, v11, v25
	v_mad_u64_u32 v[10:11], s[0:1], v22, v9, 0
	v_mul_hi_u32 v20, v22, v3
	v_add_co_u32_e32 v23, vcc, v20, v10
	v_addc_co_u32_e32 v28, vcc, 0, v11, vcc
	v_mad_u64_u32 v[20:21], s[0:1], v19, v3, 0
	v_add_co_u32_e32 v3, vcc, v23, v20
	v_mad_u64_u32 v[10:11], s[0:1], v19, v9, 0
	v_addc_co_u32_e32 v3, vcc, v28, v21, vcc
	v_addc_co_u32_e32 v9, vcc, 0, v11, vcc
	v_add_co_u32_e32 v3, vcc, v3, v10
	v_addc_co_u32_e32 v9, vcc, 0, v9, vcc
	v_mul_lo_u32 v20, s73, v3
	v_mul_lo_u32 v21, s72, v9
	v_mad_u64_u32 v[10:11], s[0:1], s72, v3, 0
	v_add3_u32 v11, v11, v21, v20
	v_sub_u32_e32 v20, v19, v11
	v_mov_b32_e32 v21, s73
	v_sub_co_u32_e32 v10, vcc, v22, v10
	v_subb_co_u32_e64 v20, s[0:1], v20, v21, vcc
	v_subrev_co_u32_e64 v21, s[0:1], s72, v10
	v_subbrev_co_u32_e64 v20, s[0:1], 0, v20, s[0:1]
	v_cmp_le_u32_e64 s[0:1], s73, v20
	v_cndmask_b32_e64 v22, 0, -1, s[0:1]
	v_cmp_le_u32_e64 s[0:1], s72, v21
	v_cndmask_b32_e64 v21, 0, -1, s[0:1]
	v_cmp_eq_u32_e64 s[0:1], s73, v20
	v_cndmask_b32_e64 v20, v22, v21, s[0:1]
	v_add_co_u32_e64 v21, s[0:1], 2, v3
	v_subb_co_u32_e32 v11, vcc, v19, v11, vcc
	v_addc_co_u32_e64 v22, s[0:1], 0, v9, s[0:1]
	v_cmp_le_u32_e32 vcc, s73, v11
	v_add_co_u32_e64 v23, s[0:1], 1, v3
	v_cndmask_b32_e64 v19, 0, -1, vcc
	v_cmp_le_u32_e32 vcc, s72, v10
	v_addc_co_u32_e64 v28, s[0:1], 0, v9, s[0:1]
	v_cndmask_b32_e64 v10, 0, -1, vcc
	v_cmp_eq_u32_e32 vcc, s73, v11
	v_cmp_ne_u32_e64 s[0:1], 0, v20
	v_cndmask_b32_e32 v10, v19, v10, vcc
	v_cmp_ne_u32_e32 vcc, 0, v10
	v_cndmask_b32_e64 v10, v23, v21, s[0:1]
	v_cndmask_b32_e64 v20, v28, v22, s[0:1]
	v_cndmask_b32_e32 v3, v3, v10, vcc
	v_xor_b32_e32 v11, s70, v25
	v_cndmask_b32_e32 v9, v9, v20, vcc
	v_xor_b32_e32 v3, v3, v11
	v_xor_b32_e32 v9, v9, v11
	v_sub_co_u32_e32 v10, vcc, v3, v11
	v_subb_co_u32_e32 v11, vcc, v9, v11, vcc
.LBB15_13:                              ;   in Loop: Header=BB15_3 Depth=1
	s_andn2_saveexec_b64 s[0:1], s[68:69]
	s_cbranch_execz .LBB15_15
; %bb.14:                               ;   in Loop: Header=BB15_3 Depth=1
	v_rcp_iflag_f32_e32 v3, v36
	s_sub_i32 s68, 0, s34
	v_mul_f32_e32 v3, 0x4f7ffffe, v3
	v_cvt_u32_f32_e32 v3, v3
	v_mul_lo_u32 v9, s68, v3
	v_mul_hi_u32 v9, v3, v9
	v_add_u32_e32 v3, v3, v9
	v_mul_hi_u32 v3, v16, v3
	v_mul_lo_u32 v9, v3, s34
	v_sub_u32_e32 v9, v16, v9
	v_add_u32_e32 v10, 1, v3
	v_subrev_u32_e32 v11, s34, v9
	v_cmp_le_u32_e32 vcc, s34, v9
	v_cndmask_b32_e32 v9, v9, v11, vcc
	v_cndmask_b32_e32 v3, v3, v10, vcc
	v_add_u32_e32 v10, 1, v3
	v_cmp_le_u32_e32 vcc, s34, v9
	v_cndmask_b32_e32 v10, v3, v10, vcc
	v_mov_b32_e32 v11, v2
.LBB15_15:                              ;   in Loop: Header=BB15_3 Depth=1
	s_or_b64 exec, exec, s[0:1]
	v_mad_u64_u32 v[8:9], s[0:1], s8, v8, 0
	v_add3_u32 v9, v9, v13, v12
	v_mul_lo_u32 v3, v11, s34
	v_mul_lo_u32 v19, v10, s35
	v_mad_u64_u32 v[12:13], s[0:1], v10, s34, 0
	v_add3_u32 v3, v13, v19, v3
	v_sub_co_u32_e32 v12, vcc, v8, v12
	v_subb_co_u32_e32 v3, vcc, v9, v3, vcc
	v_add_co_u32_e32 v12, vcc, v0, v12
	v_addc_co_u32_e32 v3, vcc, v1, v3, vcc
	v_mul_lo_u32 v3, v3, s14
	v_mul_lo_u32 v19, v12, s15
	v_mad_u64_u32 v[12:13], s[0:1], v12, s14, 0
	v_add3_u32 v13, v13, v19, v3
	v_mul_lo_u32 v3, v11, s12
	v_mul_lo_u32 v19, v10, s13
	v_mad_u64_u32 v[10:11], s[0:1], v10, s12, 0
	v_add3_u32 v11, v11, v19, v3
	v_lshlrev_b64 v[10:11], 1, v[10:11]
	v_mov_b32_e32 v3, s3
	v_add_co_u32_e32 v19, vcc, s2, v10
	v_addc_co_u32_e32 v3, vcc, v3, v11, vcc
	v_lshlrev_b64 v[10:11], 1, v[12:13]
	v_add_co_u32_e32 v10, vcc, v19, v10
	v_addc_co_u32_e32 v11, vcc, v3, v11, vcc
	global_load_ushort v28, v[10:11], off
	v_mad_u64_u32 v[12:13], s[0:1], v6, 3, 0
	v_add_u32_e32 v13, v13, v18
	v_add_co_u32_e32 v10, vcc, 2, v12
	v_addc_co_u32_e32 v3, vcc, 0, v13, vcc
	v_mul_lo_u32 v22, s9, v10
	v_mul_lo_u32 v23, s8, v3
	v_mad_u64_u32 v[18:19], s[0:1], s8, v10, v[0:1]
	v_add3_u32 v19, v22, v19, v23
	v_or_b32_e32 v3, s35, v19
	v_cmp_ne_u64_e32 vcc, 0, v[2:3]
	v_ashrrev_i32_e32 v39, 31, v19
                                        ; implicit-def: $vgpr20_vgpr21
	s_and_saveexec_b64 s[0:1], vcc
	s_xor_b64 s[68:69], exec, s[0:1]
	s_cbranch_execz .LBB15_17
; %bb.16:                               ;   in Loop: Header=BB15_3 Depth=1
	s_ashr_i32 s70, s35, 31
	s_add_u32 s0, s34, s70
	s_mov_b32 s71, s70
	s_addc_u32 s1, s35, s70
	s_xor_b64 s[72:73], s[0:1], s[70:71]
	v_cvt_f32_u32_e32 v3, s72
	v_cvt_f32_u32_e32 v11, s73
	s_sub_u32 s0, 0, s72
	s_subb_u32 s1, 0, s73
	v_mac_f32_e32 v3, 0x4f800000, v11
	v_rcp_f32_e32 v3, v3
	v_mul_f32_e32 v3, 0x5f7ffffc, v3
	v_mul_f32_e32 v11, 0x2f800000, v3
	v_trunc_f32_e32 v11, v11
	v_mac_f32_e32 v3, 0xcf800000, v11
	v_cvt_u32_f32_e32 v11, v11
	v_cvt_u32_f32_e32 v3, v3
	v_mul_lo_u32 v20, s0, v11
	v_mul_hi_u32 v29, s0, v3
	v_mul_lo_u32 v21, s1, v3
	v_add_u32_e32 v20, v29, v20
	v_mul_lo_u32 v37, s0, v3
	v_add_u32_e32 v20, v20, v21
	v_mul_lo_u32 v29, v3, v20
	v_mul_hi_u32 v38, v3, v37
	v_mul_hi_u32 v21, v3, v20
	v_add_co_u32_e32 v29, vcc, v38, v29
	v_addc_co_u32_e32 v21, vcc, 0, v21, vcc
	v_mul_hi_u32 v40, v11, v37
	v_mul_lo_u32 v37, v11, v37
	v_add_co_u32_e32 v29, vcc, v29, v37
	v_mul_hi_u32 v38, v11, v20
	v_addc_co_u32_e32 v21, vcc, v21, v40, vcc
	v_addc_co_u32_e32 v29, vcc, 0, v38, vcc
	v_mul_lo_u32 v20, v11, v20
	v_add_co_u32_e32 v20, vcc, v21, v20
	v_addc_co_u32_e32 v21, vcc, 0, v29, vcc
	v_add_co_u32_e32 v3, vcc, v3, v20
	v_addc_co_u32_e32 v11, vcc, v11, v21, vcc
	v_mul_lo_u32 v20, s0, v11
	v_mul_hi_u32 v21, s0, v3
	v_add_u32_e32 v20, v21, v20
	v_mul_lo_u32 v21, s1, v3
	v_add_u32_e32 v20, v20, v21
	v_mul_lo_u32 v29, s0, v3
	v_mul_hi_u32 v37, v11, v29
	v_mul_lo_u32 v38, v11, v29
	v_mul_lo_u32 v41, v3, v20
	v_mul_hi_u32 v29, v3, v29
	v_mul_hi_u32 v40, v3, v20
	v_add_co_u32_e32 v29, vcc, v29, v41
	v_addc_co_u32_e32 v40, vcc, 0, v40, vcc
	v_add_co_u32_e32 v29, vcc, v29, v38
	v_mul_hi_u32 v21, v11, v20
	v_addc_co_u32_e32 v29, vcc, v40, v37, vcc
	v_addc_co_u32_e32 v21, vcc, 0, v21, vcc
	v_mul_lo_u32 v20, v11, v20
	v_add_co_u32_e32 v20, vcc, v29, v20
	v_addc_co_u32_e32 v21, vcc, 0, v21, vcc
	v_add_co_u32_e32 v3, vcc, v3, v20
	v_addc_co_u32_e32 v11, vcc, v11, v21, vcc
	;; [unrolled: 2-line block ×3, first 2 shown]
	v_xor_b32_e32 v37, v20, v39
	v_xor_b32_e32 v29, v21, v39
	v_mad_u64_u32 v[20:21], s[0:1], v37, v11, 0
	v_mul_hi_u32 v38, v37, v3
	v_add_co_u32_e32 v38, vcc, v38, v20
	v_addc_co_u32_e32 v42, vcc, 0, v21, vcc
	v_mad_u64_u32 v[40:41], s[0:1], v29, v3, 0
	v_add_co_u32_e32 v3, vcc, v38, v40
	v_mad_u64_u32 v[20:21], s[0:1], v29, v11, 0
	v_addc_co_u32_e32 v3, vcc, v42, v41, vcc
	v_addc_co_u32_e32 v11, vcc, 0, v21, vcc
	v_add_co_u32_e32 v3, vcc, v3, v20
	v_addc_co_u32_e32 v11, vcc, 0, v11, vcc
	v_mul_lo_u32 v38, s73, v3
	v_mul_lo_u32 v40, s72, v11
	v_mad_u64_u32 v[20:21], s[0:1], s72, v3, 0
	v_add3_u32 v21, v21, v40, v38
	v_sub_u32_e32 v38, v29, v21
	v_mov_b32_e32 v40, s73
	v_sub_co_u32_e32 v20, vcc, v37, v20
	v_subb_co_u32_e64 v37, s[0:1], v38, v40, vcc
	v_subrev_co_u32_e64 v38, s[0:1], s72, v20
	v_subbrev_co_u32_e64 v37, s[0:1], 0, v37, s[0:1]
	v_cmp_le_u32_e64 s[0:1], s73, v37
	v_cndmask_b32_e64 v40, 0, -1, s[0:1]
	v_cmp_le_u32_e64 s[0:1], s72, v38
	v_cndmask_b32_e64 v38, 0, -1, s[0:1]
	v_cmp_eq_u32_e64 s[0:1], s73, v37
	v_cndmask_b32_e64 v37, v40, v38, s[0:1]
	v_add_co_u32_e64 v38, s[0:1], 2, v3
	v_subb_co_u32_e32 v21, vcc, v29, v21, vcc
	v_addc_co_u32_e64 v40, s[0:1], 0, v11, s[0:1]
	v_cmp_le_u32_e32 vcc, s73, v21
	v_add_co_u32_e64 v41, s[0:1], 1, v3
	v_cndmask_b32_e64 v29, 0, -1, vcc
	v_cmp_le_u32_e32 vcc, s72, v20
	v_addc_co_u32_e64 v42, s[0:1], 0, v11, s[0:1]
	v_cndmask_b32_e64 v20, 0, -1, vcc
	v_cmp_eq_u32_e32 vcc, s73, v21
	v_cmp_ne_u32_e64 s[0:1], 0, v37
	v_cndmask_b32_e32 v20, v29, v20, vcc
	v_cmp_ne_u32_e32 vcc, 0, v20
	v_cndmask_b32_e64 v20, v41, v38, s[0:1]
	v_cndmask_b32_e64 v37, v42, v40, s[0:1]
	v_cndmask_b32_e32 v3, v3, v20, vcc
	v_xor_b32_e32 v21, s70, v39
	v_cndmask_b32_e32 v11, v11, v37, vcc
	v_xor_b32_e32 v3, v3, v21
	v_xor_b32_e32 v11, v11, v21
	v_sub_co_u32_e32 v20, vcc, v3, v21
	v_subb_co_u32_e32 v21, vcc, v11, v21, vcc
.LBB15_17:                              ;   in Loop: Header=BB15_3 Depth=1
	s_andn2_saveexec_b64 s[0:1], s[68:69]
	s_cbranch_execz .LBB15_19
; %bb.18:                               ;   in Loop: Header=BB15_3 Depth=1
	v_rcp_iflag_f32_e32 v3, v36
	s_sub_i32 s68, 0, s34
	v_mul_f32_e32 v3, 0x4f7ffffe, v3
	v_cvt_u32_f32_e32 v3, v3
	v_mul_lo_u32 v11, s68, v3
	v_mul_hi_u32 v11, v3, v11
	v_add_u32_e32 v3, v3, v11
	v_mul_hi_u32 v3, v18, v3
	v_mul_lo_u32 v11, v3, s34
	v_sub_u32_e32 v11, v18, v11
	v_add_u32_e32 v20, 1, v3
	v_subrev_u32_e32 v21, s34, v11
	v_cmp_le_u32_e32 vcc, s34, v11
	v_cndmask_b32_e32 v11, v11, v21, vcc
	v_cndmask_b32_e32 v3, v3, v20, vcc
	v_add_u32_e32 v20, 1, v3
	v_cmp_le_u32_e32 vcc, s34, v11
	v_cndmask_b32_e32 v20, v3, v20, vcc
	v_mov_b32_e32 v21, v2
.LBB15_19:                              ;   in Loop: Header=BB15_3 Depth=1
	s_or_b64 exec, exec, s[0:1]
	v_mad_u64_u32 v[10:11], s[0:1], s8, v10, 0
	v_add3_u32 v11, v11, v23, v22
	v_mul_lo_u32 v3, v21, s34
	v_mul_lo_u32 v29, v20, s35
	v_mad_u64_u32 v[22:23], s[0:1], v20, s34, 0
	v_add3_u32 v3, v23, v29, v3
	v_sub_co_u32_e32 v22, vcc, v10, v22
	v_subb_co_u32_e32 v3, vcc, v11, v3, vcc
	v_add_co_u32_e32 v22, vcc, v0, v22
	v_addc_co_u32_e32 v3, vcc, v1, v3, vcc
	v_mul_lo_u32 v3, v3, s14
	v_mul_lo_u32 v29, v22, s15
	v_mad_u64_u32 v[22:23], s[0:1], v22, s14, 0
	v_add3_u32 v23, v23, v29, v3
	v_mul_lo_u32 v3, v21, s12
	v_mul_lo_u32 v29, v20, s13
	v_mad_u64_u32 v[20:21], s[0:1], v20, s12, 0
	v_add3_u32 v21, v21, v29, v3
	v_lshlrev_b64 v[20:21], 1, v[20:21]
	v_mov_b32_e32 v3, s3
	v_add_co_u32_e32 v29, vcc, s2, v20
	v_addc_co_u32_e32 v3, vcc, v3, v21, vcc
	v_lshlrev_b64 v[20:21], 1, v[22:23]
	v_add_co_u32_e32 v20, vcc, v29, v20
	v_addc_co_u32_e32 v21, vcc, v3, v21, vcc
	global_load_ushort v29, v[20:21], off
	v_add_co_u32_e32 v12, vcc, 3, v12
	v_addc_co_u32_e32 v3, vcc, 0, v13, vcc
	v_mul_lo_u32 v37, s9, v12
	v_mul_lo_u32 v38, s8, v3
	v_mad_u64_u32 v[20:21], s[0:1], s8, v12, v[0:1]
	v_add3_u32 v21, v37, v21, v38
	v_or_b32_e32 v3, s35, v21
	v_cmp_ne_u64_e32 vcc, 0, v[2:3]
	v_ashrrev_i32_e32 v40, 31, v21
                                        ; implicit-def: $vgpr22_vgpr23
	s_and_saveexec_b64 s[0:1], vcc
	s_xor_b64 s[68:69], exec, s[0:1]
	s_cbranch_execz .LBB15_21
; %bb.20:                               ;   in Loop: Header=BB15_3 Depth=1
	s_ashr_i32 s70, s35, 31
	s_add_u32 s0, s34, s70
	s_mov_b32 s71, s70
	s_addc_u32 s1, s35, s70
	s_xor_b64 s[72:73], s[0:1], s[70:71]
	v_cvt_f32_u32_e32 v3, s72
	v_cvt_f32_u32_e32 v13, s73
	s_sub_u32 s0, 0, s72
	s_subb_u32 s1, 0, s73
	v_mac_f32_e32 v3, 0x4f800000, v13
	v_rcp_f32_e32 v3, v3
	v_mul_f32_e32 v3, 0x5f7ffffc, v3
	v_mul_f32_e32 v13, 0x2f800000, v3
	v_trunc_f32_e32 v13, v13
	v_mac_f32_e32 v3, 0xcf800000, v13
	v_cvt_u32_f32_e32 v13, v13
	v_cvt_u32_f32_e32 v3, v3
	v_mul_lo_u32 v22, s0, v13
	v_mul_hi_u32 v36, s0, v3
	v_mul_lo_u32 v23, s1, v3
	v_add_u32_e32 v22, v36, v22
	v_mul_lo_u32 v41, s0, v3
	v_add_u32_e32 v22, v22, v23
	v_mul_lo_u32 v36, v3, v22
	v_mul_hi_u32 v42, v3, v41
	v_mul_hi_u32 v23, v3, v22
	v_add_co_u32_e32 v36, vcc, v42, v36
	v_addc_co_u32_e32 v23, vcc, 0, v23, vcc
	v_mul_hi_u32 v43, v13, v41
	v_mul_lo_u32 v41, v13, v41
	v_add_co_u32_e32 v36, vcc, v36, v41
	v_mul_hi_u32 v42, v13, v22
	v_addc_co_u32_e32 v23, vcc, v23, v43, vcc
	v_addc_co_u32_e32 v36, vcc, 0, v42, vcc
	v_mul_lo_u32 v22, v13, v22
	v_add_co_u32_e32 v22, vcc, v23, v22
	v_addc_co_u32_e32 v23, vcc, 0, v36, vcc
	v_add_co_u32_e32 v3, vcc, v3, v22
	v_addc_co_u32_e32 v13, vcc, v13, v23, vcc
	v_mul_lo_u32 v22, s0, v13
	v_mul_hi_u32 v23, s0, v3
	v_add_u32_e32 v22, v23, v22
	v_mul_lo_u32 v23, s1, v3
	v_add_u32_e32 v22, v22, v23
	v_mul_lo_u32 v36, s0, v3
	v_mul_hi_u32 v41, v13, v36
	v_mul_lo_u32 v42, v13, v36
	v_mul_lo_u32 v44, v3, v22
	v_mul_hi_u32 v36, v3, v36
	v_mul_hi_u32 v43, v3, v22
	v_add_co_u32_e32 v36, vcc, v36, v44
	v_addc_co_u32_e32 v43, vcc, 0, v43, vcc
	v_add_co_u32_e32 v36, vcc, v36, v42
	v_mul_hi_u32 v23, v13, v22
	v_addc_co_u32_e32 v36, vcc, v43, v41, vcc
	v_addc_co_u32_e32 v23, vcc, 0, v23, vcc
	v_mul_lo_u32 v22, v13, v22
	v_add_co_u32_e32 v22, vcc, v36, v22
	v_addc_co_u32_e32 v23, vcc, 0, v23, vcc
	v_add_co_u32_e32 v3, vcc, v3, v22
	v_addc_co_u32_e32 v13, vcc, v13, v23, vcc
	;; [unrolled: 2-line block ×3, first 2 shown]
	v_xor_b32_e32 v41, v22, v40
	v_xor_b32_e32 v36, v23, v40
	v_mad_u64_u32 v[22:23], s[0:1], v41, v13, 0
	v_mul_hi_u32 v42, v41, v3
	v_add_co_u32_e32 v44, vcc, v42, v22
	v_addc_co_u32_e32 v45, vcc, 0, v23, vcc
	v_mad_u64_u32 v[42:43], s[0:1], v36, v3, 0
	v_add_co_u32_e32 v3, vcc, v44, v42
	v_mad_u64_u32 v[22:23], s[0:1], v36, v13, 0
	v_addc_co_u32_e32 v3, vcc, v45, v43, vcc
	v_addc_co_u32_e32 v13, vcc, 0, v23, vcc
	v_add_co_u32_e32 v3, vcc, v3, v22
	v_addc_co_u32_e32 v13, vcc, 0, v13, vcc
	v_mul_lo_u32 v42, s73, v3
	v_mul_lo_u32 v43, s72, v13
	v_mad_u64_u32 v[22:23], s[0:1], s72, v3, 0
	v_add3_u32 v23, v23, v43, v42
	v_sub_u32_e32 v42, v36, v23
	v_mov_b32_e32 v43, s73
	v_sub_co_u32_e32 v22, vcc, v41, v22
	v_subb_co_u32_e64 v41, s[0:1], v42, v43, vcc
	v_subrev_co_u32_e64 v42, s[0:1], s72, v22
	v_subbrev_co_u32_e64 v41, s[0:1], 0, v41, s[0:1]
	v_cmp_le_u32_e64 s[0:1], s73, v41
	v_cndmask_b32_e64 v43, 0, -1, s[0:1]
	v_cmp_le_u32_e64 s[0:1], s72, v42
	v_cndmask_b32_e64 v42, 0, -1, s[0:1]
	v_cmp_eq_u32_e64 s[0:1], s73, v41
	v_cndmask_b32_e64 v41, v43, v42, s[0:1]
	v_add_co_u32_e64 v42, s[0:1], 2, v3
	v_subb_co_u32_e32 v23, vcc, v36, v23, vcc
	v_addc_co_u32_e64 v43, s[0:1], 0, v13, s[0:1]
	v_cmp_le_u32_e32 vcc, s73, v23
	v_add_co_u32_e64 v44, s[0:1], 1, v3
	v_cndmask_b32_e64 v36, 0, -1, vcc
	v_cmp_le_u32_e32 vcc, s72, v22
	v_addc_co_u32_e64 v45, s[0:1], 0, v13, s[0:1]
	v_cndmask_b32_e64 v22, 0, -1, vcc
	v_cmp_eq_u32_e32 vcc, s73, v23
	v_cmp_ne_u32_e64 s[0:1], 0, v41
	v_cndmask_b32_e32 v22, v36, v22, vcc
	v_cmp_ne_u32_e32 vcc, 0, v22
	v_cndmask_b32_e64 v22, v44, v42, s[0:1]
	v_cndmask_b32_e64 v41, v45, v43, s[0:1]
	v_cndmask_b32_e32 v3, v3, v22, vcc
	v_xor_b32_e32 v23, s70, v40
	v_cndmask_b32_e32 v13, v13, v41, vcc
	v_xor_b32_e32 v3, v3, v23
	v_xor_b32_e32 v13, v13, v23
	v_sub_co_u32_e32 v22, vcc, v3, v23
	v_subb_co_u32_e32 v23, vcc, v13, v23, vcc
                                        ; implicit-def: $vgpr36
.LBB15_21:                              ;   in Loop: Header=BB15_3 Depth=1
	s_andn2_saveexec_b64 s[0:1], s[68:69]
	s_cbranch_execz .LBB15_23
; %bb.22:                               ;   in Loop: Header=BB15_3 Depth=1
	v_rcp_iflag_f32_e32 v3, v36
	s_sub_i32 s68, 0, s34
	v_mul_f32_e32 v3, 0x4f7ffffe, v3
	v_cvt_u32_f32_e32 v3, v3
	v_mul_lo_u32 v13, s68, v3
	v_mul_hi_u32 v13, v3, v13
	v_add_u32_e32 v3, v3, v13
	v_mul_hi_u32 v3, v20, v3
	v_mul_lo_u32 v13, v3, s34
	v_sub_u32_e32 v13, v20, v13
	v_add_u32_e32 v22, 1, v3
	v_subrev_u32_e32 v23, s34, v13
	v_cmp_le_u32_e32 vcc, s34, v13
	v_cndmask_b32_e32 v13, v13, v23, vcc
	v_cndmask_b32_e32 v3, v3, v22, vcc
	v_add_u32_e32 v22, 1, v3
	v_cmp_le_u32_e32 vcc, s34, v13
	v_cndmask_b32_e32 v22, v3, v22, vcc
	v_mov_b32_e32 v23, v2
.LBB15_23:                              ;   in Loop: Header=BB15_3 Depth=1
	s_or_b64 exec, exec, s[0:1]
	v_mad_u64_u32 v[12:13], s[0:1], s8, v12, 0
	v_add3_u32 v13, v13, v38, v37
	v_mul_lo_u32 v3, v23, s34
	v_mul_lo_u32 v38, v22, s35
	v_mad_u64_u32 v[36:37], s[0:1], v22, s34, 0
	v_add3_u32 v3, v37, v38, v3
	v_sub_co_u32_e32 v36, vcc, v12, v36
	v_subb_co_u32_e32 v3, vcc, v13, v3, vcc
	v_add_co_u32_e32 v36, vcc, v0, v36
	v_addc_co_u32_e32 v3, vcc, v1, v3, vcc
	v_mul_lo_u32 v3, v3, s14
	v_mul_lo_u32 v38, v36, s15
	v_mad_u64_u32 v[36:37], s[0:1], v36, s14, 0
	v_add3_u32 v37, v37, v38, v3
	v_mul_lo_u32 v3, v23, s12
	v_mul_lo_u32 v38, v22, s13
	v_mad_u64_u32 v[22:23], s[0:1], v22, s12, 0
	v_add3_u32 v23, v23, v38, v3
	v_lshlrev_b64 v[22:23], 1, v[22:23]
	v_mov_b32_e32 v3, s3
	v_add_co_u32_e32 v38, vcc, s2, v22
	v_addc_co_u32_e32 v3, vcc, v3, v23, vcc
	v_lshlrev_b64 v[22:23], 1, v[36:37]
	v_add_co_u32_e32 v22, vcc, v38, v22
	v_addc_co_u32_e32 v23, vcc, v3, v23, vcc
	global_load_ushort v36, v[22:23], off
	s_waitcnt lgkmcnt(0)
	v_or_b32_e32 v3, s65, v15
	v_cmp_ne_u64_e32 vcc, 0, v[2:3]
                                        ; implicit-def: $vgpr22_vgpr23
	s_and_saveexec_b64 s[0:1], vcc
	s_xor_b64 s[68:69], exec, s[0:1]
	s_cbranch_execz .LBB15_25
; %bb.24:                               ;   in Loop: Header=BB15_3 Depth=1
	s_ashr_i32 s70, s65, 31
	s_add_u32 s0, s64, s70
	s_mov_b32 s71, s70
	s_addc_u32 s1, s65, s70
	s_xor_b64 s[72:73], s[0:1], s[70:71]
	v_cvt_f32_u32_e32 v3, s72
	v_cvt_f32_u32_e32 v22, s73
	s_sub_u32 s0, 0, s72
	s_subb_u32 s1, 0, s73
	v_mac_f32_e32 v3, 0x4f800000, v22
	v_rcp_f32_e32 v3, v3
	v_mul_f32_e32 v3, 0x5f7ffffc, v3
	v_mul_f32_e32 v22, 0x2f800000, v3
	v_trunc_f32_e32 v22, v22
	v_mac_f32_e32 v3, 0xcf800000, v22
	v_cvt_u32_f32_e32 v22, v22
	v_cvt_u32_f32_e32 v3, v3
	v_mul_lo_u32 v23, s0, v22
	v_mul_hi_u32 v38, s0, v3
	v_mul_lo_u32 v37, s1, v3
	v_add_u32_e32 v23, v38, v23
	v_mul_lo_u32 v41, s0, v3
	v_add_u32_e32 v23, v23, v37
	v_mul_lo_u32 v38, v3, v23
	v_mul_hi_u32 v42, v3, v41
	v_mul_hi_u32 v37, v3, v23
	v_add_co_u32_e32 v38, vcc, v42, v38
	v_addc_co_u32_e32 v37, vcc, 0, v37, vcc
	v_mul_hi_u32 v43, v22, v41
	v_mul_lo_u32 v41, v22, v41
	v_add_co_u32_e32 v38, vcc, v38, v41
	v_mul_hi_u32 v42, v22, v23
	v_addc_co_u32_e32 v37, vcc, v37, v43, vcc
	v_addc_co_u32_e32 v38, vcc, 0, v42, vcc
	v_mul_lo_u32 v23, v22, v23
	v_add_co_u32_e32 v23, vcc, v37, v23
	v_addc_co_u32_e32 v37, vcc, 0, v38, vcc
	v_add_co_u32_e32 v3, vcc, v3, v23
	v_addc_co_u32_e32 v22, vcc, v22, v37, vcc
	v_mul_lo_u32 v23, s0, v22
	v_mul_hi_u32 v37, s0, v3
	v_add_u32_e32 v23, v37, v23
	v_mul_lo_u32 v37, s1, v3
	v_add_u32_e32 v23, v23, v37
	v_mul_lo_u32 v38, s0, v3
	v_mul_hi_u32 v41, v22, v38
	v_mul_lo_u32 v42, v22, v38
	v_mul_lo_u32 v44, v3, v23
	v_mul_hi_u32 v38, v3, v38
	v_mul_hi_u32 v43, v3, v23
	v_add_co_u32_e32 v38, vcc, v38, v44
	v_addc_co_u32_e32 v43, vcc, 0, v43, vcc
	v_add_co_u32_e32 v38, vcc, v38, v42
	v_mul_hi_u32 v37, v22, v23
	v_addc_co_u32_e32 v38, vcc, v43, v41, vcc
	v_addc_co_u32_e32 v37, vcc, 0, v37, vcc
	v_mul_lo_u32 v23, v22, v23
	v_add_co_u32_e32 v23, vcc, v38, v23
	v_addc_co_u32_e32 v37, vcc, 0, v37, vcc
	v_add_co_u32_e32 v3, vcc, v3, v23
	v_addc_co_u32_e32 v37, vcc, v22, v37, vcc
	;; [unrolled: 2-line block ×3, first 2 shown]
	v_xor_b32_e32 v41, v22, v24
	v_xor_b32_e32 v38, v23, v24
	v_mad_u64_u32 v[22:23], s[0:1], v41, v37, 0
	v_mul_hi_u32 v42, v41, v3
	v_add_co_u32_e32 v44, vcc, v42, v22
	v_addc_co_u32_e32 v45, vcc, 0, v23, vcc
	v_mad_u64_u32 v[42:43], s[0:1], v38, v3, 0
	v_add_co_u32_e32 v3, vcc, v44, v42
	v_mad_u64_u32 v[22:23], s[0:1], v38, v37, 0
	v_addc_co_u32_e32 v3, vcc, v45, v43, vcc
	v_addc_co_u32_e32 v23, vcc, 0, v23, vcc
	v_add_co_u32_e32 v3, vcc, v3, v22
	v_addc_co_u32_e32 v37, vcc, 0, v23, vcc
	v_mul_lo_u32 v42, s73, v3
	v_mul_lo_u32 v43, s72, v37
	v_mad_u64_u32 v[22:23], s[0:1], s72, v3, 0
	v_add3_u32 v23, v23, v43, v42
	v_sub_u32_e32 v42, v38, v23
	v_mov_b32_e32 v43, s73
	v_sub_co_u32_e32 v22, vcc, v41, v22
	v_subb_co_u32_e64 v41, s[0:1], v42, v43, vcc
	v_subrev_co_u32_e64 v42, s[0:1], s72, v22
	v_subbrev_co_u32_e64 v41, s[0:1], 0, v41, s[0:1]
	v_cmp_le_u32_e64 s[0:1], s73, v41
	v_cndmask_b32_e64 v43, 0, -1, s[0:1]
	v_cmp_le_u32_e64 s[0:1], s72, v42
	v_cndmask_b32_e64 v42, 0, -1, s[0:1]
	v_cmp_eq_u32_e64 s[0:1], s73, v41
	v_cndmask_b32_e64 v41, v43, v42, s[0:1]
	v_add_co_u32_e64 v42, s[0:1], 2, v3
	v_subb_co_u32_e32 v23, vcc, v38, v23, vcc
	v_addc_co_u32_e64 v43, s[0:1], 0, v37, s[0:1]
	v_cmp_le_u32_e32 vcc, s73, v23
	v_add_co_u32_e64 v44, s[0:1], 1, v3
	v_cndmask_b32_e64 v38, 0, -1, vcc
	v_cmp_le_u32_e32 vcc, s72, v22
	v_addc_co_u32_e64 v45, s[0:1], 0, v37, s[0:1]
	v_cndmask_b32_e64 v22, 0, -1, vcc
	v_cmp_eq_u32_e32 vcc, s73, v23
	v_cmp_ne_u32_e64 s[0:1], 0, v41
	v_cndmask_b32_e32 v22, v38, v22, vcc
	v_cmp_ne_u32_e32 vcc, 0, v22
	v_cndmask_b32_e64 v23, v44, v42, s[0:1]
	v_cndmask_b32_e64 v41, v45, v43, s[0:1]
	v_cndmask_b32_e32 v3, v3, v23, vcc
	v_xor_b32_e32 v23, s70, v24
	v_cndmask_b32_e32 v22, v37, v41, vcc
	v_xor_b32_e32 v3, v3, v23
	v_xor_b32_e32 v37, v22, v23
	v_sub_co_u32_e32 v22, vcc, v3, v23
	v_subb_co_u32_e32 v23, vcc, v37, v23, vcc
.LBB15_25:                              ;   in Loop: Header=BB15_3 Depth=1
	s_or_saveexec_b64 s[0:1], s[68:69]
	v_cvt_f32_u32_e32 v42, s64
	s_xor_b64 exec, exec, s[0:1]
	s_cbranch_execz .LBB15_27
; %bb.26:                               ;   in Loop: Header=BB15_3 Depth=1
	v_rcp_iflag_f32_e32 v3, v42
	s_sub_i32 s68, 0, s64
	v_mul_f32_e32 v3, 0x4f7ffffe, v3
	v_cvt_u32_f32_e32 v3, v3
	v_mul_lo_u32 v22, s68, v3
	v_mul_hi_u32 v22, v3, v22
	v_add_u32_e32 v3, v3, v22
	v_mul_hi_u32 v3, v14, v3
	v_mul_lo_u32 v22, v3, s64
	v_sub_u32_e32 v22, v14, v22
	v_add_u32_e32 v23, 1, v3
	v_subrev_u32_e32 v37, s64, v22
	v_cmp_le_u32_e32 vcc, s64, v22
	v_cndmask_b32_e32 v22, v22, v37, vcc
	v_cndmask_b32_e32 v3, v3, v23, vcc
	v_add_u32_e32 v23, 1, v3
	v_cmp_le_u32_e32 vcc, s64, v22
	v_cndmask_b32_e32 v22, v3, v23, vcc
	v_mov_b32_e32 v23, v2
.LBB15_27:                              ;   in Loop: Header=BB15_3 Depth=1
	s_or_b64 exec, exec, s[0:1]
	v_mul_lo_u32 v3, v23, s64
	v_mul_lo_u32 v37, v22, s65
	v_mad_u64_u32 v[44:45], s[0:1], v22, s64, 0
	v_add3_u32 v3, v45, v37, v3
	v_sub_co_u32_e32 v37, vcc, v4, v44
	v_subb_co_u32_e32 v3, vcc, v5, v3, vcc
	v_add_co_u32_e32 v37, vcc, v0, v37
	v_addc_co_u32_e32 v3, vcc, v1, v3, vcc
	v_mul_lo_u32 v3, v3, s30
	v_mul_lo_u32 v38, v37, s31
	v_mad_u64_u32 v[44:45], s[0:1], v37, s30, 0
	v_add3_u32 v45, v45, v38, v3
	v_mul_lo_u32 v3, v23, s28
	v_mul_lo_u32 v37, v22, s29
	v_mad_u64_u32 v[22:23], s[0:1], v22, s28, 0
	v_add3_u32 v23, v23, v37, v3
	v_lshlrev_b64 v[22:23], 1, v[22:23]
	v_mov_b32_e32 v3, s37
	v_add_co_u32_e32 v37, vcc, s36, v22
	v_addc_co_u32_e32 v3, vcc, v3, v23, vcc
	v_lshlrev_b64 v[22:23], 1, v[44:45]
	v_add_co_u32_e32 v22, vcc, v37, v22
	v_addc_co_u32_e32 v23, vcc, v3, v23, vcc
	global_load_ushort v37, v[22:23], off
	v_or_b32_e32 v3, s65, v17
	v_cmp_ne_u64_e32 vcc, 0, v[2:3]
                                        ; implicit-def: $vgpr22_vgpr23
	s_and_saveexec_b64 s[0:1], vcc
	s_xor_b64 s[68:69], exec, s[0:1]
	s_cbranch_execz .LBB15_29
; %bb.28:                               ;   in Loop: Header=BB15_3 Depth=1
	s_ashr_i32 s70, s65, 31
	s_add_u32 s0, s64, s70
	s_mov_b32 s71, s70
	s_addc_u32 s1, s65, s70
	s_xor_b64 s[72:73], s[0:1], s[70:71]
	v_cvt_f32_u32_e32 v3, s72
	v_cvt_f32_u32_e32 v22, s73
	s_sub_u32 s0, 0, s72
	s_subb_u32 s1, 0, s73
	v_mac_f32_e32 v3, 0x4f800000, v22
	v_rcp_f32_e32 v3, v3
	v_mul_f32_e32 v3, 0x5f7ffffc, v3
	v_mul_f32_e32 v22, 0x2f800000, v3
	v_trunc_f32_e32 v22, v22
	v_mac_f32_e32 v3, 0xcf800000, v22
	v_cvt_u32_f32_e32 v22, v22
	v_cvt_u32_f32_e32 v3, v3
	v_mul_lo_u32 v23, s0, v22
	v_mul_hi_u32 v41, s0, v3
	v_mul_lo_u32 v38, s1, v3
	v_add_u32_e32 v23, v41, v23
	v_mul_lo_u32 v43, s0, v3
	v_add_u32_e32 v23, v23, v38
	v_mul_lo_u32 v41, v3, v23
	v_mul_hi_u32 v44, v3, v43
	v_mul_hi_u32 v38, v3, v23
	v_add_co_u32_e32 v41, vcc, v44, v41
	v_addc_co_u32_e32 v38, vcc, 0, v38, vcc
	v_mul_hi_u32 v45, v22, v43
	v_mul_lo_u32 v43, v22, v43
	v_add_co_u32_e32 v41, vcc, v41, v43
	v_mul_hi_u32 v44, v22, v23
	v_addc_co_u32_e32 v38, vcc, v38, v45, vcc
	v_addc_co_u32_e32 v41, vcc, 0, v44, vcc
	v_mul_lo_u32 v23, v22, v23
	v_add_co_u32_e32 v23, vcc, v38, v23
	v_addc_co_u32_e32 v38, vcc, 0, v41, vcc
	v_add_co_u32_e32 v3, vcc, v3, v23
	v_addc_co_u32_e32 v22, vcc, v22, v38, vcc
	v_mul_lo_u32 v23, s0, v22
	v_mul_hi_u32 v38, s0, v3
	v_add_u32_e32 v23, v38, v23
	v_mul_lo_u32 v38, s1, v3
	v_add_u32_e32 v23, v23, v38
	v_mul_lo_u32 v41, s0, v3
	v_mul_hi_u32 v43, v22, v41
	v_mul_lo_u32 v44, v22, v41
	v_mul_lo_u32 v46, v3, v23
	v_mul_hi_u32 v41, v3, v41
	v_mul_hi_u32 v45, v3, v23
	v_add_co_u32_e32 v41, vcc, v41, v46
	v_addc_co_u32_e32 v45, vcc, 0, v45, vcc
	v_add_co_u32_e32 v41, vcc, v41, v44
	v_mul_hi_u32 v38, v22, v23
	v_addc_co_u32_e32 v41, vcc, v45, v43, vcc
	v_addc_co_u32_e32 v38, vcc, 0, v38, vcc
	v_mul_lo_u32 v23, v22, v23
	v_add_co_u32_e32 v23, vcc, v41, v23
	v_addc_co_u32_e32 v38, vcc, 0, v38, vcc
	v_add_co_u32_e32 v3, vcc, v3, v23
	v_addc_co_u32_e32 v38, vcc, v22, v38, vcc
	;; [unrolled: 2-line block ×3, first 2 shown]
	v_xor_b32_e32 v43, v22, v25
	v_xor_b32_e32 v41, v23, v25
	v_mad_u64_u32 v[22:23], s[0:1], v43, v38, 0
	v_mul_hi_u32 v44, v43, v3
	v_add_co_u32_e32 v46, vcc, v44, v22
	v_addc_co_u32_e32 v47, vcc, 0, v23, vcc
	v_mad_u64_u32 v[44:45], s[0:1], v41, v3, 0
	v_add_co_u32_e32 v3, vcc, v46, v44
	v_mad_u64_u32 v[22:23], s[0:1], v41, v38, 0
	v_addc_co_u32_e32 v3, vcc, v47, v45, vcc
	v_addc_co_u32_e32 v23, vcc, 0, v23, vcc
	v_add_co_u32_e32 v3, vcc, v3, v22
	v_addc_co_u32_e32 v38, vcc, 0, v23, vcc
	v_mul_lo_u32 v44, s73, v3
	v_mul_lo_u32 v45, s72, v38
	v_mad_u64_u32 v[22:23], s[0:1], s72, v3, 0
	v_add3_u32 v23, v23, v45, v44
	v_sub_u32_e32 v44, v41, v23
	v_mov_b32_e32 v45, s73
	v_sub_co_u32_e32 v22, vcc, v43, v22
	v_subb_co_u32_e64 v43, s[0:1], v44, v45, vcc
	v_subrev_co_u32_e64 v44, s[0:1], s72, v22
	v_subbrev_co_u32_e64 v43, s[0:1], 0, v43, s[0:1]
	v_cmp_le_u32_e64 s[0:1], s73, v43
	v_cndmask_b32_e64 v45, 0, -1, s[0:1]
	v_cmp_le_u32_e64 s[0:1], s72, v44
	v_cndmask_b32_e64 v44, 0, -1, s[0:1]
	v_cmp_eq_u32_e64 s[0:1], s73, v43
	v_cndmask_b32_e64 v43, v45, v44, s[0:1]
	v_add_co_u32_e64 v44, s[0:1], 2, v3
	v_subb_co_u32_e32 v23, vcc, v41, v23, vcc
	v_addc_co_u32_e64 v45, s[0:1], 0, v38, s[0:1]
	v_cmp_le_u32_e32 vcc, s73, v23
	v_add_co_u32_e64 v46, s[0:1], 1, v3
	v_cndmask_b32_e64 v41, 0, -1, vcc
	v_cmp_le_u32_e32 vcc, s72, v22
	v_addc_co_u32_e64 v47, s[0:1], 0, v38, s[0:1]
	v_cndmask_b32_e64 v22, 0, -1, vcc
	v_cmp_eq_u32_e32 vcc, s73, v23
	v_cmp_ne_u32_e64 s[0:1], 0, v43
	v_cndmask_b32_e32 v22, v41, v22, vcc
	v_cmp_ne_u32_e32 vcc, 0, v22
	v_cndmask_b32_e64 v23, v46, v44, s[0:1]
	v_cndmask_b32_e64 v43, v47, v45, s[0:1]
	v_cndmask_b32_e32 v3, v3, v23, vcc
	v_xor_b32_e32 v23, s70, v25
	v_cndmask_b32_e32 v22, v38, v43, vcc
	v_xor_b32_e32 v3, v3, v23
	v_xor_b32_e32 v38, v22, v23
	v_sub_co_u32_e32 v22, vcc, v3, v23
	v_subb_co_u32_e32 v23, vcc, v38, v23, vcc
.LBB15_29:                              ;   in Loop: Header=BB15_3 Depth=1
	s_andn2_saveexec_b64 s[0:1], s[68:69]
	s_cbranch_execz .LBB15_31
; %bb.30:                               ;   in Loop: Header=BB15_3 Depth=1
	v_rcp_iflag_f32_e32 v3, v42
	s_sub_i32 s68, 0, s64
	v_mul_f32_e32 v3, 0x4f7ffffe, v3
	v_cvt_u32_f32_e32 v3, v3
	v_mul_lo_u32 v22, s68, v3
	v_mul_hi_u32 v22, v3, v22
	v_add_u32_e32 v3, v3, v22
	v_mul_hi_u32 v3, v16, v3
	v_mul_lo_u32 v22, v3, s64
	v_sub_u32_e32 v22, v16, v22
	v_add_u32_e32 v23, 1, v3
	v_subrev_u32_e32 v38, s64, v22
	v_cmp_le_u32_e32 vcc, s64, v22
	v_cndmask_b32_e32 v22, v22, v38, vcc
	v_cndmask_b32_e32 v3, v3, v23, vcc
	v_add_u32_e32 v23, 1, v3
	v_cmp_le_u32_e32 vcc, s64, v22
	v_cndmask_b32_e32 v22, v3, v23, vcc
	v_mov_b32_e32 v23, v2
.LBB15_31:                              ;   in Loop: Header=BB15_3 Depth=1
	s_or_b64 exec, exec, s[0:1]
	v_mul_lo_u32 v3, v23, s64
	v_mul_lo_u32 v38, v22, s65
	v_mad_u64_u32 v[44:45], s[0:1], v22, s64, 0
	v_add3_u32 v3, v45, v38, v3
	v_sub_co_u32_e32 v38, vcc, v8, v44
	v_subb_co_u32_e32 v3, vcc, v9, v3, vcc
	v_add_co_u32_e32 v38, vcc, v0, v38
	v_addc_co_u32_e32 v3, vcc, v1, v3, vcc
	v_mul_lo_u32 v3, v3, s30
	v_mul_lo_u32 v41, v38, s31
	v_mad_u64_u32 v[44:45], s[0:1], v38, s30, 0
	v_add3_u32 v45, v45, v41, v3
	v_mul_lo_u32 v3, v23, s28
	v_mul_lo_u32 v38, v22, s29
	v_mad_u64_u32 v[22:23], s[0:1], v22, s28, 0
	v_add3_u32 v23, v23, v38, v3
	v_lshlrev_b64 v[22:23], 1, v[22:23]
	v_mov_b32_e32 v3, s37
	v_add_co_u32_e32 v38, vcc, s36, v22
	v_addc_co_u32_e32 v3, vcc, v3, v23, vcc
	v_lshlrev_b64 v[22:23], 1, v[44:45]
	v_add_co_u32_e32 v22, vcc, v38, v22
	v_addc_co_u32_e32 v23, vcc, v3, v23, vcc
	global_load_ushort v38, v[22:23], off
	v_or_b32_e32 v3, s65, v19
	v_cmp_ne_u64_e32 vcc, 0, v[2:3]
                                        ; implicit-def: $vgpr22_vgpr23
	s_and_saveexec_b64 s[0:1], vcc
	s_xor_b64 s[68:69], exec, s[0:1]
	s_cbranch_execz .LBB15_33
; %bb.32:                               ;   in Loop: Header=BB15_3 Depth=1
	s_ashr_i32 s70, s65, 31
	s_add_u32 s0, s64, s70
	s_mov_b32 s71, s70
	s_addc_u32 s1, s65, s70
	s_xor_b64 s[72:73], s[0:1], s[70:71]
	v_cvt_f32_u32_e32 v3, s72
	v_cvt_f32_u32_e32 v22, s73
	s_sub_u32 s0, 0, s72
	s_subb_u32 s1, 0, s73
	v_mac_f32_e32 v3, 0x4f800000, v22
	v_rcp_f32_e32 v3, v3
	v_mul_f32_e32 v3, 0x5f7ffffc, v3
	v_mul_f32_e32 v22, 0x2f800000, v3
	v_trunc_f32_e32 v22, v22
	v_mac_f32_e32 v3, 0xcf800000, v22
	v_cvt_u32_f32_e32 v22, v22
	v_cvt_u32_f32_e32 v3, v3
	v_mul_lo_u32 v23, s0, v22
	v_mul_hi_u32 v43, s0, v3
	v_mul_lo_u32 v41, s1, v3
	v_add_u32_e32 v23, v43, v23
	v_mul_lo_u32 v44, s0, v3
	v_add_u32_e32 v23, v23, v41
	v_mul_lo_u32 v43, v3, v23
	v_mul_hi_u32 v45, v3, v44
	v_mul_hi_u32 v41, v3, v23
	v_add_co_u32_e32 v43, vcc, v45, v43
	v_addc_co_u32_e32 v41, vcc, 0, v41, vcc
	v_mul_hi_u32 v46, v22, v44
	v_mul_lo_u32 v44, v22, v44
	v_add_co_u32_e32 v43, vcc, v43, v44
	v_mul_hi_u32 v45, v22, v23
	v_addc_co_u32_e32 v41, vcc, v41, v46, vcc
	v_addc_co_u32_e32 v43, vcc, 0, v45, vcc
	v_mul_lo_u32 v23, v22, v23
	v_add_co_u32_e32 v23, vcc, v41, v23
	v_addc_co_u32_e32 v41, vcc, 0, v43, vcc
	v_add_co_u32_e32 v3, vcc, v3, v23
	v_addc_co_u32_e32 v22, vcc, v22, v41, vcc
	v_mul_lo_u32 v23, s0, v22
	v_mul_hi_u32 v41, s0, v3
	v_add_u32_e32 v23, v41, v23
	v_mul_lo_u32 v41, s1, v3
	v_add_u32_e32 v23, v23, v41
	v_mul_lo_u32 v43, s0, v3
	v_mul_hi_u32 v44, v22, v43
	v_mul_lo_u32 v45, v22, v43
	v_mul_lo_u32 v47, v3, v23
	v_mul_hi_u32 v43, v3, v43
	v_mul_hi_u32 v46, v3, v23
	v_add_co_u32_e32 v43, vcc, v43, v47
	v_addc_co_u32_e32 v46, vcc, 0, v46, vcc
	v_add_co_u32_e32 v43, vcc, v43, v45
	v_mul_hi_u32 v41, v22, v23
	v_addc_co_u32_e32 v43, vcc, v46, v44, vcc
	v_addc_co_u32_e32 v41, vcc, 0, v41, vcc
	v_mul_lo_u32 v23, v22, v23
	v_add_co_u32_e32 v23, vcc, v43, v23
	v_addc_co_u32_e32 v41, vcc, 0, v41, vcc
	v_add_co_u32_e32 v3, vcc, v3, v23
	v_addc_co_u32_e32 v41, vcc, v22, v41, vcc
	v_add_co_u32_e32 v22, vcc, v18, v39
	v_addc_co_u32_e32 v23, vcc, v19, v39, vcc
	v_xor_b32_e32 v46, v22, v39
	v_xor_b32_e32 v43, v23, v39
	v_mad_u64_u32 v[22:23], s[0:1], v46, v41, 0
	v_mul_hi_u32 v44, v46, v3
	v_add_co_u32_e32 v47, vcc, v44, v22
	v_addc_co_u32_e32 v48, vcc, 0, v23, vcc
	v_mad_u64_u32 v[44:45], s[0:1], v43, v3, 0
	v_add_co_u32_e32 v3, vcc, v47, v44
	v_mad_u64_u32 v[22:23], s[0:1], v43, v41, 0
	v_addc_co_u32_e32 v3, vcc, v48, v45, vcc
	v_addc_co_u32_e32 v23, vcc, 0, v23, vcc
	v_add_co_u32_e32 v3, vcc, v3, v22
	v_addc_co_u32_e32 v41, vcc, 0, v23, vcc
	v_mul_lo_u32 v44, s73, v3
	v_mul_lo_u32 v45, s72, v41
	v_mad_u64_u32 v[22:23], s[0:1], s72, v3, 0
	v_add3_u32 v23, v23, v45, v44
	v_sub_u32_e32 v44, v43, v23
	v_mov_b32_e32 v45, s73
	v_sub_co_u32_e32 v22, vcc, v46, v22
	v_subb_co_u32_e64 v44, s[0:1], v44, v45, vcc
	v_subrev_co_u32_e64 v45, s[0:1], s72, v22
	v_subbrev_co_u32_e64 v44, s[0:1], 0, v44, s[0:1]
	v_cmp_le_u32_e64 s[0:1], s73, v44
	v_cndmask_b32_e64 v46, 0, -1, s[0:1]
	v_cmp_le_u32_e64 s[0:1], s72, v45
	v_cndmask_b32_e64 v45, 0, -1, s[0:1]
	v_cmp_eq_u32_e64 s[0:1], s73, v44
	v_cndmask_b32_e64 v44, v46, v45, s[0:1]
	v_add_co_u32_e64 v45, s[0:1], 2, v3
	v_subb_co_u32_e32 v23, vcc, v43, v23, vcc
	v_addc_co_u32_e64 v46, s[0:1], 0, v41, s[0:1]
	v_cmp_le_u32_e32 vcc, s73, v23
	v_add_co_u32_e64 v47, s[0:1], 1, v3
	v_cndmask_b32_e64 v43, 0, -1, vcc
	v_cmp_le_u32_e32 vcc, s72, v22
	v_addc_co_u32_e64 v48, s[0:1], 0, v41, s[0:1]
	v_cndmask_b32_e64 v22, 0, -1, vcc
	v_cmp_eq_u32_e32 vcc, s73, v23
	v_cmp_ne_u32_e64 s[0:1], 0, v44
	v_cndmask_b32_e32 v22, v43, v22, vcc
	v_cmp_ne_u32_e32 vcc, 0, v22
	v_cndmask_b32_e64 v23, v47, v45, s[0:1]
	v_cndmask_b32_e64 v44, v48, v46, s[0:1]
	v_cndmask_b32_e32 v3, v3, v23, vcc
	v_xor_b32_e32 v23, s70, v39
	v_cndmask_b32_e32 v22, v41, v44, vcc
	v_xor_b32_e32 v3, v3, v23
	v_xor_b32_e32 v41, v22, v23
	v_sub_co_u32_e32 v22, vcc, v3, v23
	v_subb_co_u32_e32 v23, vcc, v41, v23, vcc
.LBB15_33:                              ;   in Loop: Header=BB15_3 Depth=1
	s_andn2_saveexec_b64 s[0:1], s[68:69]
	s_cbranch_execz .LBB15_35
; %bb.34:                               ;   in Loop: Header=BB15_3 Depth=1
	v_rcp_iflag_f32_e32 v3, v42
	s_sub_i32 s68, 0, s64
	v_mul_f32_e32 v3, 0x4f7ffffe, v3
	v_cvt_u32_f32_e32 v3, v3
	v_mul_lo_u32 v22, s68, v3
	v_mul_hi_u32 v22, v3, v22
	v_add_u32_e32 v3, v3, v22
	v_mul_hi_u32 v3, v18, v3
	v_mul_lo_u32 v22, v3, s64
	v_sub_u32_e32 v22, v18, v22
	v_add_u32_e32 v23, 1, v3
	v_subrev_u32_e32 v41, s64, v22
	v_cmp_le_u32_e32 vcc, s64, v22
	v_cndmask_b32_e32 v22, v22, v41, vcc
	v_cndmask_b32_e32 v3, v3, v23, vcc
	v_add_u32_e32 v23, 1, v3
	v_cmp_le_u32_e32 vcc, s64, v22
	v_cndmask_b32_e32 v22, v3, v23, vcc
	v_mov_b32_e32 v23, v2
.LBB15_35:                              ;   in Loop: Header=BB15_3 Depth=1
	s_or_b64 exec, exec, s[0:1]
	v_mul_lo_u32 v3, v23, s64
	v_mul_lo_u32 v41, v22, s65
	v_mad_u64_u32 v[44:45], s[0:1], v22, s64, 0
	v_add3_u32 v3, v45, v41, v3
	v_sub_co_u32_e32 v41, vcc, v10, v44
	v_subb_co_u32_e32 v3, vcc, v11, v3, vcc
	v_add_co_u32_e32 v41, vcc, v0, v41
	v_addc_co_u32_e32 v3, vcc, v1, v3, vcc
	v_mul_lo_u32 v3, v3, s30
	v_mul_lo_u32 v43, v41, s31
	v_mad_u64_u32 v[44:45], s[0:1], v41, s30, 0
	v_add3_u32 v45, v45, v43, v3
	v_mul_lo_u32 v3, v23, s28
	v_mul_lo_u32 v41, v22, s29
	v_mad_u64_u32 v[22:23], s[0:1], v22, s28, 0
	v_add3_u32 v23, v23, v41, v3
	v_lshlrev_b64 v[22:23], 1, v[22:23]
	v_mov_b32_e32 v3, s37
	v_add_co_u32_e32 v41, vcc, s36, v22
	v_addc_co_u32_e32 v3, vcc, v3, v23, vcc
	v_lshlrev_b64 v[22:23], 1, v[44:45]
	v_add_co_u32_e32 v22, vcc, v41, v22
	v_addc_co_u32_e32 v23, vcc, v3, v23, vcc
	global_load_ushort v41, v[22:23], off
	v_or_b32_e32 v3, s65, v21
	v_cmp_ne_u64_e32 vcc, 0, v[2:3]
                                        ; implicit-def: $vgpr22_vgpr23
	s_and_saveexec_b64 s[0:1], vcc
	s_xor_b64 s[68:69], exec, s[0:1]
	s_cbranch_execz .LBB15_37
; %bb.36:                               ;   in Loop: Header=BB15_3 Depth=1
	s_ashr_i32 s70, s65, 31
	s_add_u32 s0, s64, s70
	s_mov_b32 s71, s70
	s_addc_u32 s1, s65, s70
	s_xor_b64 s[72:73], s[0:1], s[70:71]
	v_cvt_f32_u32_e32 v3, s72
	v_cvt_f32_u32_e32 v22, s73
	s_sub_u32 s0, 0, s72
	s_subb_u32 s1, 0, s73
	v_mac_f32_e32 v3, 0x4f800000, v22
	v_rcp_f32_e32 v3, v3
	v_mul_f32_e32 v3, 0x5f7ffffc, v3
	v_mul_f32_e32 v22, 0x2f800000, v3
	v_trunc_f32_e32 v22, v22
	v_mac_f32_e32 v3, 0xcf800000, v22
	v_cvt_u32_f32_e32 v22, v22
	v_cvt_u32_f32_e32 v3, v3
	v_mul_lo_u32 v23, s0, v22
	v_mul_hi_u32 v43, s0, v3
	v_mul_lo_u32 v42, s1, v3
	v_add_u32_e32 v23, v43, v23
	v_mul_lo_u32 v44, s0, v3
	v_add_u32_e32 v23, v23, v42
	v_mul_lo_u32 v43, v3, v23
	v_mul_hi_u32 v45, v3, v44
	v_mul_hi_u32 v42, v3, v23
	v_add_co_u32_e32 v43, vcc, v45, v43
	v_addc_co_u32_e32 v42, vcc, 0, v42, vcc
	v_mul_hi_u32 v46, v22, v44
	v_mul_lo_u32 v44, v22, v44
	v_add_co_u32_e32 v43, vcc, v43, v44
	v_mul_hi_u32 v45, v22, v23
	v_addc_co_u32_e32 v42, vcc, v42, v46, vcc
	v_addc_co_u32_e32 v43, vcc, 0, v45, vcc
	v_mul_lo_u32 v23, v22, v23
	v_add_co_u32_e32 v23, vcc, v42, v23
	v_addc_co_u32_e32 v42, vcc, 0, v43, vcc
	v_add_co_u32_e32 v3, vcc, v3, v23
	v_addc_co_u32_e32 v22, vcc, v22, v42, vcc
	v_mul_lo_u32 v23, s0, v22
	v_mul_hi_u32 v42, s0, v3
	v_add_u32_e32 v23, v42, v23
	v_mul_lo_u32 v42, s1, v3
	v_add_u32_e32 v23, v23, v42
	v_mul_lo_u32 v43, s0, v3
	v_mul_hi_u32 v44, v22, v43
	v_mul_lo_u32 v45, v22, v43
	v_mul_lo_u32 v47, v3, v23
	v_mul_hi_u32 v43, v3, v43
	v_mul_hi_u32 v46, v3, v23
	v_add_co_u32_e32 v43, vcc, v43, v47
	v_addc_co_u32_e32 v46, vcc, 0, v46, vcc
	v_add_co_u32_e32 v43, vcc, v43, v45
	v_mul_hi_u32 v42, v22, v23
	v_addc_co_u32_e32 v43, vcc, v46, v44, vcc
	v_addc_co_u32_e32 v42, vcc, 0, v42, vcc
	v_mul_lo_u32 v23, v22, v23
	v_add_co_u32_e32 v23, vcc, v43, v23
	v_addc_co_u32_e32 v42, vcc, 0, v42, vcc
	v_add_co_u32_e32 v3, vcc, v3, v23
	v_addc_co_u32_e32 v42, vcc, v22, v42, vcc
	;; [unrolled: 2-line block ×3, first 2 shown]
	v_xor_b32_e32 v45, v22, v40
	v_xor_b32_e32 v44, v23, v40
	v_mad_u64_u32 v[22:23], s[0:1], v45, v42, 0
	v_mul_hi_u32 v43, v45, v3
	v_add_co_u32_e32 v46, vcc, v43, v22
	v_addc_co_u32_e32 v47, vcc, 0, v23, vcc
	v_mad_u64_u32 v[22:23], s[0:1], v44, v42, 0
	v_mad_u64_u32 v[42:43], s[0:1], v44, v3, 0
	v_add_co_u32_e32 v3, vcc, v46, v42
	v_addc_co_u32_e32 v3, vcc, v47, v43, vcc
	v_addc_co_u32_e32 v23, vcc, 0, v23, vcc
	v_add_co_u32_e32 v3, vcc, v3, v22
	v_addc_co_u32_e32 v42, vcc, 0, v23, vcc
	v_mul_lo_u32 v43, s73, v3
	v_mul_lo_u32 v46, s72, v42
	v_mad_u64_u32 v[22:23], s[0:1], s72, v3, 0
	v_add3_u32 v23, v23, v46, v43
	v_sub_u32_e32 v43, v44, v23
	v_mov_b32_e32 v46, s73
	v_sub_co_u32_e32 v22, vcc, v45, v22
	v_subb_co_u32_e64 v43, s[0:1], v43, v46, vcc
	v_subrev_co_u32_e64 v45, s[0:1], s72, v22
	v_subbrev_co_u32_e64 v43, s[0:1], 0, v43, s[0:1]
	v_cmp_le_u32_e64 s[0:1], s73, v43
	v_cndmask_b32_e64 v46, 0, -1, s[0:1]
	v_cmp_le_u32_e64 s[0:1], s72, v45
	v_cndmask_b32_e64 v45, 0, -1, s[0:1]
	v_cmp_eq_u32_e64 s[0:1], s73, v43
	v_cndmask_b32_e64 v43, v46, v45, s[0:1]
	v_add_co_u32_e64 v45, s[0:1], 2, v3
	v_subb_co_u32_e32 v23, vcc, v44, v23, vcc
	v_addc_co_u32_e64 v46, s[0:1], 0, v42, s[0:1]
	v_cmp_le_u32_e32 vcc, s73, v23
	v_add_co_u32_e64 v47, s[0:1], 1, v3
	v_cndmask_b32_e64 v44, 0, -1, vcc
	v_cmp_le_u32_e32 vcc, s72, v22
	v_addc_co_u32_e64 v48, s[0:1], 0, v42, s[0:1]
	v_cndmask_b32_e64 v22, 0, -1, vcc
	v_cmp_eq_u32_e32 vcc, s73, v23
	v_cmp_ne_u32_e64 s[0:1], 0, v43
	v_cndmask_b32_e32 v22, v44, v22, vcc
	v_cmp_ne_u32_e32 vcc, 0, v22
	v_cndmask_b32_e64 v23, v47, v45, s[0:1]
	v_cndmask_b32_e64 v43, v48, v46, s[0:1]
	v_cndmask_b32_e32 v3, v3, v23, vcc
	v_xor_b32_e32 v23, s70, v40
	v_cndmask_b32_e32 v22, v42, v43, vcc
	v_xor_b32_e32 v3, v3, v23
	v_xor_b32_e32 v42, v22, v23
	v_sub_co_u32_e32 v22, vcc, v3, v23
	v_subb_co_u32_e32 v23, vcc, v42, v23, vcc
                                        ; implicit-def: $vgpr42
.LBB15_37:                              ;   in Loop: Header=BB15_3 Depth=1
	s_andn2_saveexec_b64 s[0:1], s[68:69]
	s_cbranch_execz .LBB15_39
; %bb.38:                               ;   in Loop: Header=BB15_3 Depth=1
	v_rcp_iflag_f32_e32 v3, v42
	s_sub_i32 s68, 0, s64
	v_mul_f32_e32 v3, 0x4f7ffffe, v3
	v_cvt_u32_f32_e32 v3, v3
	v_mul_lo_u32 v22, s68, v3
	v_mul_hi_u32 v22, v3, v22
	v_add_u32_e32 v3, v3, v22
	v_mul_hi_u32 v3, v20, v3
	v_mul_lo_u32 v22, v3, s64
	v_sub_u32_e32 v22, v20, v22
	v_add_u32_e32 v23, 1, v3
	v_subrev_u32_e32 v42, s64, v22
	v_cmp_le_u32_e32 vcc, s64, v22
	v_cndmask_b32_e32 v22, v22, v42, vcc
	v_cndmask_b32_e32 v3, v3, v23, vcc
	v_add_u32_e32 v23, 1, v3
	v_cmp_le_u32_e32 vcc, s64, v22
	v_cndmask_b32_e32 v22, v3, v23, vcc
	v_mov_b32_e32 v23, v2
.LBB15_39:                              ;   in Loop: Header=BB15_3 Depth=1
	s_or_b64 exec, exec, s[0:1]
	v_mul_lo_u32 v3, v23, s64
	v_mul_lo_u32 v44, v22, s65
	v_mad_u64_u32 v[42:43], s[0:1], v22, s64, 0
	v_add3_u32 v3, v43, v44, v3
	v_sub_co_u32_e32 v42, vcc, v12, v42
	v_subb_co_u32_e32 v3, vcc, v13, v3, vcc
	v_add_co_u32_e32 v42, vcc, v0, v42
	v_addc_co_u32_e32 v3, vcc, v1, v3, vcc
	v_mul_lo_u32 v3, v3, s30
	v_mul_lo_u32 v44, v42, s31
	v_mad_u64_u32 v[42:43], s[0:1], v42, s30, 0
	v_add3_u32 v43, v43, v44, v3
	v_mul_lo_u32 v3, v23, s28
	v_mul_lo_u32 v44, v22, s29
	v_mad_u64_u32 v[22:23], s[0:1], v22, s28, 0
	v_add3_u32 v23, v23, v44, v3
	v_lshlrev_b64 v[22:23], 1, v[22:23]
	v_mov_b32_e32 v3, s37
	v_add_co_u32_e32 v44, vcc, s36, v22
	v_addc_co_u32_e32 v3, vcc, v3, v23, vcc
	v_lshlrev_b64 v[22:23], 1, v[42:43]
	v_add_co_u32_e32 v22, vcc, v44, v22
	v_addc_co_u32_e32 v23, vcc, v3, v23, vcc
	global_load_ushort v42, v[22:23], off
	v_or_b32_e32 v3, s61, v15
	v_cmp_ne_u64_e32 vcc, 0, v[2:3]
                                        ; implicit-def: $vgpr22_vgpr23
	s_and_saveexec_b64 s[0:1], vcc
	s_xor_b64 s[68:69], exec, s[0:1]
	s_cbranch_execz .LBB15_41
; %bb.40:                               ;   in Loop: Header=BB15_3 Depth=1
	s_ashr_i32 s70, s61, 31
	s_add_u32 s0, s60, s70
	s_mov_b32 s71, s70
	s_addc_u32 s1, s61, s70
	s_xor_b64 s[72:73], s[0:1], s[70:71]
	v_cvt_f32_u32_e32 v3, s72
	v_cvt_f32_u32_e32 v22, s73
	s_sub_u32 s0, 0, s72
	s_subb_u32 s1, 0, s73
	v_mac_f32_e32 v3, 0x4f800000, v22
	v_rcp_f32_e32 v3, v3
	v_mul_f32_e32 v3, 0x5f7ffffc, v3
	v_mul_f32_e32 v22, 0x2f800000, v3
	v_trunc_f32_e32 v22, v22
	v_mac_f32_e32 v3, 0xcf800000, v22
	v_cvt_u32_f32_e32 v22, v22
	v_cvt_u32_f32_e32 v3, v3
	v_mul_lo_u32 v23, s0, v22
	v_mul_hi_u32 v44, s0, v3
	v_mul_lo_u32 v43, s1, v3
	v_add_u32_e32 v23, v44, v23
	v_mul_lo_u32 v45, s0, v3
	v_add_u32_e32 v23, v23, v43
	v_mul_lo_u32 v44, v3, v23
	v_mul_hi_u32 v46, v3, v45
	v_mul_hi_u32 v43, v3, v23
	v_add_co_u32_e32 v44, vcc, v46, v44
	v_addc_co_u32_e32 v43, vcc, 0, v43, vcc
	v_mul_hi_u32 v47, v22, v45
	v_mul_lo_u32 v45, v22, v45
	v_add_co_u32_e32 v44, vcc, v44, v45
	v_mul_hi_u32 v46, v22, v23
	v_addc_co_u32_e32 v43, vcc, v43, v47, vcc
	v_addc_co_u32_e32 v44, vcc, 0, v46, vcc
	v_mul_lo_u32 v23, v22, v23
	v_add_co_u32_e32 v23, vcc, v43, v23
	v_addc_co_u32_e32 v43, vcc, 0, v44, vcc
	v_add_co_u32_e32 v3, vcc, v3, v23
	v_addc_co_u32_e32 v22, vcc, v22, v43, vcc
	v_mul_lo_u32 v23, s0, v22
	v_mul_hi_u32 v43, s0, v3
	v_add_u32_e32 v23, v43, v23
	v_mul_lo_u32 v43, s1, v3
	v_add_u32_e32 v23, v23, v43
	v_mul_lo_u32 v44, s0, v3
	v_mul_hi_u32 v45, v22, v44
	v_mul_lo_u32 v46, v22, v44
	v_mul_lo_u32 v48, v3, v23
	v_mul_hi_u32 v44, v3, v44
	v_mul_hi_u32 v47, v3, v23
	v_add_co_u32_e32 v44, vcc, v44, v48
	v_addc_co_u32_e32 v47, vcc, 0, v47, vcc
	v_add_co_u32_e32 v44, vcc, v44, v46
	v_mul_hi_u32 v43, v22, v23
	v_addc_co_u32_e32 v44, vcc, v47, v45, vcc
	v_addc_co_u32_e32 v43, vcc, 0, v43, vcc
	v_mul_lo_u32 v23, v22, v23
	v_add_co_u32_e32 v23, vcc, v44, v23
	v_addc_co_u32_e32 v43, vcc, 0, v43, vcc
	v_add_co_u32_e32 v3, vcc, v3, v23
	v_addc_co_u32_e32 v22, vcc, v22, v43, vcc
	;; [unrolled: 2-line block ×3, first 2 shown]
	v_xor_b32_e32 v44, v14, v24
	v_xor_b32_e32 v43, v15, v24
	v_mad_u64_u32 v[14:15], s[0:1], v44, v22, 0
	v_mul_hi_u32 v23, v44, v3
	v_add_co_u32_e32 v45, vcc, v23, v14
	v_addc_co_u32_e32 v46, vcc, 0, v15, vcc
	v_mad_u64_u32 v[14:15], s[0:1], v43, v22, 0
	v_mad_u64_u32 v[22:23], s[0:1], v43, v3, 0
	v_add_co_u32_e32 v3, vcc, v45, v22
	v_addc_co_u32_e32 v3, vcc, v46, v23, vcc
	v_addc_co_u32_e32 v15, vcc, 0, v15, vcc
	v_add_co_u32_e32 v3, vcc, v3, v14
	v_addc_co_u32_e32 v22, vcc, 0, v15, vcc
	v_mul_lo_u32 v23, s73, v3
	v_mul_lo_u32 v45, s72, v22
	v_mad_u64_u32 v[14:15], s[0:1], s72, v3, 0
	v_add3_u32 v15, v15, v45, v23
	v_sub_u32_e32 v23, v43, v15
	v_mov_b32_e32 v45, s73
	v_sub_co_u32_e32 v14, vcc, v44, v14
	v_subb_co_u32_e64 v23, s[0:1], v23, v45, vcc
	v_subrev_co_u32_e64 v44, s[0:1], s72, v14
	v_subbrev_co_u32_e64 v23, s[0:1], 0, v23, s[0:1]
	v_cmp_le_u32_e64 s[0:1], s73, v23
	v_cndmask_b32_e64 v45, 0, -1, s[0:1]
	v_cmp_le_u32_e64 s[0:1], s72, v44
	v_cndmask_b32_e64 v44, 0, -1, s[0:1]
	v_cmp_eq_u32_e64 s[0:1], s73, v23
	v_cndmask_b32_e64 v23, v45, v44, s[0:1]
	v_add_co_u32_e64 v44, s[0:1], 2, v3
	v_subb_co_u32_e32 v15, vcc, v43, v15, vcc
	v_addc_co_u32_e64 v45, s[0:1], 0, v22, s[0:1]
	v_cmp_le_u32_e32 vcc, s73, v15
	v_add_co_u32_e64 v46, s[0:1], 1, v3
	v_cndmask_b32_e64 v43, 0, -1, vcc
	v_cmp_le_u32_e32 vcc, s72, v14
	v_addc_co_u32_e64 v47, s[0:1], 0, v22, s[0:1]
	v_cndmask_b32_e64 v14, 0, -1, vcc
	v_cmp_eq_u32_e32 vcc, s73, v15
	v_cmp_ne_u32_e64 s[0:1], 0, v23
	v_cndmask_b32_e32 v14, v43, v14, vcc
	v_cmp_ne_u32_e32 vcc, 0, v14
	v_cndmask_b32_e64 v15, v46, v44, s[0:1]
	v_cndmask_b32_e64 v23, v47, v45, s[0:1]
	v_cndmask_b32_e32 v3, v3, v15, vcc
	v_xor_b32_e32 v15, s70, v24
	v_cndmask_b32_e32 v14, v22, v23, vcc
	v_xor_b32_e32 v3, v3, v15
	v_xor_b32_e32 v14, v14, v15
	v_sub_co_u32_e32 v22, vcc, v3, v15
	v_subb_co_u32_e32 v23, vcc, v14, v15, vcc
                                        ; implicit-def: $vgpr14_vgpr15
.LBB15_41:                              ;   in Loop: Header=BB15_3 Depth=1
	s_or_saveexec_b64 s[0:1], s[68:69]
	v_cvt_f32_u32_e32 v24, s60
	s_xor_b64 exec, exec, s[0:1]
	s_cbranch_execz .LBB15_43
; %bb.42:                               ;   in Loop: Header=BB15_3 Depth=1
	v_rcp_iflag_f32_e32 v3, v24
	s_sub_i32 s68, 0, s60
	v_mov_b32_e32 v23, v2
	v_mul_f32_e32 v3, 0x4f7ffffe, v3
	v_cvt_u32_f32_e32 v3, v3
	v_mul_lo_u32 v15, s68, v3
	v_mul_hi_u32 v15, v3, v15
	v_add_u32_e32 v3, v3, v15
	v_mul_hi_u32 v3, v14, v3
	v_mul_lo_u32 v15, v3, s60
	v_sub_u32_e32 v14, v14, v15
	v_add_u32_e32 v22, 1, v3
	v_subrev_u32_e32 v15, s60, v14
	v_cmp_le_u32_e32 vcc, s60, v14
	v_cndmask_b32_e32 v14, v14, v15, vcc
	v_cndmask_b32_e32 v3, v3, v22, vcc
	v_add_u32_e32 v15, 1, v3
	v_cmp_le_u32_e32 vcc, s60, v14
	v_cndmask_b32_e32 v22, v3, v15, vcc
.LBB15_43:                              ;   in Loop: Header=BB15_3 Depth=1
	s_or_b64 exec, exec, s[0:1]
	v_or_b32_e32 v3, s61, v17
	v_cmp_ne_u64_e32 vcc, 0, v[2:3]
                                        ; implicit-def: $vgpr14_vgpr15
	s_and_saveexec_b64 s[0:1], vcc
	s_xor_b64 s[68:69], exec, s[0:1]
	s_cbranch_execz .LBB15_45
; %bb.44:                               ;   in Loop: Header=BB15_3 Depth=1
	s_ashr_i32 s70, s61, 31
	s_add_u32 s0, s60, s70
	s_mov_b32 s71, s70
	s_addc_u32 s1, s61, s70
	s_xor_b64 s[72:73], s[0:1], s[70:71]
	v_cvt_f32_u32_e32 v3, s72
	v_cvt_f32_u32_e32 v14, s73
	s_sub_u32 s0, 0, s72
	s_subb_u32 s1, 0, s73
	v_mac_f32_e32 v3, 0x4f800000, v14
	v_rcp_f32_e32 v3, v3
	v_mul_f32_e32 v3, 0x5f7ffffc, v3
	v_mul_f32_e32 v14, 0x2f800000, v3
	v_trunc_f32_e32 v14, v14
	v_mac_f32_e32 v3, 0xcf800000, v14
	v_cvt_u32_f32_e32 v14, v14
	v_cvt_u32_f32_e32 v3, v3
	v_mul_lo_u32 v15, s0, v14
	v_mul_hi_u32 v44, s0, v3
	v_mul_lo_u32 v43, s1, v3
	v_add_u32_e32 v15, v44, v15
	v_mul_lo_u32 v45, s0, v3
	v_add_u32_e32 v15, v15, v43
	v_mul_lo_u32 v44, v3, v15
	v_mul_hi_u32 v46, v3, v45
	v_mul_hi_u32 v43, v3, v15
	v_add_co_u32_e32 v44, vcc, v46, v44
	v_addc_co_u32_e32 v43, vcc, 0, v43, vcc
	v_mul_hi_u32 v47, v14, v45
	v_mul_lo_u32 v45, v14, v45
	v_add_co_u32_e32 v44, vcc, v44, v45
	v_mul_hi_u32 v46, v14, v15
	v_addc_co_u32_e32 v43, vcc, v43, v47, vcc
	v_addc_co_u32_e32 v44, vcc, 0, v46, vcc
	v_mul_lo_u32 v15, v14, v15
	v_add_co_u32_e32 v15, vcc, v43, v15
	v_addc_co_u32_e32 v43, vcc, 0, v44, vcc
	v_add_co_u32_e32 v3, vcc, v3, v15
	v_addc_co_u32_e32 v14, vcc, v14, v43, vcc
	v_mul_lo_u32 v15, s0, v14
	v_mul_hi_u32 v43, s0, v3
	v_add_u32_e32 v15, v43, v15
	v_mul_lo_u32 v43, s1, v3
	v_add_u32_e32 v15, v15, v43
	v_mul_lo_u32 v44, s0, v3
	v_mul_hi_u32 v45, v14, v44
	v_mul_lo_u32 v46, v14, v44
	v_mul_lo_u32 v48, v3, v15
	v_mul_hi_u32 v44, v3, v44
	v_mul_hi_u32 v47, v3, v15
	v_add_co_u32_e32 v44, vcc, v44, v48
	v_addc_co_u32_e32 v47, vcc, 0, v47, vcc
	v_add_co_u32_e32 v44, vcc, v44, v46
	v_mul_hi_u32 v43, v14, v15
	v_addc_co_u32_e32 v44, vcc, v47, v45, vcc
	v_addc_co_u32_e32 v43, vcc, 0, v43, vcc
	v_mul_lo_u32 v15, v14, v15
	v_add_co_u32_e32 v15, vcc, v44, v15
	v_addc_co_u32_e32 v43, vcc, 0, v43, vcc
	v_add_co_u32_e32 v3, vcc, v3, v15
	v_addc_co_u32_e32 v43, vcc, v14, v43, vcc
	;; [unrolled: 2-line block ×3, first 2 shown]
	v_xor_b32_e32 v45, v14, v25
	v_xor_b32_e32 v44, v15, v25
	v_mad_u64_u32 v[14:15], s[0:1], v45, v43, 0
	v_mul_hi_u32 v16, v45, v3
	v_add_co_u32_e32 v46, vcc, v16, v14
	v_addc_co_u32_e32 v47, vcc, 0, v15, vcc
	v_mad_u64_u32 v[16:17], s[0:1], v44, v3, 0
	v_add_co_u32_e32 v3, vcc, v46, v16
	v_mad_u64_u32 v[14:15], s[0:1], v44, v43, 0
	v_addc_co_u32_e32 v3, vcc, v47, v17, vcc
	v_addc_co_u32_e32 v15, vcc, 0, v15, vcc
	v_add_co_u32_e32 v3, vcc, v3, v14
	v_addc_co_u32_e32 v16, vcc, 0, v15, vcc
	v_mul_lo_u32 v17, s73, v3
	v_mul_lo_u32 v43, s72, v16
	v_mad_u64_u32 v[14:15], s[0:1], s72, v3, 0
	v_add3_u32 v15, v15, v43, v17
	v_sub_u32_e32 v17, v44, v15
	v_mov_b32_e32 v43, s73
	v_sub_co_u32_e32 v14, vcc, v45, v14
	v_subb_co_u32_e64 v17, s[0:1], v17, v43, vcc
	v_subrev_co_u32_e64 v43, s[0:1], s72, v14
	v_subbrev_co_u32_e64 v17, s[0:1], 0, v17, s[0:1]
	v_cmp_le_u32_e64 s[0:1], s73, v17
	v_cndmask_b32_e64 v45, 0, -1, s[0:1]
	v_cmp_le_u32_e64 s[0:1], s72, v43
	v_cndmask_b32_e64 v43, 0, -1, s[0:1]
	v_cmp_eq_u32_e64 s[0:1], s73, v17
	v_cndmask_b32_e64 v17, v45, v43, s[0:1]
	v_add_co_u32_e64 v43, s[0:1], 2, v3
	v_subb_co_u32_e32 v15, vcc, v44, v15, vcc
	v_addc_co_u32_e64 v45, s[0:1], 0, v16, s[0:1]
	v_cmp_le_u32_e32 vcc, s73, v15
	v_add_co_u32_e64 v46, s[0:1], 1, v3
	v_cndmask_b32_e64 v44, 0, -1, vcc
	v_cmp_le_u32_e32 vcc, s72, v14
	v_addc_co_u32_e64 v47, s[0:1], 0, v16, s[0:1]
	v_cndmask_b32_e64 v14, 0, -1, vcc
	v_cmp_eq_u32_e32 vcc, s73, v15
	v_cmp_ne_u32_e64 s[0:1], 0, v17
	v_cndmask_b32_e32 v14, v44, v14, vcc
	v_cmp_ne_u32_e32 vcc, 0, v14
	v_cndmask_b32_e64 v15, v46, v43, s[0:1]
	v_cndmask_b32_e64 v17, v47, v45, s[0:1]
	v_cndmask_b32_e32 v3, v3, v15, vcc
	v_xor_b32_e32 v15, s70, v25
	v_cndmask_b32_e32 v14, v16, v17, vcc
	v_xor_b32_e32 v3, v3, v15
	v_xor_b32_e32 v16, v14, v15
	v_sub_co_u32_e32 v14, vcc, v3, v15
	v_subb_co_u32_e32 v15, vcc, v16, v15, vcc
                                        ; implicit-def: $vgpr16_vgpr17
.LBB15_45:                              ;   in Loop: Header=BB15_3 Depth=1
	s_andn2_saveexec_b64 s[0:1], s[68:69]
	s_cbranch_execz .LBB15_47
; %bb.46:                               ;   in Loop: Header=BB15_3 Depth=1
	v_rcp_iflag_f32_e32 v3, v24
	s_sub_i32 s68, 0, s60
	v_mul_f32_e32 v3, 0x4f7ffffe, v3
	v_cvt_u32_f32_e32 v3, v3
	v_mul_lo_u32 v14, s68, v3
	v_mul_hi_u32 v14, v3, v14
	v_add_u32_e32 v3, v3, v14
	v_mul_hi_u32 v3, v16, v3
	v_mul_lo_u32 v14, v3, s60
	v_sub_u32_e32 v14, v16, v14
	v_add_u32_e32 v15, 1, v3
	v_subrev_u32_e32 v16, s60, v14
	v_cmp_le_u32_e32 vcc, s60, v14
	v_cndmask_b32_e32 v14, v14, v16, vcc
	v_cndmask_b32_e32 v3, v3, v15, vcc
	v_add_u32_e32 v15, 1, v3
	v_cmp_le_u32_e32 vcc, s60, v14
	v_cndmask_b32_e32 v14, v3, v15, vcc
	v_mov_b32_e32 v15, v2
.LBB15_47:                              ;   in Loop: Header=BB15_3 Depth=1
	s_or_b64 exec, exec, s[0:1]
	v_or_b32_e32 v3, s61, v19
	v_cmp_ne_u64_e32 vcc, 0, v[2:3]
                                        ; implicit-def: $vgpr16_vgpr17
	s_and_saveexec_b64 s[0:1], vcc
	s_xor_b64 s[68:69], exec, s[0:1]
	s_cbranch_execz .LBB15_49
; %bb.48:                               ;   in Loop: Header=BB15_3 Depth=1
	s_ashr_i32 s70, s61, 31
	s_add_u32 s0, s60, s70
	s_mov_b32 s71, s70
	s_addc_u32 s1, s61, s70
	s_xor_b64 s[72:73], s[0:1], s[70:71]
	v_cvt_f32_u32_e32 v3, s72
	v_cvt_f32_u32_e32 v16, s73
	s_sub_u32 s0, 0, s72
	s_subb_u32 s1, 0, s73
	v_mac_f32_e32 v3, 0x4f800000, v16
	v_rcp_f32_e32 v3, v3
	v_mul_f32_e32 v3, 0x5f7ffffc, v3
	v_mul_f32_e32 v16, 0x2f800000, v3
	v_trunc_f32_e32 v16, v16
	v_mac_f32_e32 v3, 0xcf800000, v16
	v_cvt_u32_f32_e32 v16, v16
	v_cvt_u32_f32_e32 v3, v3
	v_mul_lo_u32 v17, s0, v16
	v_mul_hi_u32 v43, s0, v3
	v_mul_lo_u32 v25, s1, v3
	v_add_u32_e32 v17, v43, v17
	v_mul_lo_u32 v44, s0, v3
	v_add_u32_e32 v17, v17, v25
	v_mul_lo_u32 v43, v3, v17
	v_mul_hi_u32 v45, v3, v44
	v_mul_hi_u32 v25, v3, v17
	v_add_co_u32_e32 v43, vcc, v45, v43
	v_addc_co_u32_e32 v25, vcc, 0, v25, vcc
	v_mul_hi_u32 v46, v16, v44
	v_mul_lo_u32 v44, v16, v44
	v_add_co_u32_e32 v43, vcc, v43, v44
	v_mul_hi_u32 v45, v16, v17
	v_addc_co_u32_e32 v25, vcc, v25, v46, vcc
	v_addc_co_u32_e32 v43, vcc, 0, v45, vcc
	v_mul_lo_u32 v17, v16, v17
	v_add_co_u32_e32 v17, vcc, v25, v17
	v_addc_co_u32_e32 v25, vcc, 0, v43, vcc
	v_add_co_u32_e32 v3, vcc, v3, v17
	v_addc_co_u32_e32 v16, vcc, v16, v25, vcc
	v_mul_lo_u32 v17, s0, v16
	v_mul_hi_u32 v25, s0, v3
	v_add_u32_e32 v17, v25, v17
	v_mul_lo_u32 v25, s1, v3
	v_add_u32_e32 v17, v17, v25
	v_mul_lo_u32 v43, s0, v3
	v_mul_hi_u32 v44, v16, v43
	v_mul_lo_u32 v45, v16, v43
	v_mul_lo_u32 v47, v3, v17
	v_mul_hi_u32 v43, v3, v43
	v_mul_hi_u32 v46, v3, v17
	v_add_co_u32_e32 v43, vcc, v43, v47
	v_addc_co_u32_e32 v46, vcc, 0, v46, vcc
	v_add_co_u32_e32 v43, vcc, v43, v45
	v_mul_hi_u32 v25, v16, v17
	v_addc_co_u32_e32 v43, vcc, v46, v44, vcc
	v_addc_co_u32_e32 v25, vcc, 0, v25, vcc
	v_mul_lo_u32 v17, v16, v17
	v_add_co_u32_e32 v17, vcc, v43, v17
	v_addc_co_u32_e32 v25, vcc, 0, v25, vcc
	v_add_co_u32_e32 v3, vcc, v3, v17
	v_addc_co_u32_e32 v25, vcc, v16, v25, vcc
	v_add_co_u32_e32 v16, vcc, v18, v39
	v_addc_co_u32_e32 v17, vcc, v19, v39, vcc
	v_xor_b32_e32 v44, v16, v39
	v_xor_b32_e32 v43, v17, v39
	v_mad_u64_u32 v[16:17], s[0:1], v44, v25, 0
	v_mul_hi_u32 v18, v44, v3
	v_add_co_u32_e32 v45, vcc, v18, v16
	v_addc_co_u32_e32 v46, vcc, 0, v17, vcc
	v_mad_u64_u32 v[18:19], s[0:1], v43, v3, 0
	v_add_co_u32_e32 v3, vcc, v45, v18
	v_mad_u64_u32 v[16:17], s[0:1], v43, v25, 0
	v_addc_co_u32_e32 v3, vcc, v46, v19, vcc
	v_addc_co_u32_e32 v17, vcc, 0, v17, vcc
	v_add_co_u32_e32 v3, vcc, v3, v16
	v_addc_co_u32_e32 v18, vcc, 0, v17, vcc
	v_mul_lo_u32 v19, s73, v3
	v_mul_lo_u32 v25, s72, v18
	v_mad_u64_u32 v[16:17], s[0:1], s72, v3, 0
	v_add3_u32 v17, v17, v25, v19
	v_sub_u32_e32 v19, v43, v17
	v_mov_b32_e32 v25, s73
	v_sub_co_u32_e32 v16, vcc, v44, v16
	v_subb_co_u32_e64 v19, s[0:1], v19, v25, vcc
	v_subrev_co_u32_e64 v25, s[0:1], s72, v16
	v_subbrev_co_u32_e64 v19, s[0:1], 0, v19, s[0:1]
	v_cmp_le_u32_e64 s[0:1], s73, v19
	v_cndmask_b32_e64 v44, 0, -1, s[0:1]
	v_cmp_le_u32_e64 s[0:1], s72, v25
	v_cndmask_b32_e64 v25, 0, -1, s[0:1]
	v_cmp_eq_u32_e64 s[0:1], s73, v19
	v_cndmask_b32_e64 v19, v44, v25, s[0:1]
	v_add_co_u32_e64 v25, s[0:1], 2, v3
	v_subb_co_u32_e32 v17, vcc, v43, v17, vcc
	v_addc_co_u32_e64 v44, s[0:1], 0, v18, s[0:1]
	v_cmp_le_u32_e32 vcc, s73, v17
	v_add_co_u32_e64 v45, s[0:1], 1, v3
	v_cndmask_b32_e64 v43, 0, -1, vcc
	v_cmp_le_u32_e32 vcc, s72, v16
	v_addc_co_u32_e64 v46, s[0:1], 0, v18, s[0:1]
	v_cndmask_b32_e64 v16, 0, -1, vcc
	v_cmp_eq_u32_e32 vcc, s73, v17
	v_cmp_ne_u32_e64 s[0:1], 0, v19
	v_cndmask_b32_e32 v16, v43, v16, vcc
	v_cmp_ne_u32_e32 vcc, 0, v16
	v_cndmask_b32_e64 v17, v45, v25, s[0:1]
	v_cndmask_b32_e64 v19, v46, v44, s[0:1]
	v_cndmask_b32_e32 v3, v3, v17, vcc
	v_xor_b32_e32 v17, s70, v39
	v_cndmask_b32_e32 v16, v18, v19, vcc
	v_xor_b32_e32 v3, v3, v17
	v_xor_b32_e32 v18, v16, v17
	v_sub_co_u32_e32 v16, vcc, v3, v17
	v_subb_co_u32_e32 v17, vcc, v18, v17, vcc
                                        ; implicit-def: $vgpr18_vgpr19
.LBB15_49:                              ;   in Loop: Header=BB15_3 Depth=1
	s_andn2_saveexec_b64 s[0:1], s[68:69]
	s_cbranch_execz .LBB15_51
; %bb.50:                               ;   in Loop: Header=BB15_3 Depth=1
	v_rcp_iflag_f32_e32 v3, v24
	s_sub_i32 s68, 0, s60
	v_mul_f32_e32 v3, 0x4f7ffffe, v3
	v_cvt_u32_f32_e32 v3, v3
	v_mul_lo_u32 v16, s68, v3
	v_mul_hi_u32 v16, v3, v16
	v_add_u32_e32 v3, v3, v16
	v_mul_hi_u32 v3, v18, v3
	v_mul_lo_u32 v16, v3, s60
	v_sub_u32_e32 v16, v18, v16
	v_add_u32_e32 v17, 1, v3
	v_subrev_u32_e32 v18, s60, v16
	v_cmp_le_u32_e32 vcc, s60, v16
	v_cndmask_b32_e32 v16, v16, v18, vcc
	v_cndmask_b32_e32 v3, v3, v17, vcc
	v_add_u32_e32 v17, 1, v3
	v_cmp_le_u32_e32 vcc, s60, v16
	v_cndmask_b32_e32 v16, v3, v17, vcc
	v_mov_b32_e32 v17, v2
.LBB15_51:                              ;   in Loop: Header=BB15_3 Depth=1
	s_or_b64 exec, exec, s[0:1]
	v_or_b32_e32 v3, s61, v21
	v_cmp_ne_u64_e32 vcc, 0, v[2:3]
                                        ; implicit-def: $vgpr18_vgpr19
	s_and_saveexec_b64 s[0:1], vcc
	s_xor_b64 s[68:69], exec, s[0:1]
	s_cbranch_execz .LBB15_53
; %bb.52:                               ;   in Loop: Header=BB15_3 Depth=1
	s_ashr_i32 s70, s61, 31
	s_add_u32 s0, s60, s70
	s_mov_b32 s71, s70
	s_addc_u32 s1, s61, s70
	s_xor_b64 s[72:73], s[0:1], s[70:71]
	v_cvt_f32_u32_e32 v3, s72
	v_cvt_f32_u32_e32 v18, s73
	s_sub_u32 s0, 0, s72
	s_subb_u32 s1, 0, s73
	v_mac_f32_e32 v3, 0x4f800000, v18
	v_rcp_f32_e32 v3, v3
	v_mul_f32_e32 v3, 0x5f7ffffc, v3
	v_mul_f32_e32 v18, 0x2f800000, v3
	v_trunc_f32_e32 v18, v18
	v_mac_f32_e32 v3, 0xcf800000, v18
	v_cvt_u32_f32_e32 v18, v18
	v_cvt_u32_f32_e32 v3, v3
	v_mul_lo_u32 v19, s0, v18
	v_mul_hi_u32 v25, s0, v3
	v_mul_lo_u32 v24, s1, v3
	v_add_u32_e32 v19, v25, v19
	v_mul_lo_u32 v39, s0, v3
	v_add_u32_e32 v19, v19, v24
	v_mul_lo_u32 v25, v3, v19
	v_mul_hi_u32 v43, v3, v39
	v_mul_hi_u32 v24, v3, v19
	v_add_co_u32_e32 v25, vcc, v43, v25
	v_addc_co_u32_e32 v24, vcc, 0, v24, vcc
	v_mul_hi_u32 v44, v18, v39
	v_mul_lo_u32 v39, v18, v39
	v_add_co_u32_e32 v25, vcc, v25, v39
	v_mul_hi_u32 v43, v18, v19
	v_addc_co_u32_e32 v24, vcc, v24, v44, vcc
	v_addc_co_u32_e32 v25, vcc, 0, v43, vcc
	v_mul_lo_u32 v19, v18, v19
	v_add_co_u32_e32 v19, vcc, v24, v19
	v_addc_co_u32_e32 v24, vcc, 0, v25, vcc
	v_add_co_u32_e32 v3, vcc, v3, v19
	v_addc_co_u32_e32 v18, vcc, v18, v24, vcc
	v_mul_lo_u32 v19, s0, v18
	v_mul_hi_u32 v24, s0, v3
	v_add_u32_e32 v19, v24, v19
	v_mul_lo_u32 v24, s1, v3
	v_add_u32_e32 v19, v19, v24
	v_mul_lo_u32 v25, s0, v3
	v_mul_hi_u32 v39, v18, v25
	v_mul_lo_u32 v43, v18, v25
	v_mul_lo_u32 v45, v3, v19
	v_mul_hi_u32 v25, v3, v25
	v_mul_hi_u32 v44, v3, v19
	v_add_co_u32_e32 v25, vcc, v25, v45
	v_addc_co_u32_e32 v44, vcc, 0, v44, vcc
	v_add_co_u32_e32 v25, vcc, v25, v43
	v_mul_hi_u32 v24, v18, v19
	v_addc_co_u32_e32 v25, vcc, v44, v39, vcc
	v_addc_co_u32_e32 v24, vcc, 0, v24, vcc
	v_mul_lo_u32 v19, v18, v19
	v_add_co_u32_e32 v19, vcc, v25, v19
	v_addc_co_u32_e32 v24, vcc, 0, v24, vcc
	v_add_co_u32_e32 v3, vcc, v3, v19
	v_addc_co_u32_e32 v24, vcc, v18, v24, vcc
	;; [unrolled: 2-line block ×3, first 2 shown]
	v_xor_b32_e32 v39, v18, v40
	v_xor_b32_e32 v25, v19, v40
	v_mad_u64_u32 v[18:19], s[0:1], v39, v24, 0
	v_mul_hi_u32 v20, v39, v3
	v_add_co_u32_e32 v43, vcc, v20, v18
	v_addc_co_u32_e32 v44, vcc, 0, v19, vcc
	v_mad_u64_u32 v[20:21], s[0:1], v25, v3, 0
	v_add_co_u32_e32 v3, vcc, v43, v20
	v_mad_u64_u32 v[18:19], s[0:1], v25, v24, 0
	v_addc_co_u32_e32 v3, vcc, v44, v21, vcc
	v_addc_co_u32_e32 v19, vcc, 0, v19, vcc
	v_add_co_u32_e32 v3, vcc, v3, v18
	v_addc_co_u32_e32 v20, vcc, 0, v19, vcc
	v_mul_lo_u32 v21, s73, v3
	v_mul_lo_u32 v24, s72, v20
	v_mad_u64_u32 v[18:19], s[0:1], s72, v3, 0
	v_add3_u32 v19, v19, v24, v21
	v_sub_u32_e32 v21, v25, v19
	v_mov_b32_e32 v24, s73
	v_sub_co_u32_e32 v18, vcc, v39, v18
	v_subb_co_u32_e64 v21, s[0:1], v21, v24, vcc
	v_subrev_co_u32_e64 v24, s[0:1], s72, v18
	v_subbrev_co_u32_e64 v21, s[0:1], 0, v21, s[0:1]
	v_cmp_le_u32_e64 s[0:1], s73, v21
	v_cndmask_b32_e64 v39, 0, -1, s[0:1]
	v_cmp_le_u32_e64 s[0:1], s72, v24
	v_cndmask_b32_e64 v24, 0, -1, s[0:1]
	v_cmp_eq_u32_e64 s[0:1], s73, v21
	v_cndmask_b32_e64 v21, v39, v24, s[0:1]
	v_add_co_u32_e64 v24, s[0:1], 2, v3
	v_subb_co_u32_e32 v19, vcc, v25, v19, vcc
	v_addc_co_u32_e64 v39, s[0:1], 0, v20, s[0:1]
	v_cmp_le_u32_e32 vcc, s73, v19
	v_add_co_u32_e64 v43, s[0:1], 1, v3
	v_cndmask_b32_e64 v25, 0, -1, vcc
	v_cmp_le_u32_e32 vcc, s72, v18
	v_addc_co_u32_e64 v44, s[0:1], 0, v20, s[0:1]
	v_cndmask_b32_e64 v18, 0, -1, vcc
	v_cmp_eq_u32_e32 vcc, s73, v19
	v_cmp_ne_u32_e64 s[0:1], 0, v21
	v_cndmask_b32_e32 v18, v25, v18, vcc
	v_cmp_ne_u32_e32 vcc, 0, v18
	v_cndmask_b32_e64 v19, v43, v24, s[0:1]
	v_cndmask_b32_e64 v21, v44, v39, s[0:1]
	v_cndmask_b32_e32 v3, v3, v19, vcc
	v_xor_b32_e32 v19, s70, v40
	v_cndmask_b32_e32 v18, v20, v21, vcc
	v_xor_b32_e32 v3, v3, v19
	v_xor_b32_e32 v20, v18, v19
	v_sub_co_u32_e32 v18, vcc, v3, v19
	v_subb_co_u32_e32 v19, vcc, v20, v19, vcc
                                        ; implicit-def: $vgpr24
                                        ; implicit-def: $vgpr20_vgpr21
.LBB15_53:                              ;   in Loop: Header=BB15_3 Depth=1
	s_andn2_saveexec_b64 s[0:1], s[68:69]
	s_cbranch_execz .LBB15_55
; %bb.54:                               ;   in Loop: Header=BB15_3 Depth=1
	v_rcp_iflag_f32_e32 v3, v24
	s_sub_i32 s68, 0, s60
	v_mul_f32_e32 v3, 0x4f7ffffe, v3
	v_cvt_u32_f32_e32 v3, v3
	v_mul_lo_u32 v18, s68, v3
	v_mul_hi_u32 v18, v3, v18
	v_add_u32_e32 v3, v3, v18
	v_mul_hi_u32 v3, v20, v3
	v_mul_lo_u32 v18, v3, s60
	v_sub_u32_e32 v18, v20, v18
	v_add_u32_e32 v19, 1, v3
	v_subrev_u32_e32 v20, s60, v18
	v_cmp_le_u32_e32 vcc, s60, v18
	v_cndmask_b32_e32 v18, v18, v20, vcc
	v_cndmask_b32_e32 v3, v3, v19, vcc
	v_add_u32_e32 v19, 1, v3
	v_cmp_le_u32_e32 vcc, s60, v18
	v_cndmask_b32_e32 v18, v3, v19, vcc
	v_mov_b32_e32 v19, v2
.LBB15_55:                              ;   in Loop: Header=BB15_3 Depth=1
	s_or_b64 exec, exec, s[0:1]
	v_or_b32_e32 v3, s49, v1
	v_cmp_ne_u64_e32 vcc, 0, v[2:3]
                                        ; implicit-def: $vgpr20_vgpr21
	s_and_saveexec_b64 s[0:1], vcc
	s_xor_b64 s[68:69], exec, s[0:1]
	s_cbranch_execz .LBB15_57
; %bb.56:                               ;   in Loop: Header=BB15_3 Depth=1
	s_ashr_i32 s70, s49, 31
	s_add_u32 s0, s48, s70
	s_mov_b32 s71, s70
	s_addc_u32 s1, s49, s70
	s_xor_b64 s[72:73], s[0:1], s[70:71]
	v_cvt_f32_u32_e32 v3, s72
	v_cvt_f32_u32_e32 v20, s73
	s_sub_u32 s0, 0, s72
	s_subb_u32 s1, 0, s73
	v_mac_f32_e32 v3, 0x4f800000, v20
	v_rcp_f32_e32 v3, v3
	v_mul_f32_e32 v3, 0x5f7ffffc, v3
	v_mul_f32_e32 v20, 0x2f800000, v3
	v_trunc_f32_e32 v20, v20
	v_mac_f32_e32 v3, 0xcf800000, v20
	v_cvt_u32_f32_e32 v20, v20
	v_cvt_u32_f32_e32 v3, v3
	v_mul_lo_u32 v21, s0, v20
	v_mul_hi_u32 v25, s0, v3
	v_mul_lo_u32 v24, s1, v3
	v_add_u32_e32 v21, v25, v21
	v_mul_lo_u32 v39, s0, v3
	v_add_u32_e32 v21, v21, v24
	v_mul_lo_u32 v25, v3, v21
	v_mul_hi_u32 v40, v3, v39
	v_mul_hi_u32 v24, v3, v21
	v_add_co_u32_e32 v25, vcc, v40, v25
	v_addc_co_u32_e32 v24, vcc, 0, v24, vcc
	v_mul_hi_u32 v43, v20, v39
	v_mul_lo_u32 v39, v20, v39
	v_add_co_u32_e32 v25, vcc, v25, v39
	v_mul_hi_u32 v40, v20, v21
	v_addc_co_u32_e32 v24, vcc, v24, v43, vcc
	v_addc_co_u32_e32 v25, vcc, 0, v40, vcc
	v_mul_lo_u32 v21, v20, v21
	v_add_co_u32_e32 v21, vcc, v24, v21
	v_addc_co_u32_e32 v24, vcc, 0, v25, vcc
	v_add_co_u32_e32 v3, vcc, v3, v21
	v_addc_co_u32_e32 v20, vcc, v20, v24, vcc
	v_mul_lo_u32 v21, s0, v20
	v_mul_hi_u32 v24, s0, v3
	v_add_u32_e32 v21, v24, v21
	v_mul_lo_u32 v24, s1, v3
	v_add_u32_e32 v21, v21, v24
	v_mul_lo_u32 v25, s0, v3
	v_mul_hi_u32 v39, v20, v25
	v_mul_lo_u32 v40, v20, v25
	v_mul_lo_u32 v44, v3, v21
	v_mul_hi_u32 v25, v3, v25
	v_mul_hi_u32 v43, v3, v21
	v_add_co_u32_e32 v25, vcc, v25, v44
	v_addc_co_u32_e32 v43, vcc, 0, v43, vcc
	v_add_co_u32_e32 v25, vcc, v25, v40
	v_mul_hi_u32 v24, v20, v21
	v_addc_co_u32_e32 v25, vcc, v43, v39, vcc
	v_addc_co_u32_e32 v24, vcc, 0, v24, vcc
	v_mul_lo_u32 v21, v20, v21
	v_add_co_u32_e32 v21, vcc, v25, v21
	v_addc_co_u32_e32 v24, vcc, 0, v24, vcc
	v_add_co_u32_e32 v3, vcc, v3, v21
	v_addc_co_u32_e32 v24, vcc, v20, v24, vcc
	;; [unrolled: 2-line block ×3, first 2 shown]
	v_xor_b32_e32 v40, v20, v26
	v_xor_b32_e32 v39, v21, v26
	v_mad_u64_u32 v[20:21], s[0:1], v40, v24, 0
	v_mul_hi_u32 v25, v40, v3
	v_add_co_u32_e32 v43, vcc, v25, v20
	v_addc_co_u32_e32 v44, vcc, 0, v21, vcc
	v_mad_u64_u32 v[20:21], s[0:1], v39, v24, 0
	v_mad_u64_u32 v[24:25], s[0:1], v39, v3, 0
	v_add_co_u32_e32 v3, vcc, v43, v24
	v_addc_co_u32_e32 v3, vcc, v44, v25, vcc
	v_addc_co_u32_e32 v21, vcc, 0, v21, vcc
	v_add_co_u32_e32 v3, vcc, v3, v20
	v_addc_co_u32_e32 v24, vcc, 0, v21, vcc
	v_mul_lo_u32 v25, s73, v3
	v_mul_lo_u32 v43, s72, v24
	v_mad_u64_u32 v[20:21], s[0:1], s72, v3, 0
	v_add3_u32 v21, v21, v43, v25
	v_sub_u32_e32 v25, v39, v21
	v_mov_b32_e32 v43, s73
	v_sub_co_u32_e32 v20, vcc, v40, v20
	v_subb_co_u32_e64 v25, s[0:1], v25, v43, vcc
	v_subrev_co_u32_e64 v40, s[0:1], s72, v20
	v_subbrev_co_u32_e64 v25, s[0:1], 0, v25, s[0:1]
	v_cmp_le_u32_e64 s[0:1], s73, v25
	v_cndmask_b32_e64 v43, 0, -1, s[0:1]
	v_cmp_le_u32_e64 s[0:1], s72, v40
	v_cndmask_b32_e64 v40, 0, -1, s[0:1]
	v_cmp_eq_u32_e64 s[0:1], s73, v25
	v_cndmask_b32_e64 v25, v43, v40, s[0:1]
	v_add_co_u32_e64 v40, s[0:1], 2, v3
	v_subb_co_u32_e32 v21, vcc, v39, v21, vcc
	v_addc_co_u32_e64 v43, s[0:1], 0, v24, s[0:1]
	v_cmp_le_u32_e32 vcc, s73, v21
	v_add_co_u32_e64 v44, s[0:1], 1, v3
	v_cndmask_b32_e64 v39, 0, -1, vcc
	v_cmp_le_u32_e32 vcc, s72, v20
	v_addc_co_u32_e64 v45, s[0:1], 0, v24, s[0:1]
	v_cndmask_b32_e64 v20, 0, -1, vcc
	v_cmp_eq_u32_e32 vcc, s73, v21
	v_cmp_ne_u32_e64 s[0:1], 0, v25
	v_cndmask_b32_e32 v20, v39, v20, vcc
	v_cmp_ne_u32_e32 vcc, 0, v20
	v_cndmask_b32_e64 v21, v44, v40, s[0:1]
	v_cndmask_b32_e64 v25, v45, v43, s[0:1]
	v_cndmask_b32_e32 v3, v3, v21, vcc
	v_xor_b32_e32 v21, s70, v26
	v_cndmask_b32_e32 v20, v24, v25, vcc
	v_xor_b32_e32 v3, v3, v21
	v_xor_b32_e32 v24, v20, v21
	v_sub_co_u32_e32 v20, vcc, v3, v21
	v_subb_co_u32_e32 v21, vcc, v24, v21, vcc
.LBB15_57:                              ;   in Loop: Header=BB15_3 Depth=1
	s_andn2_saveexec_b64 s[0:1], s[68:69]
	s_cbranch_execz .LBB15_59
; %bb.58:                               ;   in Loop: Header=BB15_3 Depth=1
	v_cvt_f32_u32_e32 v3, s48
	s_sub_i32 s68, 0, s48
	v_rcp_iflag_f32_e32 v3, v3
	v_mul_f32_e32 v3, 0x4f7ffffe, v3
	v_cvt_u32_f32_e32 v3, v3
	v_mul_lo_u32 v20, s68, v3
	v_mul_hi_u32 v20, v3, v20
	v_add_u32_e32 v3, v3, v20
	v_mul_hi_u32 v3, v0, v3
	v_mul_lo_u32 v20, v3, s48
	v_sub_u32_e32 v20, v0, v20
	v_add_u32_e32 v21, 1, v3
	v_subrev_u32_e32 v24, s48, v20
	v_cmp_le_u32_e32 vcc, s48, v20
	v_cndmask_b32_e32 v20, v20, v24, vcc
	v_cndmask_b32_e32 v3, v3, v21, vcc
	v_add_u32_e32 v21, 1, v3
	v_cmp_le_u32_e32 vcc, s48, v20
	v_cndmask_b32_e32 v20, v3, v21, vcc
	v_mov_b32_e32 v21, v2
.LBB15_59:                              ;   in Loop: Header=BB15_3 Depth=1
	s_or_b64 exec, exec, s[0:1]
	v_mad_u64_u32 v[24:25], s[0:1], s79, v20, v[0:1]
	v_mul_lo_u32 v3, s79, v21
	v_mul_lo_u32 v39, s80, v20
	v_add3_u32 v3, v39, v25, v3
	v_mul_lo_u32 v39, v24, s19
	v_mul_lo_u32 v3, v3, s18
	v_mad_u64_u32 v[24:25], s[0:1], v24, s18, 0
	v_add3_u32 v25, v25, v39, v3
	v_mul_lo_u32 v3, v21, s16
	v_mul_lo_u32 v39, v20, s17
	v_mad_u64_u32 v[20:21], s[0:1], v20, s16, 0
	v_add3_u32 v21, v21, v39, v3
	v_lshlrev_b64 v[20:21], 1, v[20:21]
	v_mov_b32_e32 v3, s47
	v_add_co_u32_e32 v39, vcc, s46, v20
	v_addc_co_u32_e32 v3, vcc, v3, v21, vcc
	v_lshlrev_b64 v[20:21], 1, v[24:25]
	v_add_co_u32_e32 v20, vcc, v39, v20
	v_addc_co_u32_e32 v21, vcc, v3, v21, vcc
	global_load_ushort v39, v[20:21], off
	v_or_b32_e32 v3, s53, v1
	v_cmp_ne_u64_e32 vcc, 0, v[2:3]
                                        ; implicit-def: $vgpr20_vgpr21
	s_and_saveexec_b64 s[0:1], vcc
	s_xor_b64 s[68:69], exec, s[0:1]
	s_cbranch_execz .LBB15_61
; %bb.60:                               ;   in Loop: Header=BB15_3 Depth=1
	s_ashr_i32 s70, s53, 31
	s_add_u32 s0, s52, s70
	s_mov_b32 s71, s70
	s_addc_u32 s1, s53, s70
	s_xor_b64 s[72:73], s[0:1], s[70:71]
	v_cvt_f32_u32_e32 v3, s72
	v_cvt_f32_u32_e32 v20, s73
	s_sub_u32 s0, 0, s72
	s_subb_u32 s1, 0, s73
	v_mac_f32_e32 v3, 0x4f800000, v20
	v_rcp_f32_e32 v3, v3
	v_mul_f32_e32 v3, 0x5f7ffffc, v3
	v_mul_f32_e32 v20, 0x2f800000, v3
	v_trunc_f32_e32 v20, v20
	v_mac_f32_e32 v3, 0xcf800000, v20
	v_cvt_u32_f32_e32 v20, v20
	v_cvt_u32_f32_e32 v3, v3
	v_mul_lo_u32 v21, s0, v20
	v_mul_hi_u32 v25, s0, v3
	v_mul_lo_u32 v24, s1, v3
	v_add_u32_e32 v21, v25, v21
	v_mul_lo_u32 v40, s0, v3
	v_add_u32_e32 v21, v21, v24
	v_mul_lo_u32 v25, v3, v21
	v_mul_hi_u32 v43, v3, v40
	v_mul_hi_u32 v24, v3, v21
	v_add_co_u32_e32 v25, vcc, v43, v25
	v_addc_co_u32_e32 v24, vcc, 0, v24, vcc
	v_mul_hi_u32 v44, v20, v40
	v_mul_lo_u32 v40, v20, v40
	v_add_co_u32_e32 v25, vcc, v25, v40
	v_mul_hi_u32 v43, v20, v21
	v_addc_co_u32_e32 v24, vcc, v24, v44, vcc
	v_addc_co_u32_e32 v25, vcc, 0, v43, vcc
	v_mul_lo_u32 v21, v20, v21
	v_add_co_u32_e32 v21, vcc, v24, v21
	v_addc_co_u32_e32 v24, vcc, 0, v25, vcc
	v_add_co_u32_e32 v3, vcc, v3, v21
	v_addc_co_u32_e32 v20, vcc, v20, v24, vcc
	v_mul_lo_u32 v21, s0, v20
	v_mul_hi_u32 v24, s0, v3
	v_add_u32_e32 v21, v24, v21
	v_mul_lo_u32 v24, s1, v3
	v_add_u32_e32 v21, v21, v24
	v_mul_lo_u32 v25, s0, v3
	v_mul_hi_u32 v40, v20, v25
	v_mul_lo_u32 v43, v20, v25
	v_mul_lo_u32 v45, v3, v21
	v_mul_hi_u32 v25, v3, v25
	v_mul_hi_u32 v44, v3, v21
	v_add_co_u32_e32 v25, vcc, v25, v45
	v_addc_co_u32_e32 v44, vcc, 0, v44, vcc
	v_add_co_u32_e32 v25, vcc, v25, v43
	v_mul_hi_u32 v24, v20, v21
	v_addc_co_u32_e32 v25, vcc, v44, v40, vcc
	v_addc_co_u32_e32 v24, vcc, 0, v24, vcc
	v_mul_lo_u32 v21, v20, v21
	v_add_co_u32_e32 v21, vcc, v25, v21
	v_addc_co_u32_e32 v24, vcc, 0, v24, vcc
	v_add_co_u32_e32 v3, vcc, v3, v21
	v_addc_co_u32_e32 v24, vcc, v20, v24, vcc
	;; [unrolled: 2-line block ×3, first 2 shown]
	v_xor_b32_e32 v43, v20, v26
	v_xor_b32_e32 v40, v21, v26
	v_mad_u64_u32 v[20:21], s[0:1], v43, v24, 0
	v_mul_hi_u32 v25, v43, v3
	v_add_co_u32_e32 v44, vcc, v25, v20
	v_addc_co_u32_e32 v45, vcc, 0, v21, vcc
	v_mad_u64_u32 v[20:21], s[0:1], v40, v24, 0
	v_mad_u64_u32 v[24:25], s[0:1], v40, v3, 0
	v_add_co_u32_e32 v3, vcc, v44, v24
	v_addc_co_u32_e32 v3, vcc, v45, v25, vcc
	v_addc_co_u32_e32 v21, vcc, 0, v21, vcc
	v_add_co_u32_e32 v3, vcc, v3, v20
	v_addc_co_u32_e32 v24, vcc, 0, v21, vcc
	v_mul_lo_u32 v25, s73, v3
	v_mul_lo_u32 v44, s72, v24
	v_mad_u64_u32 v[20:21], s[0:1], s72, v3, 0
	v_add3_u32 v21, v21, v44, v25
	v_sub_u32_e32 v25, v40, v21
	v_mov_b32_e32 v44, s73
	v_sub_co_u32_e32 v20, vcc, v43, v20
	v_subb_co_u32_e64 v25, s[0:1], v25, v44, vcc
	v_subrev_co_u32_e64 v43, s[0:1], s72, v20
	v_subbrev_co_u32_e64 v25, s[0:1], 0, v25, s[0:1]
	v_cmp_le_u32_e64 s[0:1], s73, v25
	v_cndmask_b32_e64 v44, 0, -1, s[0:1]
	v_cmp_le_u32_e64 s[0:1], s72, v43
	v_cndmask_b32_e64 v43, 0, -1, s[0:1]
	v_cmp_eq_u32_e64 s[0:1], s73, v25
	v_cndmask_b32_e64 v25, v44, v43, s[0:1]
	v_add_co_u32_e64 v43, s[0:1], 2, v3
	v_subb_co_u32_e32 v21, vcc, v40, v21, vcc
	v_addc_co_u32_e64 v44, s[0:1], 0, v24, s[0:1]
	v_cmp_le_u32_e32 vcc, s73, v21
	v_add_co_u32_e64 v45, s[0:1], 1, v3
	v_cndmask_b32_e64 v40, 0, -1, vcc
	v_cmp_le_u32_e32 vcc, s72, v20
	v_addc_co_u32_e64 v46, s[0:1], 0, v24, s[0:1]
	v_cndmask_b32_e64 v20, 0, -1, vcc
	v_cmp_eq_u32_e32 vcc, s73, v21
	v_cmp_ne_u32_e64 s[0:1], 0, v25
	v_cndmask_b32_e32 v20, v40, v20, vcc
	v_cmp_ne_u32_e32 vcc, 0, v20
	v_cndmask_b32_e64 v21, v45, v43, s[0:1]
	v_cndmask_b32_e64 v25, v46, v44, s[0:1]
	v_cndmask_b32_e32 v3, v3, v21, vcc
	v_xor_b32_e32 v21, s70, v26
	v_cndmask_b32_e32 v20, v24, v25, vcc
	v_xor_b32_e32 v3, v3, v21
	v_xor_b32_e32 v24, v20, v21
	v_sub_co_u32_e32 v20, vcc, v3, v21
	v_subb_co_u32_e32 v21, vcc, v24, v21, vcc
.LBB15_61:                              ;   in Loop: Header=BB15_3 Depth=1
	s_andn2_saveexec_b64 s[0:1], s[68:69]
	s_cbranch_execz .LBB15_63
; %bb.62:                               ;   in Loop: Header=BB15_3 Depth=1
	v_cvt_f32_u32_e32 v3, s52
	s_sub_i32 s68, 0, s52
	v_rcp_iflag_f32_e32 v3, v3
	v_mul_f32_e32 v3, 0x4f7ffffe, v3
	v_cvt_u32_f32_e32 v3, v3
	v_mul_lo_u32 v20, s68, v3
	v_mul_hi_u32 v20, v3, v20
	v_add_u32_e32 v3, v3, v20
	v_mul_hi_u32 v3, v0, v3
	v_mul_lo_u32 v20, v3, s52
	v_sub_u32_e32 v20, v0, v20
	v_add_u32_e32 v21, 1, v3
	v_subrev_u32_e32 v24, s52, v20
	v_cmp_le_u32_e32 vcc, s52, v20
	v_cndmask_b32_e32 v20, v20, v24, vcc
	v_cndmask_b32_e32 v3, v3, v21, vcc
	v_add_u32_e32 v21, 1, v3
	v_cmp_le_u32_e32 vcc, s52, v20
	v_cndmask_b32_e32 v20, v3, v21, vcc
	v_mov_b32_e32 v21, v2
.LBB15_63:                              ;   in Loop: Header=BB15_3 Depth=1
	s_or_b64 exec, exec, s[0:1]
	v_or_b32_e32 v3, s57, v1
	v_cmp_ne_u64_e32 vcc, 0, v[2:3]
                                        ; implicit-def: $vgpr24_vgpr25
	s_and_saveexec_b64 s[0:1], vcc
	s_xor_b64 s[68:69], exec, s[0:1]
	s_cbranch_execz .LBB15_65
; %bb.64:                               ;   in Loop: Header=BB15_3 Depth=1
	s_ashr_i32 s70, s57, 31
	s_add_u32 s0, s56, s70
	s_mov_b32 s71, s70
	s_addc_u32 s1, s57, s70
	s_xor_b64 s[72:73], s[0:1], s[70:71]
	v_cvt_f32_u32_e32 v3, s72
	v_cvt_f32_u32_e32 v24, s73
	s_sub_u32 s0, 0, s72
	s_subb_u32 s1, 0, s73
	v_mac_f32_e32 v3, 0x4f800000, v24
	v_rcp_f32_e32 v3, v3
	v_mul_f32_e32 v3, 0x5f7ffffc, v3
	v_mul_f32_e32 v24, 0x2f800000, v3
	v_trunc_f32_e32 v24, v24
	v_mac_f32_e32 v3, 0xcf800000, v24
	v_cvt_u32_f32_e32 v24, v24
	v_cvt_u32_f32_e32 v3, v3
	v_mul_lo_u32 v25, s0, v24
	v_mul_hi_u32 v43, s0, v3
	v_mul_lo_u32 v40, s1, v3
	v_add_u32_e32 v25, v43, v25
	v_mul_lo_u32 v44, s0, v3
	v_add_u32_e32 v25, v25, v40
	v_mul_lo_u32 v43, v3, v25
	v_mul_hi_u32 v45, v3, v44
	v_mul_hi_u32 v40, v3, v25
	v_add_co_u32_e32 v43, vcc, v45, v43
	v_addc_co_u32_e32 v40, vcc, 0, v40, vcc
	v_mul_hi_u32 v46, v24, v44
	v_mul_lo_u32 v44, v24, v44
	v_add_co_u32_e32 v43, vcc, v43, v44
	v_mul_hi_u32 v45, v24, v25
	v_addc_co_u32_e32 v40, vcc, v40, v46, vcc
	v_addc_co_u32_e32 v43, vcc, 0, v45, vcc
	v_mul_lo_u32 v25, v24, v25
	v_add_co_u32_e32 v25, vcc, v40, v25
	v_addc_co_u32_e32 v40, vcc, 0, v43, vcc
	v_add_co_u32_e32 v3, vcc, v3, v25
	v_addc_co_u32_e32 v24, vcc, v24, v40, vcc
	v_mul_lo_u32 v25, s0, v24
	v_mul_hi_u32 v40, s0, v3
	v_add_u32_e32 v25, v40, v25
	v_mul_lo_u32 v40, s1, v3
	v_add_u32_e32 v25, v25, v40
	v_mul_lo_u32 v43, s0, v3
	v_mul_hi_u32 v44, v24, v43
	v_mul_lo_u32 v45, v24, v43
	v_mul_lo_u32 v47, v3, v25
	v_mul_hi_u32 v43, v3, v43
	v_mul_hi_u32 v46, v3, v25
	v_add_co_u32_e32 v43, vcc, v43, v47
	v_addc_co_u32_e32 v46, vcc, 0, v46, vcc
	v_add_co_u32_e32 v43, vcc, v43, v45
	v_mul_hi_u32 v40, v24, v25
	v_addc_co_u32_e32 v43, vcc, v46, v44, vcc
	v_addc_co_u32_e32 v40, vcc, 0, v40, vcc
	v_mul_lo_u32 v25, v24, v25
	v_add_co_u32_e32 v25, vcc, v43, v25
	v_addc_co_u32_e32 v40, vcc, 0, v40, vcc
	v_add_co_u32_e32 v3, vcc, v3, v25
	v_addc_co_u32_e32 v40, vcc, v24, v40, vcc
	;; [unrolled: 2-line block ×3, first 2 shown]
	v_xor_b32_e32 v46, v24, v26
	v_xor_b32_e32 v43, v25, v26
	v_mad_u64_u32 v[24:25], s[0:1], v46, v40, 0
	v_mul_hi_u32 v44, v46, v3
	v_add_co_u32_e32 v47, vcc, v44, v24
	v_addc_co_u32_e32 v48, vcc, 0, v25, vcc
	v_mad_u64_u32 v[44:45], s[0:1], v43, v3, 0
	v_add_co_u32_e32 v3, vcc, v47, v44
	v_mad_u64_u32 v[24:25], s[0:1], v43, v40, 0
	v_addc_co_u32_e32 v3, vcc, v48, v45, vcc
	v_addc_co_u32_e32 v25, vcc, 0, v25, vcc
	v_add_co_u32_e32 v3, vcc, v3, v24
	v_addc_co_u32_e32 v40, vcc, 0, v25, vcc
	v_mul_lo_u32 v44, s73, v3
	v_mul_lo_u32 v45, s72, v40
	v_mad_u64_u32 v[24:25], s[0:1], s72, v3, 0
	v_add3_u32 v25, v25, v45, v44
	v_sub_u32_e32 v44, v43, v25
	v_mov_b32_e32 v45, s73
	v_sub_co_u32_e32 v24, vcc, v46, v24
	v_subb_co_u32_e64 v44, s[0:1], v44, v45, vcc
	v_subrev_co_u32_e64 v45, s[0:1], s72, v24
	v_subbrev_co_u32_e64 v44, s[0:1], 0, v44, s[0:1]
	v_cmp_le_u32_e64 s[0:1], s73, v44
	v_cndmask_b32_e64 v46, 0, -1, s[0:1]
	v_cmp_le_u32_e64 s[0:1], s72, v45
	v_cndmask_b32_e64 v45, 0, -1, s[0:1]
	v_cmp_eq_u32_e64 s[0:1], s73, v44
	v_cndmask_b32_e64 v44, v46, v45, s[0:1]
	v_add_co_u32_e64 v45, s[0:1], 2, v3
	v_subb_co_u32_e32 v25, vcc, v43, v25, vcc
	v_addc_co_u32_e64 v46, s[0:1], 0, v40, s[0:1]
	v_cmp_le_u32_e32 vcc, s73, v25
	v_add_co_u32_e64 v47, s[0:1], 1, v3
	v_cndmask_b32_e64 v43, 0, -1, vcc
	v_cmp_le_u32_e32 vcc, s72, v24
	v_addc_co_u32_e64 v48, s[0:1], 0, v40, s[0:1]
	v_cndmask_b32_e64 v24, 0, -1, vcc
	v_cmp_eq_u32_e32 vcc, s73, v25
	v_cmp_ne_u32_e64 s[0:1], 0, v44
	v_cndmask_b32_e32 v24, v43, v24, vcc
	v_cmp_ne_u32_e32 vcc, 0, v24
	v_cndmask_b32_e64 v25, v47, v45, s[0:1]
	v_cndmask_b32_e64 v44, v48, v46, s[0:1]
	v_cndmask_b32_e32 v3, v3, v25, vcc
	v_xor_b32_e32 v25, s70, v26
	v_cndmask_b32_e32 v24, v40, v44, vcc
	v_xor_b32_e32 v3, v3, v25
	v_xor_b32_e32 v26, v24, v25
	v_sub_co_u32_e32 v24, vcc, v3, v25
	v_subb_co_u32_e32 v25, vcc, v26, v25, vcc
.LBB15_65:                              ;   in Loop: Header=BB15_3 Depth=1
	s_andn2_saveexec_b64 s[0:1], s[68:69]
	s_cbranch_execz .LBB15_67
; %bb.66:                               ;   in Loop: Header=BB15_3 Depth=1
	v_cvt_f32_u32_e32 v3, s56
	s_sub_i32 s68, 0, s56
	v_rcp_iflag_f32_e32 v3, v3
	v_mul_f32_e32 v3, 0x4f7ffffe, v3
	v_cvt_u32_f32_e32 v3, v3
	v_mul_lo_u32 v24, s68, v3
	v_mul_hi_u32 v24, v3, v24
	v_add_u32_e32 v3, v3, v24
	v_mul_hi_u32 v3, v0, v3
	v_mul_lo_u32 v24, v3, s56
	v_sub_u32_e32 v24, v0, v24
	v_add_u32_e32 v25, 1, v3
	v_subrev_u32_e32 v26, s56, v24
	v_cmp_le_u32_e32 vcc, s56, v24
	v_cndmask_b32_e32 v24, v24, v26, vcc
	v_cndmask_b32_e32 v3, v3, v25, vcc
	v_add_u32_e32 v25, 1, v3
	v_cmp_le_u32_e32 vcc, s56, v24
	v_cndmask_b32_e32 v24, v3, v25, vcc
	v_mov_b32_e32 v25, v2
.LBB15_67:                              ;   in Loop: Header=BB15_3 Depth=1
	s_or_b64 exec, exec, s[0:1]
	s_andn2_b64 vcc, exec, s[62:63]
	v_mov_b32_e32 v40, 0
	v_mov_b32_e32 v43, 0
	;; [unrolled: 1-line block ×6, first 2 shown]
	s_cbranch_vccnz .LBB15_69
; %bb.68:                               ;   in Loop: Header=BB15_3 Depth=1
	v_mad_u64_u32 v[44:45], s[0:1], s77, v6, v[0:1]
	v_mul_lo_u32 v3, s77, v7
	v_mul_lo_u32 v26, s78, v6
	v_add3_u32 v40, v26, v45, v3
	v_mul_lo_u32 v3, v44, s41
	v_mul_lo_u32 v26, v40, s40
	v_mad_u64_u32 v[46:47], s[0:1], v44, s40, 0
	v_add3_u32 v47, v47, v3, v26
	v_lshlrev_b64 v[46:47], 1, v[46:47]
	v_mov_b32_e32 v3, s39
	v_add_co_u32_e32 v46, vcc, s38, v46
	v_addc_co_u32_e32 v47, vcc, v3, v47, vcc
	v_sub_co_u32_e32 v26, vcc, 1, v6
	v_subb_co_u32_e32 v43, vcc, 0, v7, vcc
	v_mul_lo_u32 v43, s8, v43
	v_mul_lo_u32 v45, s9, v26
	v_mad_u64_u32 v[48:49], s[0:1], s8, v26, v[0:1]
	v_add3_u32 v43, v45, v49, v43
	v_mul_lo_u32 v26, v43, s40
	v_mul_lo_u32 v45, v48, s41
	v_mad_u64_u32 v[50:51], s[0:1], v48, s40, 0
	v_add3_u32 v51, v51, v45, v26
	v_lshlrev_b64 v[50:51], 1, v[50:51]
	v_add_co_u32_e32 v50, vcc, s38, v50
	v_addc_co_u32_e32 v51, vcc, v3, v51, vcc
	v_sub_co_u32_e32 v26, vcc, 2, v6
	v_subb_co_u32_e32 v45, vcc, 0, v7, vcc
	v_mul_lo_u32 v45, s8, v45
	v_mul_lo_u32 v49, s9, v26
	v_mad_u64_u32 v[52:53], s[0:1], s8, v26, v[0:1]
	v_add3_u32 v49, v49, v53, v45
	v_mul_lo_u32 v26, v49, s40
	v_mul_lo_u32 v45, v52, s41
	v_mad_u64_u32 v[54:55], s[0:1], v52, s40, 0
	v_add3_u32 v55, v55, v45, v26
	v_lshlrev_b64 v[54:55], 1, v[54:55]
	;; [unrolled: 13-line block ×3, first 2 shown]
	v_add_co_u32_e32 v56, vcc, s38, v56
	v_addc_co_u32_e32 v57, vcc, v3, v57, vcc
	global_load_ushort v53, v[46:47], off
	s_nop 0
	global_load_ushort v50, v[50:51], off
	s_nop 0
	global_load_ushort v26, v[54:55], off
	global_load_ushort v3, v[56:57], off
	v_mul_lo_u32 v46, v44, s45
	v_mul_lo_u32 v40, v40, s44
	v_mad_u64_u32 v[44:45], s[0:1], v44, s44, 0
	v_add3_u32 v45, v45, v46, v40
	v_lshlrev_b64 v[44:45], 1, v[44:45]
	v_mul_lo_u32 v43, v43, s44
	v_mul_lo_u32 v51, v48, s45
	v_mad_u64_u32 v[46:47], s[0:1], v48, s44, 0
	v_mov_b32_e32 v40, s43
	v_add_co_u32_e32 v44, vcc, s42, v44
	v_add3_u32 v47, v47, v51, v43
	v_addc_co_u32_e32 v45, vcc, v40, v45, vcc
	v_lshlrev_b64 v[46:47], 1, v[46:47]
	v_mul_lo_u32 v43, v49, s44
	v_mul_lo_u32 v51, v52, s45
	v_mad_u64_u32 v[48:49], s[0:1], v52, s44, 0
	v_add_co_u32_e32 v46, vcc, s42, v46
	v_add3_u32 v49, v49, v51, v43
	v_addc_co_u32_e32 v47, vcc, v40, v47, vcc
	v_lshlrev_b64 v[48:49], 1, v[48:49]
	v_mul_lo_u32 v43, v7, s44
	v_mul_lo_u32 v51, v6, s45
	v_mad_u64_u32 v[6:7], s[0:1], v6, s44, 0
	v_add_co_u32_e32 v48, vcc, s42, v48
	v_add3_u32 v7, v7, v51, v43
	v_addc_co_u32_e32 v49, vcc, v40, v49, vcc
	v_lshlrev_b64 v[6:7], 1, v[6:7]
	v_add_co_u32_e32 v6, vcc, s42, v6
	v_addc_co_u32_e32 v7, vcc, v40, v7, vcc
	global_load_ushort v44, v[44:45], off
	s_nop 0
	global_load_ushort v46, v[46:47], off
	s_nop 0
	global_load_ushort v45, v[48:49], off
	global_load_ushort v40, v[6:7], off
	s_waitcnt vmcnt(6)
	v_perm_b32 v43, v53, v50, s85
	s_waitcnt vmcnt(2)
	v_perm_b32 v44, v44, v46, s85
.LBB15_69:                              ;   in Loop: Header=BB15_3 Depth=1
	s_waitcnt vmcnt(6)
	v_lshlrev_b32_e32 v6, 16, v29
	s_waitcnt vmcnt(2)
	v_lshlrev_b32_e32 v7, 16, v41
	v_add_f32_e32 v6, v7, v6
	v_lshlrev_b32_e32 v7, 16, v26
	v_add_f32_e32 v6, v6, v7
	s_waitcnt vmcnt(1)
	v_lshlrev_b32_e32 v7, 16, v45
	v_add_f32_e32 v26, v6, v7
	v_cmp_nlt_f32_e64 s[0:1], |v26|, s86
                                        ; implicit-def: $vgpr29
	s_and_saveexec_b64 s[68:69], s[0:1]
	s_xor_b64 s[0:1], exec, s[68:69]
	s_cbranch_execz .LBB15_71
; %bb.70:                               ;   in Loop: Header=BB15_3 Depth=1
	v_add_f32_e64 v6, |v26|, |v26|
	v_mul_f32_e32 v7, 0x3fb8aa3b, v6
	v_rndne_f32_e32 v29, v7
	v_sub_f32_e32 v41, v7, v29
	v_fma_f32 v7, v6, s87, -v7
	v_fmac_f32_e32 v7, 0x32a5705f, v6
	v_add_f32_e32 v7, v41, v7
	v_cvt_i32_f32_e32 v29, v29
	v_exp_f32_e32 v7, v7
	v_cmp_ngt_f32_e32 vcc, s88, v6
	v_ldexp_f32 v7, v7, v29
	v_cndmask_b32_e32 v7, 0, v7, vcc
	v_cmp_nlt_f32_e32 vcc, s89, v6
	v_cndmask_b32_e32 v6, v34, v7, vcc
	v_add_f32_e32 v6, 1.0, v6
	v_rcp_f32_e32 v6, v6
	v_fma_f32 v29, v6, -2.0, 1.0
.LBB15_71:                              ;   in Loop: Header=BB15_3 Depth=1
	s_andn2_saveexec_b64 s[0:1], s[0:1]
; %bb.72:                               ;   in Loop: Header=BB15_3 Depth=1
	v_mul_f32_e32 v6, v26, v26
	v_mov_b32_e32 v7, 0x3ca908c9
	v_fmac_f32_e32 v7, 0xbbbac73d, v6
	v_fma_f32 v7, v6, v7, v30
	v_fma_f32 v7, v6, v7, v31
	;; [unrolled: 1-line block ×3, first 2 shown]
	v_mul_f32_e64 v7, |v26|, v7
	v_fma_f32 v29, v6, v7, |v26|
; %bb.73:                               ;   in Loop: Header=BB15_3 Depth=1
	s_or_b64 exec, exec, s[0:1]
	v_lshlrev_b32_e32 v7, 16, v27
	v_lshlrev_b32_e32 v6, 16, v28
	;; [unrolled: 1-line block ×4, first 2 shown]
	v_pk_add_f32 v[6:7], v[6:7], v[46:47]
	v_and_b32_e32 v47, 0xffff0000, v43
	v_lshlrev_b32_e32 v46, 16, v43
	v_pk_add_f32 v[6:7], v[6:7], v[46:47]
	v_and_b32_e32 v45, 0xffff0000, v44
	v_lshlrev_b32_e32 v44, 16, v44
	v_pk_add_f32 v[6:7], v[6:7], v[44:45]
	v_mul_f32_e32 v27, 0xbfb8aa3b, v7
	v_fma_f32 v28, v7, s90, -v27
	v_rndne_f32_e32 v37, v27
	v_fmac_f32_e32 v28, 0xb2a5705f, v7
	v_sub_f32_e32 v27, v27, v37
	v_add_f32_e32 v27, v27, v28
	v_exp_f32_e32 v27, v27
	v_cvt_i32_f32_e32 v28, v37
	v_cmp_nlt_f32_e32 vcc, s91, v7
	v_ldexp_f32 v27, v27, v28
	v_mul_f32_e32 v28, 0xbfb8aa3b, v6
	v_fma_f32 v37, v6, s90, -v28
	v_rndne_f32_e32 v38, v28
	v_fmac_f32_e32 v37, 0xb2a5705f, v6
	v_sub_f32_e32 v28, v28, v38
	v_add_f32_e32 v28, v28, v37
	v_exp_f32_e32 v28, v28
	v_cvt_i32_f32_e32 v37, v38
	v_cndmask_b32_e32 v27, 0, v27, vcc
	v_cmp_ngt_f32_e32 vcc, s92, v7
	v_cndmask_b32_e32 v7, v34, v27, vcc
	v_ldexp_f32 v27, v28, v37
	v_cmp_nlt_f32_e32 vcc, s91, v6
	v_cndmask_b32_e32 v27, 0, v27, vcc
	v_cmp_ngt_f32_e32 vcc, s92, v6
	v_cndmask_b32_e32 v6, v34, v27, vcc
	v_pk_add_f32 v[6:7], v[6:7], 1.0 op_sel_hi:[1,0]
	v_div_scale_f32 v27, s[0:1], v7, v7, 1.0
	v_rcp_f32_e32 v28, v27
	v_fma_f32 v37, -v27, v28, 1.0
	v_fmac_f32_e32 v28, v37, v28
	v_div_scale_f32 v37, vcc, 1.0, v7, 1.0
	v_mul_f32_e32 v38, v37, v28
	v_fma_f32 v41, -v27, v38, v37
	v_fmac_f32_e32 v38, v41, v28
	v_fma_f32 v27, -v27, v38, v37
	v_div_scale_f32 v37, s[0:1], v6, v6, 1.0
	v_rcp_f32_e32 v41, v37
	v_div_fmas_f32 v27, v27, v28, v38
	v_div_fixup_f32 v7, v27, v7, 1.0
	v_fma_f32 v27, -v37, v41, 1.0
	v_fmac_f32_e32 v41, v27, v41
	v_div_scale_f32 v27, vcc, 1.0, v6, 1.0
	v_mul_f32_e32 v28, v27, v41
	v_fma_f32 v38, -v37, v28, v27
	v_fmac_f32_e32 v28, v38, v41
	v_fma_f32 v27, -v37, v28, v27
	v_div_fmas_f32 v27, v27, v41, v28
	v_div_fixup_f32 v6, v27, v6, 1.0
	v_bfi_b32 v27, s93, v29, v26
	s_waitcnt vmcnt(0)
	v_lshlrev_b32_e32 v26, 16, v39
	v_pk_mul_f32 v[28:29], v[6:7], v[26:27]
	v_mov_b32_e32 v28, v29
	v_pk_fma_f32 v[28:29], v[6:7], v[26:27], v[28:29]
	v_cmp_nlt_f32_e64 s[0:1], |v28|, s86
                                        ; implicit-def: $vgpr26
	s_and_saveexec_b64 s[68:69], s[0:1]
	s_xor_b64 s[0:1], exec, s[68:69]
	s_cbranch_execz .LBB15_75
; %bb.74:                               ;   in Loop: Header=BB15_3 Depth=1
	v_add_f32_e64 v26, |v28|, |v28|
	v_mul_f32_e32 v29, 0x3fb8aa3b, v26
	v_rndne_f32_e32 v37, v29
	v_sub_f32_e32 v38, v29, v37
	v_fma_f32 v29, v26, s87, -v29
	v_fmac_f32_e32 v29, 0x32a5705f, v26
	v_add_f32_e32 v29, v38, v29
	v_cvt_i32_f32_e32 v37, v37
	v_exp_f32_e32 v29, v29
	v_cmp_ngt_f32_e32 vcc, s88, v26
	v_ldexp_f32 v29, v29, v37
	v_cndmask_b32_e32 v29, 0, v29, vcc
	v_cmp_nlt_f32_e32 vcc, s89, v26
	v_cndmask_b32_e32 v26, v34, v29, vcc
	v_add_f32_e32 v26, 1.0, v26
	v_rcp_f32_e32 v26, v26
	v_fma_f32 v26, v26, -2.0, 1.0
.LBB15_75:                              ;   in Loop: Header=BB15_3 Depth=1
	s_andn2_saveexec_b64 s[0:1], s[0:1]
	s_cbranch_execz .LBB15_2
; %bb.76:                               ;   in Loop: Header=BB15_3 Depth=1
	v_mul_f32_e32 v26, v28, v28
	v_mov_b32_e32 v29, 0x3ca908c9
	v_fmac_f32_e32 v29, 0xbbbac73d, v26
	v_fma_f32 v29, v26, v29, v30
	v_fma_f32 v29, v26, v29, v31
	v_fma_f32 v29, v26, v29, v32
	v_mul_f32_e64 v29, |v28|, v29
	v_fma_f32 v26, v26, v29, |v28|
	s_branch .LBB15_2
.LBB15_77:
	s_endpgm
	.section	.rodata,"a",@progbits
	.p2align	6, 0x0
	.amdhsa_kernel _ZN2at6native12_GLOBAL__N_16kernel17lstm_cell_forwardIN3c108BFloat16EflLi2EEEvNS_4cuda6detail10TensorInfoIT_T1_EESB_SB_SB_SB_SB_SB_SB_SA_SA_
		.amdhsa_group_segment_fixed_size 0
		.amdhsa_private_segment_fixed_size 0
		.amdhsa_kernarg_size 3600
		.amdhsa_user_sgpr_count 6
		.amdhsa_user_sgpr_private_segment_buffer 1
		.amdhsa_user_sgpr_dispatch_ptr 0
		.amdhsa_user_sgpr_queue_ptr 0
		.amdhsa_user_sgpr_kernarg_segment_ptr 1
		.amdhsa_user_sgpr_dispatch_id 0
		.amdhsa_user_sgpr_flat_scratch_init 0
		.amdhsa_user_sgpr_kernarg_preload_length 0
		.amdhsa_user_sgpr_kernarg_preload_offset 0
		.amdhsa_user_sgpr_private_segment_size 0
		.amdhsa_uses_dynamic_stack 0
		.amdhsa_system_sgpr_private_segment_wavefront_offset 0
		.amdhsa_system_sgpr_workgroup_id_x 1
		.amdhsa_system_sgpr_workgroup_id_y 0
		.amdhsa_system_sgpr_workgroup_id_z 0
		.amdhsa_system_sgpr_workgroup_info 0
		.amdhsa_system_vgpr_workitem_id 0
		.amdhsa_next_free_vgpr 58
		.amdhsa_next_free_sgpr 95
		.amdhsa_accum_offset 60
		.amdhsa_reserve_vcc 1
		.amdhsa_reserve_flat_scratch 0
		.amdhsa_float_round_mode_32 0
		.amdhsa_float_round_mode_16_64 0
		.amdhsa_float_denorm_mode_32 3
		.amdhsa_float_denorm_mode_16_64 3
		.amdhsa_dx10_clamp 1
		.amdhsa_ieee_mode 1
		.amdhsa_fp16_overflow 0
		.amdhsa_tg_split 0
		.amdhsa_exception_fp_ieee_invalid_op 0
		.amdhsa_exception_fp_denorm_src 0
		.amdhsa_exception_fp_ieee_div_zero 0
		.amdhsa_exception_fp_ieee_overflow 0
		.amdhsa_exception_fp_ieee_underflow 0
		.amdhsa_exception_fp_ieee_inexact 0
		.amdhsa_exception_int_div_zero 0
	.end_amdhsa_kernel
	.section	.text._ZN2at6native12_GLOBAL__N_16kernel17lstm_cell_forwardIN3c108BFloat16EflLi2EEEvNS_4cuda6detail10TensorInfoIT_T1_EESB_SB_SB_SB_SB_SB_SB_SA_SA_,"axG",@progbits,_ZN2at6native12_GLOBAL__N_16kernel17lstm_cell_forwardIN3c108BFloat16EflLi2EEEvNS_4cuda6detail10TensorInfoIT_T1_EESB_SB_SB_SB_SB_SB_SB_SA_SA_,comdat
.Lfunc_end15:
	.size	_ZN2at6native12_GLOBAL__N_16kernel17lstm_cell_forwardIN3c108BFloat16EflLi2EEEvNS_4cuda6detail10TensorInfoIT_T1_EESB_SB_SB_SB_SB_SB_SB_SA_SA_, .Lfunc_end15-_ZN2at6native12_GLOBAL__N_16kernel17lstm_cell_forwardIN3c108BFloat16EflLi2EEEvNS_4cuda6detail10TensorInfoIT_T1_EESB_SB_SB_SB_SB_SB_SB_SA_SA_
                                        ; -- End function
	.section	.AMDGPU.csdata,"",@progbits
; Kernel info:
; codeLenInByte = 17568
; NumSgprs: 99
; NumVgprs: 58
; NumAgprs: 0
; TotalNumVgprs: 58
; ScratchSize: 0
; MemoryBound: 0
; FloatMode: 240
; IeeeMode: 1
; LDSByteSize: 0 bytes/workgroup (compile time only)
; SGPRBlocks: 12
; VGPRBlocks: 7
; NumSGPRsForWavesPerEU: 99
; NumVGPRsForWavesPerEU: 58
; AccumOffset: 60
; Occupancy: 8
; WaveLimiterHint : 1
; COMPUTE_PGM_RSRC2:SCRATCH_EN: 0
; COMPUTE_PGM_RSRC2:USER_SGPR: 6
; COMPUTE_PGM_RSRC2:TRAP_HANDLER: 0
; COMPUTE_PGM_RSRC2:TGID_X_EN: 1
; COMPUTE_PGM_RSRC2:TGID_Y_EN: 0
; COMPUTE_PGM_RSRC2:TGID_Z_EN: 0
; COMPUTE_PGM_RSRC2:TIDIG_COMP_CNT: 0
; COMPUTE_PGM_RSRC3_GFX90A:ACCUM_OFFSET: 14
; COMPUTE_PGM_RSRC3_GFX90A:TG_SPLIT: 0
	.section	.text._ZN2at6native12_GLOBAL__N_16kernel18lstm_cell_backwardIddiLi1EEEvNS_4cuda6detail10TensorInfoIT_T1_EES9_S9_S9_S9_S9_S9_S8_S8_,"axG",@progbits,_ZN2at6native12_GLOBAL__N_16kernel18lstm_cell_backwardIddiLi1EEEvNS_4cuda6detail10TensorInfoIT_T1_EES9_S9_S9_S9_S9_S9_S8_S8_,comdat
	.globl	_ZN2at6native12_GLOBAL__N_16kernel18lstm_cell_backwardIddiLi1EEEvNS_4cuda6detail10TensorInfoIT_T1_EES9_S9_S9_S9_S9_S9_S8_S8_ ; -- Begin function _ZN2at6native12_GLOBAL__N_16kernel18lstm_cell_backwardIddiLi1EEEvNS_4cuda6detail10TensorInfoIT_T1_EES9_S9_S9_S9_S9_S9_S8_S8_
	.p2align	8
	.type	_ZN2at6native12_GLOBAL__N_16kernel18lstm_cell_backwardIddiLi1EEEvNS_4cuda6detail10TensorInfoIT_T1_EES9_S9_S9_S9_S9_S9_S8_S8_,@function
_ZN2at6native12_GLOBAL__N_16kernel18lstm_cell_backwardIddiLi1EEEvNS_4cuda6detail10TensorInfoIT_T1_EES9_S9_S9_S9_S9_S9_S8_S8_: ; @_ZN2at6native12_GLOBAL__N_16kernel18lstm_cell_backwardIddiLi1EEEvNS_4cuda6detail10TensorInfoIT_T1_EES9_S9_S9_S9_S9_S9_S8_S8_
; %bb.0:
	s_load_dword s7, s[4:5], 0x5fc
	s_load_dwordx2 s[2:3], s[4:5], 0x5e8
	s_add_u32 s0, s4, 0x5f0
	s_addc_u32 s1, s5, 0
	s_waitcnt lgkmcnt(0)
	s_and_b32 s22, s7, 0xffff
	s_mul_i32 s6, s6, s22
	v_add_u32_e32 v0, s6, v0
	v_cmp_gt_i32_e32 vcc, s3, v0
	s_and_saveexec_b64 s[6:7], vcc
	s_cbranch_execz .LBB16_7
; %bb.1:
	s_load_dwordx2 s[6:7], s[4:5], 0x360
	s_load_dword s23, s[4:5], 0x3cc
	s_load_dwordx2 s[8:9], s[4:5], 0x438
	s_load_dwordx2 s[10:11], s[4:5], 0x0
	s_load_dword s33, s[4:5], 0x6c
	s_load_dwordx2 s[12:13], s[4:5], 0xd8
	s_load_dword s38, s[4:5], 0x144
	s_load_dword s26, s[4:5], 0x4a4
	s_waitcnt lgkmcnt(0)
	s_cmp_lg_u64 s[6:7], 0
	s_cselect_b64 s[24:25], -1, 0
	s_cmp_lg_u64 s[8:9], 0
	s_cselect_b64 s[14:15], -1, 0
	s_abs_i32 s39, s2
	v_cvt_f32_u32_e32 v1, s39
	s_load_dwordx2 s[16:17], s[4:5], 0x1b0
	s_load_dword s27, s[4:5], 0x21c
	s_load_dwordx2 s[18:19], s[4:5], 0x288
	s_load_dword s28, s[4:5], 0x2f4
	s_load_dword s40, s[0:1], 0x0
	s_load_dwordx2 s[20:21], s[4:5], 0x510
	s_nop 0
	s_load_dword s0, s[4:5], 0x57c
	s_sub_i32 s1, 0, s39
	v_rcp_iflag_f32_e32 v1, v1
	s_waitcnt lgkmcnt(0)
	v_mul_lo_u32 v4, v0, s28
	s_mul_i32 s40, s40, s22
	s_mul_i32 s43, s40, s27
	v_mul_f32_e32 v1, 0x4f7ffffe, v1
	v_cvt_u32_f32_e32 v1, v1
	s_mul_i32 s44, s40, s28
	v_mul_lo_u32 v8, v0, s23
	s_mul_i32 s46, s40, s23
	v_mul_lo_u32 v2, s1, v1
	v_mul_hi_u32 v2, v1, v2
	v_add_u32_e32 v1, v1, v2
	v_mul_lo_u32 v2, v0, s27
	v_mul_lo_u32 v10, v0, s26
	s_mul_i32 s47, s40, s26
	v_cndmask_b32_e64 v3, 0, 1, s[24:25]
	s_mov_b32 s22, 0x652b82fe
	s_mov_b32 s24, 0xfefa3000
	;; [unrolled: 1-line block ×7, first 2 shown]
	s_mov_b64 s[4:5], 0
	s_ashr_i32 s41, s2, 31
	s_mul_i32 s42, s2, 3
	v_mul_lo_u32 v6, v0, s0
	s_mul_i32 s45, s40, s0
	v_mov_b32_e32 v54, s11
	v_mov_b32_e32 v55, s17
	;; [unrolled: 1-line block ×3, first 2 shown]
	v_cmp_ne_u32_e64 s[0:1], 1, v3
	s_brev_b32 s11, -2
	s_mov_b32 s23, 0x3ff71547
	s_mov_b32 s25, 0xbfe62e42
	;; [unrolled: 1-line block ×7, first 2 shown]
	v_mov_b32_e32 v12, 0xfca7ab0c
	v_mov_b32_e32 v13, 0x3e928af3
	;; [unrolled: 1-line block ×19, first 2 shown]
	s_branch .LBB16_3
.LBB16_2:                               ;   in Loop: Header=BB16_3 Depth=1
	s_waitcnt vmcnt(0)
	v_mul_f64 v[52:53], |v[42:43]|, s[22:23]
	v_rndne_f64_e32 v[58:59], v[52:53]
	v_fma_f64 v[52:53], v[58:59], s[24:25], |v[42:43]|
	v_add_f64 v[60:61], v[52:53], 0
	v_mul_f64 v[62:63], v[58:59], s[26:27]
	v_add_f64 v[64:65], v[60:61], v[62:63]
	v_add_f64 v[52:53], v[52:53], -v[60:61]
	v_add_f64 v[60:61], v[60:61], -v[64:65]
	v_add_f64 v[60:61], v[60:61], v[62:63]
	v_add_f64 v[52:53], v[52:53], 0
	;; [unrolled: 1-line block ×4, first 2 shown]
	v_add_f64 v[62:63], v[64:65], -v[60:61]
	v_add_f64 v[52:53], v[52:53], v[62:63]
	v_mul_f64 v[62:63], v[58:59], s[28:29]
	v_add_f64 v[64:65], v[60:61], v[62:63]
	v_add_f64 v[60:61], v[60:61], -v[64:65]
	v_add_f64 v[60:61], v[60:61], v[62:63]
	v_add_f64 v[52:53], v[52:53], v[60:61]
	;; [unrolled: 1-line block ×3, first 2 shown]
	v_add_f64 v[62:63], v[64:65], -v[60:61]
	v_add_f64 v[62:63], v[52:53], v[62:63]
	v_pk_mov_b32 v[52:53], v[12:13], v[12:13] op_sel:[0,1]
	v_fmac_f64_e32 v[52:53], s[30:31], v[60:61]
	v_pk_mov_b32 v[64:65], v[14:15], v[14:15] op_sel:[0,1]
	v_fmac_f64_e32 v[64:65], v[60:61], v[52:53]
	;; [unrolled: 2-line block ×9, first 2 shown]
	v_mul_f64 v[64:65], v[60:61], v[60:61]
	v_fma_f64 v[66:67], v[60:61], v[60:61], -v[64:65]
	v_add_f64 v[68:69], v[62:63], v[62:63]
	v_fmac_f64_e32 v[66:67], v[60:61], v[68:69]
	v_add_f64 v[68:69], v[64:65], v[66:67]
	v_add_f64 v[64:65], v[68:69], -v[64:65]
	v_add_f64 v[64:65], v[66:67], -v[64:65]
	v_mul_f64 v[66:67], v[68:69], v[52:53]
	v_fma_f64 v[68:69], v[68:69], v[52:53], -v[66:67]
	v_fmac_f64_e32 v[68:69], v[64:65], v[52:53]
	v_add_f64 v[70:71], v[66:67], v[68:69]
	v_add_f64 v[66:67], v[70:71], -v[66:67]
	v_add_f64 v[66:67], v[68:69], -v[66:67]
	v_add_f64 v[68:69], v[60:61], v[70:71]
	v_add_f64 v[60:61], v[68:69], -v[60:61]
	v_add_f64 v[60:61], v[70:71], -v[60:61]
	v_add_f64 v[62:63], v[62:63], v[66:67]
	v_add_f64 v[60:61], v[62:63], v[60:61]
	;; [unrolled: 1-line block ×3, first 2 shown]
	v_add_f64 v[66:67], v[62:63], -v[68:69]
	v_add_f64 v[60:61], v[60:61], -v[66:67]
	v_add_f64 v[66:67], v[62:63], 1.0
	v_add_f64 v[68:69], v[66:67], -1.0
	v_add_f64 v[62:63], v[62:63], -v[68:69]
	v_add_f64 v[60:61], v[60:61], v[62:63]
	v_add_f64 v[62:63], v[66:67], v[60:61]
	v_cvt_i32_f64_e32 v5, v[58:59]
	v_ldexp_f64 v[58:59], v[62:63], v5
	v_rcp_f64_e32 v[68:69], v[58:59]
	v_add_f64 v[62:63], v[62:63], -v[66:67]
	v_add_f64 v[60:61], v[60:61], -v[62:63]
	v_ldexp_f64 v[60:61], v[60:61], v5
	v_fma_f64 v[62:63], -v[58:59], v[68:69], 1.0
	v_fmac_f64_e32 v[68:69], v[62:63], v[68:69]
	v_fma_f64 v[62:63], -v[58:59], v[68:69], 1.0
	v_fmac_f64_e32 v[68:69], v[62:63], v[68:69]
	v_mul_f64 v[62:63], v[58:59], v[68:69]
	v_fma_f64 v[66:67], v[68:69], v[58:59], -v[62:63]
	v_fmac_f64_e32 v[66:67], v[68:69], v[60:61]
	v_add_f64 v[70:71], v[62:63], v[66:67]
	v_add_f64 v[72:73], -v[70:71], 1.0
	v_add_f64 v[62:63], v[70:71], -v[62:63]
	v_add_f64 v[74:75], -v[72:73], 1.0
	v_add_f64 v[70:71], v[74:75], -v[70:71]
	v_add_f64 v[62:63], v[62:63], -v[66:67]
	v_add_f64 v[62:63], v[62:63], v[70:71]
	v_add_f64 v[66:67], v[72:73], v[62:63]
	v_add_f64 v[70:71], v[72:73], -v[66:67]
	v_add_f64 v[62:63], v[62:63], v[70:71]
	v_mul_f64 v[70:71], v[68:69], v[66:67]
	v_mul_f64 v[72:73], v[58:59], v[70:71]
	v_fma_f64 v[74:75], v[70:71], v[58:59], -v[72:73]
	v_fmac_f64_e32 v[74:75], v[70:71], v[60:61]
	v_add_f64 v[76:77], v[72:73], v[74:75]
	v_add_f64 v[78:79], v[66:67], -v[76:77]
	v_add_f64 v[66:67], v[66:67], -v[78:79]
	;; [unrolled: 1-line block ×4, first 2 shown]
	v_add_f64 v[62:63], v[62:63], v[66:67]
	v_add_f64 v[66:67], v[72:73], -v[74:75]
	v_add_f64 v[62:63], v[66:67], v[62:63]
	v_add_f64 v[62:63], v[78:79], v[62:63]
	;; [unrolled: 1-line block ×3, first 2 shown]
	v_mul_f64 v[62:63], v[68:69], v[62:63]
	v_add_f64 v[68:69], v[66:67], -v[68:69]
	v_add_f64 v[68:69], v[70:71], -v[68:69]
	v_add_f64 v[62:63], v[68:69], v[62:63]
	v_add_f64 v[68:69], v[66:67], v[62:63]
	v_add_f64 v[66:67], v[68:69], -v[66:67]
	v_add_f64 v[62:63], v[62:63], -v[66:67]
	;; [unrolled: 1-line block ×4, first 2 shown]
	v_add_f64 v[74:75], v[58:59], v[68:69]
	v_add_f64 v[70:71], v[70:71], -v[68:69]
	v_add_f64 v[58:59], v[74:75], -v[58:59]
	v_add_f64 v[70:71], v[60:61], v[70:71]
	v_add_f64 v[58:59], v[68:69], -v[58:59]
	v_add_f64 v[60:61], v[60:61], v[62:63]
	v_add_f64 v[58:59], v[60:61], v[58:59]
	;; [unrolled: 1-line block ×3, first 2 shown]
	v_add_f64 v[70:71], v[70:71], -v[62:63]
	v_rcp_f64_e32 v[62:63], v[60:61]
	v_add_f64 v[68:69], v[60:61], -v[74:75]
	v_add_f64 v[58:59], v[58:59], -v[68:69]
	v_add_f64 v[72:73], v[66:67], v[70:71]
	v_fma_f64 v[68:69], -v[60:61], v[62:63], 1.0
	v_fmac_f64_e32 v[62:63], v[68:69], v[62:63]
	v_fma_f64 v[68:69], -v[60:61], v[62:63], 1.0
	v_fmac_f64_e32 v[62:63], v[68:69], v[62:63]
	v_mul_lo_u32 v46, v46, s38
	v_add_f64 v[66:67], v[72:73], -v[66:67]
	v_mul_f64 v[68:69], v[72:73], v[62:63]
	v_ashrrev_i32_e32 v47, 31, v46
	v_add_f64 v[66:67], v[70:71], -v[66:67]
	v_mul_f64 v[70:71], v[60:61], v[68:69]
	v_lshlrev_b64 v[46:47], 3, v[46:47]
	v_mul_lo_u32 v52, v7, s38
	v_fma_f64 v[60:61], v[68:69], v[60:61], -v[70:71]
	v_mov_b32_e32 v3, s13
	v_add_co_u32_e32 v46, vcc, s12, v46
	v_ashrrev_i32_e32 v53, 31, v52
	v_fmac_f64_e32 v[60:61], v[68:69], v[58:59]
	v_addc_co_u32_e32 v47, vcc, v3, v47, vcc
	v_lshlrev_b64 v[52:53], 3, v[52:53]
	v_mul_lo_u32 v48, v48, s38
	v_add_f64 v[58:59], v[70:71], v[60:61]
	v_add_co_u32_e32 v52, vcc, s12, v52
	v_ashrrev_i32_e32 v49, 31, v48
	v_add_f64 v[70:71], v[58:59], -v[70:71]
	v_addc_co_u32_e32 v53, vcc, v3, v53, vcc
	v_lshlrev_b64 v[48:49], 3, v[48:49]
	v_mul_lo_u32 v50, v50, s38
	v_add_f64 v[60:61], v[60:61], -v[70:71]
	v_add_f64 v[70:71], v[72:73], -v[58:59]
	v_add_co_u32_e32 v48, vcc, s12, v48
	v_ashrrev_i32_e32 v51, 31, v50
	v_add_f64 v[72:73], v[72:73], -v[70:71]
	v_addc_co_u32_e32 v49, vcc, v3, v49, vcc
	v_lshlrev_b64 v[50:51], 3, v[50:51]
	v_add_f64 v[58:59], v[72:73], -v[58:59]
	v_add_co_u32_e32 v50, vcc, s12, v50
	v_ashrrev_i32_e32 v7, 31, v6
	v_add_f64 v[58:59], v[58:59], -v[60:61]
	v_addc_co_u32_e32 v51, vcc, v3, v51, vcc
	v_lshlrev_b64 v[64:65], 3, v[6:7]
	v_add_f64 v[58:59], v[66:67], v[58:59]
	v_mov_b32_e32 v3, s21
	v_add_co_u32_e32 v64, vcc, s20, v64
	v_add_f64 v[58:59], v[70:71], v[58:59]
	v_addc_co_u32_e32 v65, vcc, v3, v65, vcc
	v_mul_f64 v[58:59], v[62:63], v[58:59]
	v_add_f64 v[58:59], v[68:69], v[58:59]
	v_cmp_ngt_f64_e64 vcc, |v[42:43]|, s[34:35]
	v_cndmask_b32_e32 v3, v57, v59, vcc
	v_cndmask_b32_e32 v5, 0, v58, vcc
	v_and_b32_e32 v7, 0x7fffffff, v43
	v_cmp_lt_f64_e64 vcc, |v[42:43]|, s[36:37]
	v_cndmask_b32_e32 v3, v3, v7, vcc
	v_cndmask_b32_e32 v42, v5, v42, vcc
	v_bfi_b32 v43, s11, v3, v43
	v_mul_f64 v[58:59], v[42:43], v[44:45]
	v_mul_f64 v[44:45], v[30:31], v[44:45]
	v_fma_f64 v[42:43], -v[42:43], v[42:43], 1.0
	v_fmac_f64_e32 v[40:41], v[42:43], v[44:45]
	v_mul_f64 v[42:43], v[34:35], v[40:41]
	v_add_f64 v[44:45], -v[36:37], 1.0
	v_mul_f64 v[42:43], v[44:45], v[42:43]
	v_mul_f64 v[38:39], v[38:39], v[40:41]
	v_mul_f64 v[44:45], v[36:37], v[40:41]
	v_mul_f64 v[36:37], v[36:37], v[42:43]
	v_add_f64 v[42:43], -v[32:33], 1.0
	v_mul_f64 v[38:39], v[42:43], v[38:39]
	v_add_u32_e32 v0, s40, v0
	v_mul_f64 v[40:41], v[32:33], v[40:41]
	v_mul_f64 v[32:33], v[32:33], v[38:39]
	v_add_f64 v[38:39], -v[30:31], 1.0
	v_cmp_le_i32_e32 vcc, s3, v0
	v_fma_f64 v[34:35], -v[34:35], v[34:35], 1.0
	v_mul_f64 v[38:39], v[38:39], v[58:59]
	v_add_u32_e32 v2, s43, v2
	v_add_u32_e32 v4, s44, v4
	;; [unrolled: 1-line block ×4, first 2 shown]
	s_or_b64 s[4:5], vcc, s[4:5]
	v_add_u32_e32 v10, s47, v10
	v_mul_f64 v[34:35], v[34:35], v[44:45]
	v_mul_f64 v[30:31], v[30:31], v[38:39]
	global_store_dwordx2 v[46:47], v[36:37], off
	global_store_dwordx2 v[52:53], v[32:33], off
	;; [unrolled: 1-line block ×5, first 2 shown]
	s_andn2_b64 exec, exec, s[4:5]
	s_cbranch_execz .LBB16_7
.LBB16_3:                               ; =>This Inner Loop Header: Depth=1
	v_sub_u32_e32 v5, 0, v0
	v_max_i32_e32 v5, v0, v5
	v_mul_hi_u32 v7, v5, v1
	v_mul_lo_u32 v9, v7, s39
	v_sub_u32_e32 v5, v5, v9
	v_add_u32_e32 v9, 1, v7
	v_cmp_le_u32_e32 vcc, s39, v5
	v_cndmask_b32_e32 v7, v7, v9, vcc
	v_subrev_u32_e32 v9, s39, v5
	v_cndmask_b32_e32 v5, v5, v9, vcc
	v_ashrrev_i32_e32 v3, 31, v0
	v_add_u32_e32 v9, 1, v7
	v_cmp_le_u32_e32 vcc, s39, v5
	v_xor_b32_e32 v3, s41, v3
	v_cndmask_b32_e32 v5, v7, v9, vcc
	v_xor_b32_e32 v5, v5, v3
	v_sub_u32_e32 v7, v5, v3
	v_mad_u64_u32 v[46:47], s[48:49], s42, v7, v[0:1]
	v_lshl_add_u32 v5, v5, 1, v5
	v_mul_i32_i24_e32 v3, 3, v3
	v_mul_lo_u32 v30, v46, s33
	v_sub_u32_e32 v3, v5, v3
	v_ashrrev_i32_e32 v31, 31, v30
	v_mul_lo_u32 v5, s2, v3
	v_lshlrev_b64 v[30:31], 3, v[30:31]
	v_add3_u32 v7, v5, s2, v0
	v_add_co_u32_e32 v38, vcc, s10, v30
	v_mul_lo_u32 v30, v7, s33
	v_addc_co_u32_e32 v39, vcc, v54, v31, vcc
	v_ashrrev_i32_e32 v31, 31, v30
	v_add_u32_e32 v5, 2, v3
	v_lshlrev_b64 v[30:31], 3, v[30:31]
	v_mad_u64_u32 v[48:49], s[48:49], s2, v5, v[0:1]
	v_add_co_u32_e32 v40, vcc, s10, v30
	v_mul_lo_u32 v30, v48, s33
	v_addc_co_u32_e32 v41, vcc, v54, v31, vcc
	v_ashrrev_i32_e32 v31, 31, v30
	v_add_u32_e32 v3, 3, v3
	v_lshlrev_b64 v[30:31], 3, v[30:31]
	v_mad_u64_u32 v[50:51], s[48:49], s2, v3, v[0:1]
	v_add_co_u32_e32 v42, vcc, s10, v30
	v_mul_lo_u32 v30, v50, s33
	v_addc_co_u32_e32 v43, vcc, v54, v31, vcc
	v_ashrrev_i32_e32 v31, 31, v30
	v_lshlrev_b64 v[30:31], 3, v[30:31]
	v_add_co_u32_e32 v44, vcc, s10, v30
	v_ashrrev_i32_e32 v3, 31, v2
	v_addc_co_u32_e32 v45, vcc, v54, v31, vcc
	global_load_dwordx2 v[36:37], v[38:39], off
	global_load_dwordx2 v[32:33], v[40:41], off
	;; [unrolled: 1-line block ×4, first 2 shown]
	v_lshlrev_b64 v[38:39], 3, v[2:3]
	v_add_co_u32_e32 v38, vcc, s16, v38
	v_ashrrev_i32_e32 v5, 31, v4
	v_addc_co_u32_e32 v39, vcc, v55, v39, vcc
	v_lshlrev_b64 v[40:41], 3, v[4:5]
	v_add_co_u32_e32 v40, vcc, s18, v40
	v_addc_co_u32_e32 v41, vcc, v56, v41, vcc
	global_load_dwordx2 v[38:39], v[38:39], off
	s_and_b64 vcc, exec, s[0:1]
	global_load_dwordx2 v[42:43], v[40:41], off
	v_pk_mov_b32 v[40:41], 0, 0
	v_pk_mov_b32 v[44:45], v[40:41], v[40:41] op_sel:[0,1]
	s_cbranch_vccnz .LBB16_5
; %bb.4:                                ;   in Loop: Header=BB16_3 Depth=1
	v_ashrrev_i32_e32 v9, 31, v8
	v_lshlrev_b64 v[44:45], 3, v[8:9]
	v_mov_b32_e32 v3, s7
	v_add_co_u32_e32 v44, vcc, s6, v44
	v_addc_co_u32_e32 v45, vcc, v3, v45, vcc
	global_load_dwordx2 v[44:45], v[44:45], off
.LBB16_5:                               ;   in Loop: Header=BB16_3 Depth=1
	s_andn2_b64 vcc, exec, s[14:15]
	s_cbranch_vccnz .LBB16_2
; %bb.6:                                ;   in Loop: Header=BB16_3 Depth=1
	v_ashrrev_i32_e32 v11, 31, v10
	v_lshlrev_b64 v[40:41], 3, v[10:11]
	v_mov_b32_e32 v3, s9
	v_add_co_u32_e32 v40, vcc, s8, v40
	v_addc_co_u32_e32 v41, vcc, v3, v41, vcc
	global_load_dwordx2 v[40:41], v[40:41], off
	s_branch .LBB16_2
.LBB16_7:
	s_endpgm
	.section	.rodata,"a",@progbits
	.p2align	6, 0x0
	.amdhsa_kernel _ZN2at6native12_GLOBAL__N_16kernel18lstm_cell_backwardIddiLi1EEEvNS_4cuda6detail10TensorInfoIT_T1_EES9_S9_S9_S9_S9_S9_S8_S8_
		.amdhsa_group_segment_fixed_size 0
		.amdhsa_private_segment_fixed_size 0
		.amdhsa_kernarg_size 1776
		.amdhsa_user_sgpr_count 6
		.amdhsa_user_sgpr_private_segment_buffer 1
		.amdhsa_user_sgpr_dispatch_ptr 0
		.amdhsa_user_sgpr_queue_ptr 0
		.amdhsa_user_sgpr_kernarg_segment_ptr 1
		.amdhsa_user_sgpr_dispatch_id 0
		.amdhsa_user_sgpr_flat_scratch_init 0
		.amdhsa_user_sgpr_kernarg_preload_length 0
		.amdhsa_user_sgpr_kernarg_preload_offset 0
		.amdhsa_user_sgpr_private_segment_size 0
		.amdhsa_uses_dynamic_stack 0
		.amdhsa_system_sgpr_private_segment_wavefront_offset 0
		.amdhsa_system_sgpr_workgroup_id_x 1
		.amdhsa_system_sgpr_workgroup_id_y 0
		.amdhsa_system_sgpr_workgroup_id_z 0
		.amdhsa_system_sgpr_workgroup_info 0
		.amdhsa_system_vgpr_workitem_id 0
		.amdhsa_next_free_vgpr 80
		.amdhsa_next_free_sgpr 50
		.amdhsa_accum_offset 80
		.amdhsa_reserve_vcc 1
		.amdhsa_reserve_flat_scratch 0
		.amdhsa_float_round_mode_32 0
		.amdhsa_float_round_mode_16_64 0
		.amdhsa_float_denorm_mode_32 3
		.amdhsa_float_denorm_mode_16_64 3
		.amdhsa_dx10_clamp 1
		.amdhsa_ieee_mode 1
		.amdhsa_fp16_overflow 0
		.amdhsa_tg_split 0
		.amdhsa_exception_fp_ieee_invalid_op 0
		.amdhsa_exception_fp_denorm_src 0
		.amdhsa_exception_fp_ieee_div_zero 0
		.amdhsa_exception_fp_ieee_overflow 0
		.amdhsa_exception_fp_ieee_underflow 0
		.amdhsa_exception_fp_ieee_inexact 0
		.amdhsa_exception_int_div_zero 0
	.end_amdhsa_kernel
	.section	.text._ZN2at6native12_GLOBAL__N_16kernel18lstm_cell_backwardIddiLi1EEEvNS_4cuda6detail10TensorInfoIT_T1_EES9_S9_S9_S9_S9_S9_S8_S8_,"axG",@progbits,_ZN2at6native12_GLOBAL__N_16kernel18lstm_cell_backwardIddiLi1EEEvNS_4cuda6detail10TensorInfoIT_T1_EES9_S9_S9_S9_S9_S9_S8_S8_,comdat
.Lfunc_end16:
	.size	_ZN2at6native12_GLOBAL__N_16kernel18lstm_cell_backwardIddiLi1EEEvNS_4cuda6detail10TensorInfoIT_T1_EES9_S9_S9_S9_S9_S9_S8_S8_, .Lfunc_end16-_ZN2at6native12_GLOBAL__N_16kernel18lstm_cell_backwardIddiLi1EEEvNS_4cuda6detail10TensorInfoIT_T1_EES9_S9_S9_S9_S9_S9_S8_S8_
                                        ; -- End function
	.section	.AMDGPU.csdata,"",@progbits
; Kernel info:
; codeLenInByte = 2564
; NumSgprs: 54
; NumVgprs: 80
; NumAgprs: 0
; TotalNumVgprs: 80
; ScratchSize: 0
; MemoryBound: 0
; FloatMode: 240
; IeeeMode: 1
; LDSByteSize: 0 bytes/workgroup (compile time only)
; SGPRBlocks: 6
; VGPRBlocks: 9
; NumSGPRsForWavesPerEU: 54
; NumVGPRsForWavesPerEU: 80
; AccumOffset: 80
; Occupancy: 6
; WaveLimiterHint : 1
; COMPUTE_PGM_RSRC2:SCRATCH_EN: 0
; COMPUTE_PGM_RSRC2:USER_SGPR: 6
; COMPUTE_PGM_RSRC2:TRAP_HANDLER: 0
; COMPUTE_PGM_RSRC2:TGID_X_EN: 1
; COMPUTE_PGM_RSRC2:TGID_Y_EN: 0
; COMPUTE_PGM_RSRC2:TGID_Z_EN: 0
; COMPUTE_PGM_RSRC2:TIDIG_COMP_CNT: 0
; COMPUTE_PGM_RSRC3_GFX90A:ACCUM_OFFSET: 19
; COMPUTE_PGM_RSRC3_GFX90A:TG_SPLIT: 0
	.section	.text._ZN2at6native12_GLOBAL__N_16kernel18lstm_cell_backwardIddiLi2EEEvNS_4cuda6detail10TensorInfoIT_T1_EES9_S9_S9_S9_S9_S9_S8_S8_,"axG",@progbits,_ZN2at6native12_GLOBAL__N_16kernel18lstm_cell_backwardIddiLi2EEEvNS_4cuda6detail10TensorInfoIT_T1_EES9_S9_S9_S9_S9_S9_S8_S8_,comdat
	.globl	_ZN2at6native12_GLOBAL__N_16kernel18lstm_cell_backwardIddiLi2EEEvNS_4cuda6detail10TensorInfoIT_T1_EES9_S9_S9_S9_S9_S9_S8_S8_ ; -- Begin function _ZN2at6native12_GLOBAL__N_16kernel18lstm_cell_backwardIddiLi2EEEvNS_4cuda6detail10TensorInfoIT_T1_EES9_S9_S9_S9_S9_S9_S8_S8_
	.p2align	8
	.type	_ZN2at6native12_GLOBAL__N_16kernel18lstm_cell_backwardIddiLi2EEEvNS_4cuda6detail10TensorInfoIT_T1_EES9_S9_S9_S9_S9_S9_S8_S8_,@function
_ZN2at6native12_GLOBAL__N_16kernel18lstm_cell_backwardIddiLi2EEEvNS_4cuda6detail10TensorInfoIT_T1_EES9_S9_S9_S9_S9_S9_S8_S8_: ; @_ZN2at6native12_GLOBAL__N_16kernel18lstm_cell_backwardIddiLi2EEEvNS_4cuda6detail10TensorInfoIT_T1_EES9_S9_S9_S9_S9_S9_S8_S8_
; %bb.0:
	s_load_dword s2, s[4:5], 0x5fc
	s_load_dwordx2 s[0:1], s[4:5], 0x5e8
	s_add_u32 s30, s4, 0x5f0
	s_addc_u32 s31, s5, 0
	s_waitcnt lgkmcnt(0)
	s_and_b32 s38, s2, 0xffff
	s_mul_i32 s6, s6, s38
	v_add_u32_e32 v0, s6, v0
	v_cmp_gt_i32_e32 vcc, s1, v0
	s_and_saveexec_b64 s[2:3], vcc
	s_cbranch_execz .LBB17_7
; %bb.1:
	s_load_dwordx2 s[2:3], s[4:5], 0x0
	s_load_dword s33, s[4:5], 0xc
	s_load_dwordx2 s[6:7], s[4:5], 0x6c
	s_load_dwordx2 s[8:9], s[4:5], 0xd8
	s_load_dword s52, s[4:5], 0xe4
	s_load_dwordx2 s[10:11], s[4:5], 0x144
	;; [unrolled: 3-line block ×3, first 2 shown]
	s_load_dword s40, s[4:5], 0x36c
	s_load_dwordx2 s[16:17], s[4:5], 0x3cc
	s_load_dwordx2 s[18:19], s[4:5], 0x438
	;; [unrolled: 1-line block ×4, first 2 shown]
	s_load_dword s41, s[4:5], 0x294
	s_load_dwordx2 s[24:25], s[4:5], 0x2f4
	s_waitcnt lgkmcnt(0)
	s_cmp_lg_u64 s[14:15], 0
	s_cselect_b64 s[26:27], -1, 0
	s_cmp_lg_u64 s[18:19], 0
	s_cselect_b64 s[28:29], -1, 0
	s_abs_i32 s53, s0
	v_cvt_f32_u32_e32 v1, s53
	s_load_dword s54, s[30:31], 0x0
	s_abs_i32 s55, s33
	v_cvt_f32_u32_e32 v2, s55
	v_rcp_iflag_f32_e32 v1, v1
	s_abs_i32 s57, s52
	s_waitcnt lgkmcnt(0)
	s_mul_i32 s54, s54, s38
	s_sub_i32 s38, 0, s53
	v_mul_f32_e32 v1, 0x4f7ffffe, v1
	v_cvt_u32_f32_e32 v1, v1
	v_rcp_iflag_f32_e32 v2, v2
	s_abs_i32 s59, s39
	s_abs_i32 s61, s41
	v_mul_lo_u32 v3, s38, v1
	v_mul_hi_u32 v3, v1, v3
	v_add_u32_e32 v1, v1, v3
	v_cvt_f32_u32_e32 v3, s57
	v_mul_f32_e32 v2, 0x4f7ffffe, v2
	v_cvt_u32_f32_e32 v2, v2
	s_sub_i32 s38, 0, s55
	v_rcp_iflag_f32_e32 v3, v3
	s_load_dword s42, s[4:5], 0x444
	s_load_dwordx2 s[30:31], s[4:5], 0x4a4
	s_load_dwordx2 s[34:35], s[4:5], 0x510
	s_load_dword s43, s[4:5], 0x51c
	v_mul_lo_u32 v4, s38, v2
	v_mul_hi_u32 v4, v2, v4
	v_add_u32_e32 v52, v2, v4
	v_mul_f32_e32 v2, 0x4f7ffffe, v3
	v_cvt_f32_u32_e32 v3, s59
	v_cvt_u32_f32_e32 v2, v2
	s_sub_i32 s38, 0, s57
	s_waitcnt lgkmcnt(0)
	s_abs_i32 s63, s43
	v_rcp_iflag_f32_e32 v3, v3
	v_mul_lo_u32 v4, s38, v2
	v_mul_hi_u32 v4, v2, v4
	v_add_u32_e32 v53, v2, v4
	v_mul_f32_e32 v2, 0x4f7ffffe, v3
	v_cvt_f32_u32_e32 v3, s61
	v_cvt_u32_f32_e32 v2, v2
	s_sub_i32 s38, 0, s59
	s_abs_i32 s66, s40
	v_rcp_iflag_f32_e32 v3, v3
	v_mul_lo_u32 v4, s38, v2
	v_mul_hi_u32 v4, v2, v4
	v_add_u32_e32 v54, v2, v4
	v_mul_f32_e32 v2, 0x4f7ffffe, v3
	v_cvt_f32_u32_e32 v3, s63
	v_cvt_u32_f32_e32 v2, v2
	s_sub_i32 s38, 0, s61
	s_abs_i32 s67, s42
	v_rcp_iflag_f32_e32 v3, v3
	v_mul_lo_u32 v4, s38, v2
	v_mul_hi_u32 v4, v2, v4
	v_add_u32_e32 v55, v2, v4
	v_mul_f32_e32 v2, 0x4f7ffffe, v3
	v_cvt_u32_f32_e32 v2, v2
	s_sub_i32 s38, 0, s63
	v_cvt_f32_u32_e32 v3, s66
	s_load_dwordx2 s[4:5], s[4:5], 0x57c
	v_mul_lo_u32 v4, s38, v2
	v_mul_hi_u32 v4, v2, v4
	v_add_u32_e32 v56, v2, v4
	v_cvt_f32_u32_e32 v2, s67
	v_rcp_iflag_f32_e32 v3, v3
	s_sub_i32 s38, 0, s66
	s_ashr_i32 s62, s39, 31
	v_rcp_iflag_f32_e32 v2, v2
	v_mul_f32_e32 v3, 0x4f7ffffe, v3
	v_cvt_u32_f32_e32 v3, v3
	s_ashr_i32 s64, s41, 31
	v_mul_f32_e32 v2, 0x4f7ffffe, v2
	v_cvt_u32_f32_e32 v2, v2
	v_mul_lo_u32 v4, s38, v3
	v_mul_hi_u32 v4, v3, v4
	s_sub_i32 s38, 0, s67
	v_add_u32_e32 v57, v3, v4
	v_mul_lo_u32 v3, s38, v2
	s_ashr_i32 s65, s43, 31
	s_ashr_i32 s68, s40, 31
	;; [unrolled: 1-line block ×3, first 2 shown]
	v_mul_hi_u32 v3, v2, v3
	s_sub_i32 s71, 0, s39
	s_sub_i32 s72, 0, s41
	;; [unrolled: 1-line block ×5, first 2 shown]
	s_mov_b32 s38, 0x652b82fe
	s_mov_b32 s40, 0xfefa3000
	;; [unrolled: 1-line block ×7, first 2 shown]
	s_mov_b64 s[36:37], 0
	s_ashr_i32 s56, s0, 31
	s_ashr_i32 s58, s33, 31
	;; [unrolled: 1-line block ×3, first 2 shown]
	v_add_u32_e32 v58, v2, v3
	s_mul_i32 s70, s0, 3
	v_mov_b32_e32 v59, s3
	v_mov_b32_e32 v60, s13
	;; [unrolled: 1-line block ×3, first 2 shown]
	s_brev_b32 s3, -2
	s_mov_b32 s39, 0x3ff71547
	s_mov_b32 s41, 0xbfe62e42
	s_mov_b32 s43, 0xbd53de6a
	s_mov_b32 s45, 0xbac9cc01
	s_mov_b32 s47, 0x3e5ade15
	s_mov_b32 s49, 0x40331000
	s_mov_b32 s51, 0x3e400000
	v_mov_b32_e32 v2, 0xfca7ab0c
	v_mov_b32_e32 v3, 0x3e928af3
	v_mov_b32_e32 v4, 0x623fde64
	v_mov_b32_e32 v5, 0x3ec71dee
	v_mov_b32_e32 v6, 0x7c89e6b0
	v_mov_b32_e32 v7, 0x3efa0199
	v_mov_b32_e32 v8, 0x14761f6e
	v_mov_b32_e32 v9, 0x3f2a01a0
	v_mov_b32_e32 v10, 0x1852b7b0
	v_mov_b32_e32 v11, 0x3f56c16c
	v_mov_b32_e32 v12, 0x11122322
	v_mov_b32_e32 v13, 0x3f811111
	v_mov_b32_e32 v14, 0x555502a1
	v_mov_b32_e32 v15, 0x3fa55555
	v_mov_b32_e32 v16, 0x55555511
	v_mov_b32_e32 v17, 0x3fc55555
	v_mov_b32_e32 v18, 11
	v_mov_b32_e32 v19, 0x3fe00000
	v_mov_b32_e32 v62, 0x3ff00000
	s_branch .LBB17_3
.LBB17_2:                               ;   in Loop: Header=BB17_3 Depth=1
	s_waitcnt vmcnt(0)
	v_mul_f64 v[40:41], |v[30:31]|, s[38:39]
	v_rndne_f64_e32 v[40:41], v[40:41]
	v_fma_f64 v[44:45], v[40:41], s[40:41], |v[30:31]|
	v_add_f64 v[46:47], v[44:45], 0
	v_mul_f64 v[68:69], v[40:41], s[42:43]
	v_add_f64 v[70:71], v[46:47], v[68:69]
	v_add_f64 v[44:45], v[44:45], -v[46:47]
	v_add_f64 v[46:47], v[46:47], -v[70:71]
	v_add_f64 v[46:47], v[46:47], v[68:69]
	v_add_f64 v[44:45], v[44:45], 0
	;; [unrolled: 1-line block ×4, first 2 shown]
	v_add_f64 v[68:69], v[70:71], -v[46:47]
	v_add_f64 v[44:45], v[44:45], v[68:69]
	v_mul_f64 v[68:69], v[40:41], s[44:45]
	v_add_f64 v[70:71], v[46:47], v[68:69]
	v_add_f64 v[46:47], v[46:47], -v[70:71]
	v_add_f64 v[46:47], v[46:47], v[68:69]
	v_add_f64 v[46:47], v[44:45], v[46:47]
	;; [unrolled: 1-line block ×3, first 2 shown]
	v_add_f64 v[68:69], v[70:71], -v[44:45]
	v_add_f64 v[46:47], v[46:47], v[68:69]
	v_pk_mov_b32 v[68:69], v[2:3], v[2:3] op_sel:[0,1]
	v_fmac_f64_e32 v[68:69], s[46:47], v[44:45]
	v_pk_mov_b32 v[70:71], v[4:5], v[4:5] op_sel:[0,1]
	v_fmac_f64_e32 v[70:71], v[44:45], v[68:69]
	;; [unrolled: 2-line block ×9, first 2 shown]
	v_mul_f64 v[70:71], v[44:45], v[44:45]
	v_fma_f64 v[72:73], v[44:45], v[44:45], -v[70:71]
	v_add_f64 v[74:75], v[46:47], v[46:47]
	v_fmac_f64_e32 v[72:73], v[44:45], v[74:75]
	v_add_f64 v[74:75], v[70:71], v[72:73]
	v_add_f64 v[70:71], v[74:75], -v[70:71]
	v_add_f64 v[70:71], v[72:73], -v[70:71]
	v_mul_f64 v[72:73], v[74:75], v[68:69]
	v_fma_f64 v[74:75], v[74:75], v[68:69], -v[72:73]
	v_mul_hi_u32 v67, v39, v53
	v_fmac_f64_e32 v[74:75], v[70:71], v[68:69]
	v_mul_lo_u32 v68, v67, s57
	v_sub_u32_e32 v39, v39, v68
	v_add_u32_e32 v68, 1, v67
	v_cmp_le_u32_e32 vcc, s57, v39
	v_cndmask_b32_e32 v67, v67, v68, vcc
	v_subrev_u32_e32 v68, s57, v39
	v_cndmask_b32_e32 v39, v39, v68, vcc
	v_add_u32_e32 v68, 1, v67
	v_cmp_le_u32_e32 vcc, s57, v39
	v_cndmask_b32_e32 v39, v67, v68, vcc
	v_xor_b32_e32 v37, s60, v37
	v_xor_b32_e32 v39, v39, v37
	v_sub_u32_e32 v37, v39, v37
	v_mul_lo_u32 v39, v37, s52
	v_sub_u32_e32 v36, v36, v39
	v_add_u32_e32 v36, v0, v36
	v_mul_lo_u32 v36, v36, s11
	v_mad_u64_u32 v[36:37], s[76:77], v37, s10, v[36:37]
	v_ashrrev_i32_e32 v37, 31, v36
	v_lshlrev_b64 v[36:37], 3, v[36:37]
	v_mul_hi_u32 v39, v49, v53
	v_mov_b32_e32 v67, s9
	v_add_co_u32_e32 v36, vcc, s8, v36
	v_mul_lo_u32 v68, v39, s57
	v_addc_co_u32_e32 v37, vcc, v67, v37, vcc
	v_sub_u32_e32 v49, v49, v68
	v_add_u32_e32 v68, 1, v39
	v_cmp_le_u32_e32 vcc, s57, v49
	v_cndmask_b32_e32 v39, v39, v68, vcc
	v_subrev_u32_e32 v68, s57, v49
	v_cndmask_b32_e32 v49, v49, v68, vcc
	v_add_u32_e32 v68, 1, v39
	v_cmp_le_u32_e32 vcc, s57, v49
	v_cndmask_b32_e32 v39, v39, v68, vcc
	v_xor_b32_e32 v42, s60, v42
	v_xor_b32_e32 v39, v39, v42
	v_sub_u32_e32 v39, v39, v42
	v_mul_lo_u32 v42, v39, s52
	v_sub_u32_e32 v38, v38, v42
	v_add_u32_e32 v38, v0, v38
	v_mul_lo_u32 v38, v38, s11
	v_mad_u64_u32 v[38:39], s[76:77], v39, s10, v[38:39]
	v_ashrrev_i32_e32 v39, 31, v38
	v_lshlrev_b64 v[38:39], 3, v[38:39]
	v_mul_hi_u32 v42, v65, v53
	v_add_co_u32_e32 v38, vcc, s8, v38
	v_mul_lo_u32 v49, v42, s57
	v_addc_co_u32_e32 v39, vcc, v67, v39, vcc
	v_sub_u32_e32 v49, v65, v49
	v_add_u32_e32 v65, 1, v42
	v_cmp_le_u32_e32 vcc, s57, v49
	v_cndmask_b32_e32 v42, v42, v65, vcc
	v_subrev_u32_e32 v65, s57, v49
	v_cndmask_b32_e32 v49, v49, v65, vcc
	v_add_u32_e32 v65, 1, v42
	v_cmp_le_u32_e32 vcc, s57, v49
	v_cndmask_b32_e32 v42, v42, v65, vcc
	v_xor_b32_e32 v48, s60, v48
	v_xor_b32_e32 v42, v42, v48
	v_sub_u32_e32 v48, v42, v48
	v_mul_lo_u32 v42, v48, s52
	v_sub_u32_e32 v42, v43, v42
	v_add_u32_e32 v42, v0, v42
	v_mul_lo_u32 v42, v42, s11
	v_mad_u64_u32 v[42:43], s[76:77], v48, s10, v[42:43]
	v_ashrrev_i32_e32 v43, 31, v42
	v_lshlrev_b64 v[42:43], 3, v[42:43]
	v_mul_hi_u32 v48, v66, v53
	;; [unrolled: 23-line block ×3, first 2 shown]
	v_add_co_u32_e32 v48, vcc, s8, v48
	v_mul_lo_u32 v64, v63, s63
	v_addc_co_u32_e32 v49, vcc, v67, v49, vcc
	v_sub_u32_e32 v51, v51, v64
	v_add_u32_e32 v64, 1, v63
	v_cmp_le_u32_e32 vcc, s63, v51
	v_cndmask_b32_e32 v63, v63, v64, vcc
	v_subrev_u32_e32 v64, s63, v51
	v_cndmask_b32_e32 v51, v51, v64, vcc
	v_add_u32_e32 v64, 1, v63
	v_cmp_le_u32_e32 vcc, s63, v51
	v_cndmask_b32_e32 v51, v63, v64, vcc
	v_add_f64 v[64:65], v[72:73], v[74:75]
	v_add_f64 v[66:67], v[64:65], -v[72:73]
	v_add_f64 v[68:69], v[44:45], v[64:65]
	v_xor_b32_e32 v50, s65, v50
	v_add_f64 v[66:67], v[74:75], -v[66:67]
	v_add_f64 v[44:45], v[68:69], -v[44:45]
	v_xor_b32_e32 v51, v51, v50
	v_add_f64 v[44:45], v[64:65], -v[44:45]
	v_add_f64 v[46:47], v[46:47], v[66:67]
	v_sub_u32_e32 v63, v51, v50
	v_add_f64 v[44:45], v[46:47], v[44:45]
	v_mad_u64_u32 v[50:51], s[76:77], s73, v63, v[0:1]
	v_add_f64 v[46:47], v[68:69], v[44:45]
	s_waitcnt lgkmcnt(0)
	v_mul_lo_u32 v50, v50, s5
	v_add_f64 v[64:65], v[46:47], -v[68:69]
	v_mad_u64_u32 v[50:51], s[76:77], v63, s4, v[50:51]
	v_add_f64 v[44:45], v[44:45], -v[64:65]
	v_add_f64 v[64:65], v[46:47], 1.0
	v_ashrrev_i32_e32 v51, 31, v50
	v_add_f64 v[66:67], v[64:65], -1.0
	v_lshlrev_b64 v[50:51], 3, v[50:51]
	v_add_f64 v[46:47], v[46:47], -v[66:67]
	v_mov_b32_e32 v63, s35
	v_add_co_u32_e32 v50, vcc, s34, v50
	v_add_f64 v[44:45], v[44:45], v[46:47]
	v_addc_co_u32_e32 v51, vcc, v63, v51, vcc
	v_add_f64 v[46:47], v[64:65], v[44:45]
	v_cvt_i32_f64_e32 v63, v[40:41]
	v_ldexp_f64 v[40:41], v[46:47], v63
	v_rcp_f64_e32 v[66:67], v[40:41]
	v_add_f64 v[46:47], v[46:47], -v[64:65]
	v_add_f64 v[44:45], v[44:45], -v[46:47]
	v_ldexp_f64 v[44:45], v[44:45], v63
	v_fma_f64 v[46:47], -v[40:41], v[66:67], 1.0
	v_fmac_f64_e32 v[66:67], v[46:47], v[66:67]
	v_fma_f64 v[46:47], -v[40:41], v[66:67], 1.0
	v_fmac_f64_e32 v[66:67], v[46:47], v[66:67]
	v_mul_f64 v[46:47], v[40:41], v[66:67]
	v_fma_f64 v[64:65], v[66:67], v[40:41], -v[46:47]
	v_fmac_f64_e32 v[64:65], v[66:67], v[44:45]
	v_add_f64 v[68:69], v[46:47], v[64:65]
	v_add_f64 v[70:71], -v[68:69], 1.0
	v_add_f64 v[46:47], v[68:69], -v[46:47]
	v_add_f64 v[72:73], -v[70:71], 1.0
	v_add_f64 v[68:69], v[72:73], -v[68:69]
	v_add_f64 v[46:47], v[46:47], -v[64:65]
	v_add_f64 v[46:47], v[46:47], v[68:69]
	v_add_f64 v[64:65], v[70:71], v[46:47]
	v_add_f64 v[68:69], v[70:71], -v[64:65]
	v_add_f64 v[46:47], v[46:47], v[68:69]
	v_mul_f64 v[68:69], v[66:67], v[64:65]
	v_mul_f64 v[70:71], v[40:41], v[68:69]
	v_fma_f64 v[72:73], v[68:69], v[40:41], -v[70:71]
	v_fmac_f64_e32 v[72:73], v[68:69], v[44:45]
	v_add_f64 v[74:75], v[70:71], v[72:73]
	v_add_f64 v[76:77], v[64:65], -v[74:75]
	v_add_f64 v[64:65], v[64:65], -v[76:77]
	;; [unrolled: 1-line block ×4, first 2 shown]
	v_add_f64 v[46:47], v[46:47], v[64:65]
	v_add_f64 v[64:65], v[70:71], -v[72:73]
	v_add_f64 v[46:47], v[64:65], v[46:47]
	v_add_f64 v[46:47], v[76:77], v[46:47]
	;; [unrolled: 1-line block ×3, first 2 shown]
	v_mul_f64 v[46:47], v[66:67], v[46:47]
	v_add_f64 v[66:67], v[64:65], -v[66:67]
	v_add_f64 v[66:67], v[68:69], -v[66:67]
	v_add_f64 v[46:47], v[66:67], v[46:47]
	v_add_f64 v[66:67], v[64:65], v[46:47]
	v_add_f64 v[64:65], v[66:67], -v[64:65]
	v_add_f64 v[46:47], v[46:47], -v[64:65]
	;; [unrolled: 1-line block ×4, first 2 shown]
	v_add_f64 v[70:71], v[40:41], v[66:67]
	v_add_f64 v[68:69], v[68:69], -v[66:67]
	v_add_f64 v[40:41], v[70:71], -v[40:41]
	;; [unrolled: 1-line block ×3, first 2 shown]
	v_add_f64 v[66:67], v[44:45], v[68:69]
	v_add_f64 v[44:45], v[44:45], v[46:47]
	;; [unrolled: 1-line block ×4, first 2 shown]
	v_add_f64 v[66:67], v[66:67], -v[46:47]
	v_rcp_f64_e32 v[68:69], v[44:45]
	v_add_f64 v[46:47], v[64:65], v[66:67]
	v_add_f64 v[64:65], v[46:47], -v[64:65]
	v_add_f64 v[64:65], v[66:67], -v[64:65]
	;; [unrolled: 1-line block ×4, first 2 shown]
	v_fma_f64 v[66:67], -v[44:45], v[68:69], 1.0
	v_fmac_f64_e32 v[68:69], v[66:67], v[68:69]
	v_fma_f64 v[66:67], -v[44:45], v[68:69], 1.0
	v_fmac_f64_e32 v[68:69], v[66:67], v[68:69]
	v_mul_f64 v[66:67], v[46:47], v[68:69]
	v_mul_f64 v[70:71], v[44:45], v[66:67]
	v_fma_f64 v[44:45], v[66:67], v[44:45], -v[70:71]
	v_fmac_f64_e32 v[44:45], v[66:67], v[40:41]
	v_add_f64 v[40:41], v[70:71], v[44:45]
	v_add_f64 v[70:71], v[40:41], -v[70:71]
	v_add_f64 v[44:45], v[44:45], -v[70:71]
	;; [unrolled: 1-line block ×6, first 2 shown]
	v_add_f64 v[40:41], v[64:65], v[40:41]
	v_add_f64 v[40:41], v[70:71], v[40:41]
	v_mul_f64 v[40:41], v[68:69], v[40:41]
	v_add_f64 v[40:41], v[66:67], v[40:41]
	v_cmp_ngt_f64_e64 vcc, |v[30:31]|, s[48:49]
	v_and_b32_e32 v44, 0x7fffffff, v31
	v_cndmask_b32_e32 v41, v62, v41, vcc
	v_cndmask_b32_e32 v40, 0, v40, vcc
	v_cmp_lt_f64_e64 vcc, |v[30:31]|, s[50:51]
	v_cndmask_b32_e32 v30, v40, v30, vcc
	v_cndmask_b32_e32 v40, v41, v44, vcc
	v_bfi_b32 v31, s3, v40, v31
	v_mul_f64 v[40:41], v[30:31], v[34:35]
	v_mul_f64 v[34:35], v[20:21], v[34:35]
	v_fma_f64 v[30:31], -v[30:31], v[30:31], 1.0
	v_fmac_f64_e32 v[32:33], v[30:31], v[34:35]
	v_mul_f64 v[30:31], v[24:25], v[32:33]
	v_add_f64 v[44:45], -v[26:27], 1.0
	v_mul_f64 v[30:31], v[44:45], v[30:31]
	v_mul_f64 v[28:29], v[28:29], v[32:33]
	;; [unrolled: 1-line block ×4, first 2 shown]
	v_add_f64 v[30:31], -v[22:23], 1.0
	v_mul_f64 v[28:29], v[30:31], v[28:29]
	v_add_u32_e32 v0, s54, v0
	v_mul_f64 v[32:33], v[22:23], v[32:33]
	v_mul_f64 v[22:23], v[22:23], v[28:29]
	v_add_f64 v[28:29], -v[20:21], 1.0
	v_cmp_le_i32_e32 vcc, s1, v0
	v_fma_f64 v[24:25], -v[24:25], v[24:25], 1.0
	v_mul_f64 v[28:29], v[28:29], v[40:41]
	s_or_b64 s[36:37], vcc, s[36:37]
	v_mul_f64 v[24:25], v[24:25], v[34:35]
	v_mul_f64 v[20:21], v[20:21], v[28:29]
	global_store_dwordx2 v[36:37], v[26:27], off
	global_store_dwordx2 v[38:39], v[22:23], off
	;; [unrolled: 1-line block ×5, first 2 shown]
	s_andn2_b64 exec, exec, s[36:37]
	s_cbranch_execz .LBB17_7
.LBB17_3:                               ; =>This Inner Loop Header: Depth=1
	v_sub_u32_e32 v20, 0, v0
	v_max_i32_e32 v51, v0, v20
	v_mul_hi_u32 v20, v51, v1
	v_mul_lo_u32 v21, v20, s53
	v_sub_u32_e32 v21, v51, v21
	v_add_u32_e32 v23, 1, v20
	v_cmp_le_u32_e32 vcc, s53, v21
	v_cndmask_b32_e32 v20, v20, v23, vcc
	v_subrev_u32_e32 v23, s53, v21
	v_cndmask_b32_e32 v21, v21, v23, vcc
	v_ashrrev_i32_e32 v50, 31, v0
	v_add_u32_e32 v23, 1, v20
	v_cmp_le_u32_e32 vcc, s53, v21
	v_xor_b32_e32 v22, s56, v50
	v_cndmask_b32_e32 v20, v20, v23, vcc
	v_xor_b32_e32 v23, v20, v22
	v_sub_u32_e32 v20, v23, v22
	v_mul_lo_u32 v36, s70, v20
	v_add_u32_e32 v20, v0, v36
	v_ashrrev_i32_e32 v37, 31, v20
	v_add3_u32 v21, v37, v36, v0
	v_xor_b32_e32 v39, v21, v37
	v_mul_hi_u32 v21, v39, v52
	v_mul_lo_u32 v24, v21, s55
	v_sub_u32_e32 v24, v39, v24
	v_add_u32_e32 v25, 1, v21
	v_cmp_le_u32_e32 vcc, s55, v24
	v_cndmask_b32_e32 v21, v21, v25, vcc
	v_subrev_u32_e32 v25, s55, v24
	v_cndmask_b32_e32 v24, v24, v25, vcc
	v_add_u32_e32 v25, 1, v21
	v_cmp_le_u32_e32 vcc, s55, v24
	v_xor_b32_e32 v20, s58, v37
	v_cndmask_b32_e32 v21, v21, v25, vcc
	v_xor_b32_e32 v21, v21, v20
	v_lshl_add_u32 v23, v23, 1, v23
	v_mul_i32_i24_e32 v22, 3, v22
	v_sub_u32_e32 v21, v21, v20
	v_sub_u32_e32 v26, v23, v22
	v_mul_lo_u32 v20, v21, s33
	v_mul_lo_u32 v22, s0, v26
	v_sub_u32_e32 v20, v36, v20
	v_add_u32_e32 v38, s0, v22
	v_add_u32_e32 v20, v0, v20
	;; [unrolled: 1-line block ×3, first 2 shown]
	v_mul_lo_u32 v20, v20, s7
	v_ashrrev_i32_e32 v42, 31, v22
	v_mad_u64_u32 v[20:21], s[76:77], v21, s6, v[20:21]
	v_add3_u32 v23, v42, v38, v0
	v_ashrrev_i32_e32 v21, 31, v20
	v_xor_b32_e32 v49, v23, v42
	v_lshlrev_b64 v[20:21], 3, v[20:21]
	v_mul_hi_u32 v23, v49, v52
	v_add_co_u32_e32 v20, vcc, s2, v20
	v_mul_lo_u32 v24, v23, s55
	v_addc_co_u32_e32 v21, vcc, v59, v21, vcc
	v_sub_u32_e32 v24, v49, v24
	v_add_u32_e32 v25, 1, v23
	v_cmp_le_u32_e32 vcc, s55, v24
	v_cndmask_b32_e32 v23, v23, v25, vcc
	v_subrev_u32_e32 v25, s55, v24
	v_cndmask_b32_e32 v24, v24, v25, vcc
	v_add_u32_e32 v25, 1, v23
	v_cmp_le_u32_e32 vcc, s55, v24
	v_xor_b32_e32 v22, s58, v42
	v_cndmask_b32_e32 v23, v23, v25, vcc
	v_xor_b32_e32 v23, v23, v22
	v_sub_u32_e32 v23, v23, v22
	v_mul_lo_u32 v22, v23, s33
	v_add_u32_e32 v24, 2, v26
	v_sub_u32_e32 v22, v38, v22
	v_mul_lo_u32 v43, s0, v24
	v_add_u32_e32 v22, v0, v22
	v_add_u32_e32 v24, v0, v43
	v_mul_lo_u32 v22, v22, s7
	v_ashrrev_i32_e32 v48, 31, v24
	v_mad_u64_u32 v[22:23], s[76:77], v23, s6, v[22:23]
	v_add3_u32 v25, v48, v43, v0
	v_ashrrev_i32_e32 v23, 31, v22
	v_xor_b32_e32 v65, v25, v48
	v_lshlrev_b64 v[22:23], 3, v[22:23]
	v_mul_hi_u32 v25, v65, v52
	v_add_co_u32_e32 v22, vcc, s2, v22
	v_mul_lo_u32 v27, v25, s55
	v_addc_co_u32_e32 v23, vcc, v59, v23, vcc
	v_sub_u32_e32 v27, v65, v27
	v_add_u32_e32 v28, 1, v25
	v_cmp_le_u32_e32 vcc, s55, v27
	v_cndmask_b32_e32 v25, v25, v28, vcc
	v_subrev_u32_e32 v28, s55, v27
	v_cndmask_b32_e32 v27, v27, v28, vcc
	v_add_u32_e32 v28, 1, v25
	v_cmp_le_u32_e32 vcc, s55, v27
	v_xor_b32_e32 v24, s58, v48
	v_cndmask_b32_e32 v25, v25, v28, vcc
	v_xor_b32_e32 v25, v25, v24
	v_sub_u32_e32 v25, v25, v24
	v_mul_lo_u32 v24, v25, s33
	v_add_u32_e32 v26, 3, v26
	v_sub_u32_e32 v24, v43, v24
	v_mul_lo_u32 v63, s0, v26
	v_add_u32_e32 v24, v0, v24
	v_add_u32_e32 v26, v0, v63
	v_mul_lo_u32 v24, v24, s7
	v_ashrrev_i32_e32 v64, 31, v26
	v_mad_u64_u32 v[24:25], s[76:77], v25, s6, v[24:25]
	v_add3_u32 v27, v64, v63, v0
	v_ashrrev_i32_e32 v25, 31, v24
	v_xor_b32_e32 v66, v27, v64
	v_lshlrev_b64 v[24:25], 3, v[24:25]
	v_mul_hi_u32 v27, v66, v52
	v_add_co_u32_e32 v24, vcc, s2, v24
	v_mul_lo_u32 v28, v27, s55
	v_addc_co_u32_e32 v25, vcc, v59, v25, vcc
	v_sub_u32_e32 v28, v66, v28
	v_add_u32_e32 v29, 1, v27
	v_cmp_le_u32_e32 vcc, s55, v28
	v_cndmask_b32_e32 v27, v27, v29, vcc
	v_subrev_u32_e32 v29, s55, v28
	v_cndmask_b32_e32 v28, v28, v29, vcc
	v_add_u32_e32 v29, 1, v27
	v_cmp_le_u32_e32 vcc, s55, v28
	v_xor_b32_e32 v26, s58, v64
	v_cndmask_b32_e32 v27, v27, v29, vcc
	v_xor_b32_e32 v27, v27, v26
	v_sub_u32_e32 v27, v27, v26
	v_mul_lo_u32 v26, v27, s33
	v_sub_u32_e32 v26, v63, v26
	v_add_u32_e32 v26, v0, v26
	v_mul_lo_u32 v26, v26, s7
	v_mad_u64_u32 v[26:27], s[76:77], v27, s6, v[26:27]
	v_ashrrev_i32_e32 v27, 31, v26
	v_lshlrev_b64 v[26:27], 3, v[26:27]
	v_add_co_u32_e32 v28, vcc, s2, v26
	v_addc_co_u32_e32 v29, vcc, v59, v27, vcc
	global_load_dwordx2 v[26:27], v[20:21], off
	s_nop 0
	global_load_dwordx2 v[22:23], v[22:23], off
	s_nop 0
	;; [unrolled: 2-line block ×3, first 2 shown]
	global_load_dwordx2 v[20:21], v[28:29], off
	v_mul_hi_u32 v29, v51, v54
	v_mul_lo_u32 v30, v29, s59
	v_sub_u32_e32 v30, v51, v30
	v_add_u32_e32 v31, 1, v29
	v_cmp_le_u32_e32 vcc, s59, v30
	v_cndmask_b32_e32 v29, v29, v31, vcc
	v_subrev_u32_e32 v31, s59, v30
	v_cndmask_b32_e32 v30, v30, v31, vcc
	v_add_u32_e32 v31, 1, v29
	v_cmp_le_u32_e32 vcc, s59, v30
	v_xor_b32_e32 v28, s62, v50
	v_cndmask_b32_e32 v29, v29, v31, vcc
	v_xor_b32_e32 v29, v29, v28
	v_sub_u32_e32 v30, v29, v28
	v_mad_u64_u32 v[28:29], s[76:77], s71, v30, v[0:1]
	v_mul_lo_u32 v28, v28, s21
	v_mad_u64_u32 v[28:29], s[76:77], v30, s20, v[28:29]
	v_ashrrev_i32_e32 v29, 31, v28
	v_lshlrev_b64 v[28:29], 3, v[28:29]
	v_mul_hi_u32 v31, v51, v55
	v_add_co_u32_e32 v28, vcc, s12, v28
	v_mul_lo_u32 v32, v31, s61
	v_addc_co_u32_e32 v29, vcc, v60, v29, vcc
	v_sub_u32_e32 v32, v51, v32
	v_add_u32_e32 v33, 1, v31
	v_cmp_le_u32_e32 vcc, s61, v32
	v_cndmask_b32_e32 v31, v31, v33, vcc
	v_subrev_u32_e32 v33, s61, v32
	v_cndmask_b32_e32 v32, v32, v33, vcc
	v_add_u32_e32 v33, 1, v31
	v_cmp_le_u32_e32 vcc, s61, v32
	v_xor_b32_e32 v30, s64, v50
	v_cndmask_b32_e32 v31, v31, v33, vcc
	v_xor_b32_e32 v31, v31, v30
	v_sub_u32_e32 v32, v31, v30
	v_mad_u64_u32 v[30:31], s[76:77], s72, v32, v[0:1]
	v_mul_lo_u32 v30, v30, s25
	v_mad_u64_u32 v[30:31], s[76:77], v32, s24, v[30:31]
	v_ashrrev_i32_e32 v31, 31, v30
	v_lshlrev_b64 v[30:31], 3, v[30:31]
	v_add_co_u32_e32 v30, vcc, s22, v30
	v_addc_co_u32_e32 v31, vcc, v61, v31, vcc
	global_load_dwordx2 v[28:29], v[28:29], off
	v_pk_mov_b32 v[32:33], 0, 0
	global_load_dwordx2 v[30:31], v[30:31], off
	s_andn2_b64 vcc, exec, s[26:27]
	v_pk_mov_b32 v[34:35], v[32:33], v[32:33] op_sel:[0,1]
	s_cbranch_vccnz .LBB17_5
; %bb.4:                                ;   in Loop: Header=BB17_3 Depth=1
	v_mul_hi_u32 v35, v51, v57
	v_mul_lo_u32 v40, v35, s66
	v_sub_u32_e32 v40, v51, v40
	v_add_u32_e32 v41, 1, v35
	v_cmp_le_u32_e32 vcc, s66, v40
	v_cndmask_b32_e32 v35, v35, v41, vcc
	v_subrev_u32_e32 v41, s66, v40
	v_cndmask_b32_e32 v40, v40, v41, vcc
	v_add_u32_e32 v41, 1, v35
	v_cmp_le_u32_e32 vcc, s66, v40
	v_xor_b32_e32 v34, s68, v50
	v_cndmask_b32_e32 v35, v35, v41, vcc
	v_xor_b32_e32 v35, v35, v34
	v_sub_u32_e32 v40, v35, v34
	v_mad_u64_u32 v[34:35], s[76:77], s74, v40, v[0:1]
	v_mul_lo_u32 v34, v34, s17
	v_mad_u64_u32 v[34:35], s[76:77], v40, s16, v[34:35]
	v_ashrrev_i32_e32 v35, 31, v34
	v_lshlrev_b64 v[34:35], 3, v[34:35]
	v_mov_b32_e32 v40, s15
	v_add_co_u32_e32 v34, vcc, s14, v34
	v_addc_co_u32_e32 v35, vcc, v40, v35, vcc
	global_load_dwordx2 v[34:35], v[34:35], off
.LBB17_5:                               ;   in Loop: Header=BB17_3 Depth=1
	s_andn2_b64 vcc, exec, s[28:29]
	s_cbranch_vccnz .LBB17_2
; %bb.6:                                ;   in Loop: Header=BB17_3 Depth=1
	v_mul_hi_u32 v33, v51, v58
	v_mul_lo_u32 v40, v33, s67
	v_sub_u32_e32 v40, v51, v40
	v_add_u32_e32 v41, 1, v33
	v_cmp_le_u32_e32 vcc, s67, v40
	v_cndmask_b32_e32 v33, v33, v41, vcc
	v_subrev_u32_e32 v41, s67, v40
	v_cndmask_b32_e32 v40, v40, v41, vcc
	v_add_u32_e32 v41, 1, v33
	v_cmp_le_u32_e32 vcc, s67, v40
	v_xor_b32_e32 v32, s69, v50
	v_cndmask_b32_e32 v33, v33, v41, vcc
	v_xor_b32_e32 v33, v33, v32
	v_sub_u32_e32 v40, v33, v32
	v_mad_u64_u32 v[32:33], s[76:77], s75, v40, v[0:1]
	v_mul_lo_u32 v32, v32, s31
	v_mad_u64_u32 v[32:33], s[76:77], v40, s30, v[32:33]
	v_ashrrev_i32_e32 v33, 31, v32
	v_lshlrev_b64 v[32:33], 3, v[32:33]
	v_mov_b32_e32 v40, s19
	v_add_co_u32_e32 v32, vcc, s18, v32
	v_addc_co_u32_e32 v33, vcc, v40, v33, vcc
	global_load_dwordx2 v[32:33], v[32:33], off
	s_branch .LBB17_2
.LBB17_7:
	s_endpgm
	.section	.rodata,"a",@progbits
	.p2align	6, 0x0
	.amdhsa_kernel _ZN2at6native12_GLOBAL__N_16kernel18lstm_cell_backwardIddiLi2EEEvNS_4cuda6detail10TensorInfoIT_T1_EES9_S9_S9_S9_S9_S9_S8_S8_
		.amdhsa_group_segment_fixed_size 0
		.amdhsa_private_segment_fixed_size 0
		.amdhsa_kernarg_size 1776
		.amdhsa_user_sgpr_count 6
		.amdhsa_user_sgpr_private_segment_buffer 1
		.amdhsa_user_sgpr_dispatch_ptr 0
		.amdhsa_user_sgpr_queue_ptr 0
		.amdhsa_user_sgpr_kernarg_segment_ptr 1
		.amdhsa_user_sgpr_dispatch_id 0
		.amdhsa_user_sgpr_flat_scratch_init 0
		.amdhsa_user_sgpr_kernarg_preload_length 0
		.amdhsa_user_sgpr_kernarg_preload_offset 0
		.amdhsa_user_sgpr_private_segment_size 0
		.amdhsa_uses_dynamic_stack 0
		.amdhsa_system_sgpr_private_segment_wavefront_offset 0
		.amdhsa_system_sgpr_workgroup_id_x 1
		.amdhsa_system_sgpr_workgroup_id_y 0
		.amdhsa_system_sgpr_workgroup_id_z 0
		.amdhsa_system_sgpr_workgroup_info 0
		.amdhsa_system_vgpr_workitem_id 0
		.amdhsa_next_free_vgpr 78
		.amdhsa_next_free_sgpr 78
		.amdhsa_accum_offset 80
		.amdhsa_reserve_vcc 1
		.amdhsa_reserve_flat_scratch 0
		.amdhsa_float_round_mode_32 0
		.amdhsa_float_round_mode_16_64 0
		.amdhsa_float_denorm_mode_32 3
		.amdhsa_float_denorm_mode_16_64 3
		.amdhsa_dx10_clamp 1
		.amdhsa_ieee_mode 1
		.amdhsa_fp16_overflow 0
		.amdhsa_tg_split 0
		.amdhsa_exception_fp_ieee_invalid_op 0
		.amdhsa_exception_fp_denorm_src 0
		.amdhsa_exception_fp_ieee_div_zero 0
		.amdhsa_exception_fp_ieee_overflow 0
		.amdhsa_exception_fp_ieee_underflow 0
		.amdhsa_exception_fp_ieee_inexact 0
		.amdhsa_exception_int_div_zero 0
	.end_amdhsa_kernel
	.section	.text._ZN2at6native12_GLOBAL__N_16kernel18lstm_cell_backwardIddiLi2EEEvNS_4cuda6detail10TensorInfoIT_T1_EES9_S9_S9_S9_S9_S9_S8_S8_,"axG",@progbits,_ZN2at6native12_GLOBAL__N_16kernel18lstm_cell_backwardIddiLi2EEEvNS_4cuda6detail10TensorInfoIT_T1_EES9_S9_S9_S9_S9_S9_S8_S8_,comdat
.Lfunc_end17:
	.size	_ZN2at6native12_GLOBAL__N_16kernel18lstm_cell_backwardIddiLi2EEEvNS_4cuda6detail10TensorInfoIT_T1_EES9_S9_S9_S9_S9_S9_S8_S8_, .Lfunc_end17-_ZN2at6native12_GLOBAL__N_16kernel18lstm_cell_backwardIddiLi2EEEvNS_4cuda6detail10TensorInfoIT_T1_EES9_S9_S9_S9_S9_S9_S8_S8_
                                        ; -- End function
	.section	.AMDGPU.csdata,"",@progbits
; Kernel info:
; codeLenInByte = 4144
; NumSgprs: 82
; NumVgprs: 78
; NumAgprs: 0
; TotalNumVgprs: 78
; ScratchSize: 0
; MemoryBound: 0
; FloatMode: 240
; IeeeMode: 1
; LDSByteSize: 0 bytes/workgroup (compile time only)
; SGPRBlocks: 10
; VGPRBlocks: 9
; NumSGPRsForWavesPerEU: 82
; NumVGPRsForWavesPerEU: 78
; AccumOffset: 80
; Occupancy: 6
; WaveLimiterHint : 1
; COMPUTE_PGM_RSRC2:SCRATCH_EN: 0
; COMPUTE_PGM_RSRC2:USER_SGPR: 6
; COMPUTE_PGM_RSRC2:TRAP_HANDLER: 0
; COMPUTE_PGM_RSRC2:TGID_X_EN: 1
; COMPUTE_PGM_RSRC2:TGID_Y_EN: 0
; COMPUTE_PGM_RSRC2:TGID_Z_EN: 0
; COMPUTE_PGM_RSRC2:TIDIG_COMP_CNT: 0
; COMPUTE_PGM_RSRC3_GFX90A:ACCUM_OFFSET: 19
; COMPUTE_PGM_RSRC3_GFX90A:TG_SPLIT: 0
	.section	.text._ZN2at6native12_GLOBAL__N_16kernel18lstm_cell_backwardIddlLi1EEEvNS_4cuda6detail10TensorInfoIT_T1_EES9_S9_S9_S9_S9_S9_S8_S8_,"axG",@progbits,_ZN2at6native12_GLOBAL__N_16kernel18lstm_cell_backwardIddlLi1EEEvNS_4cuda6detail10TensorInfoIT_T1_EES9_S9_S9_S9_S9_S9_S8_S8_,comdat
	.globl	_ZN2at6native12_GLOBAL__N_16kernel18lstm_cell_backwardIddlLi1EEEvNS_4cuda6detail10TensorInfoIT_T1_EES9_S9_S9_S9_S9_S9_S8_S8_ ; -- Begin function _ZN2at6native12_GLOBAL__N_16kernel18lstm_cell_backwardIddlLi1EEEvNS_4cuda6detail10TensorInfoIT_T1_EES9_S9_S9_S9_S9_S9_S8_S8_
	.p2align	8
	.type	_ZN2at6native12_GLOBAL__N_16kernel18lstm_cell_backwardIddlLi1EEEvNS_4cuda6detail10TensorInfoIT_T1_EES9_S9_S9_S9_S9_S9_S8_S8_,@function
_ZN2at6native12_GLOBAL__N_16kernel18lstm_cell_backwardIddlLi1EEEvNS_4cuda6detail10TensorInfoIT_T1_EES9_S9_S9_S9_S9_S9_S8_S8_: ; @_ZN2at6native12_GLOBAL__N_16kernel18lstm_cell_backwardIddlLi1EEEvNS_4cuda6detail10TensorInfoIT_T1_EES9_S9_S9_S9_S9_S9_S8_S8_
; %bb.0:
	s_load_dword s0, s[4:5], 0xb7c
	s_load_dwordx4 s[8:11], s[4:5], 0xb60
	s_add_u32 s16, s4, 0xb70
	s_addc_u32 s17, s5, 0
	v_mov_b32_e32 v2, 0
	s_waitcnt lgkmcnt(0)
	s_and_b32 s20, s0, 0xffff
	s_mul_i32 s6, s6, s20
	v_add_u32_e32 v0, s6, v0
	v_mov_b32_e32 v1, v2
	v_cmp_gt_i64_e32 vcc, s[10:11], v[0:1]
	s_and_saveexec_b64 s[0:1], vcc
	s_cbranch_execz .LBB18_11
; %bb.1:
	s_load_dwordx2 s[2:3], s[4:5], 0x0
	s_load_dwordx2 s[6:7], s[4:5], 0xd0
	;; [unrolled: 1-line block ×14, first 2 shown]
	s_load_dword s21, s[16:17], 0x0
	s_waitcnt lgkmcnt(0)
	s_cmp_lg_u64 s[30:31], 0
	s_cselect_b64 s[16:17], -1, 0
	s_cmp_lg_u64 s[28:29], 0
	s_cselect_b64 s[18:19], -1, 0
	s_mul_i32 s33, s21, s20
	s_mul_i32 s20, s9, 3
	s_mul_hi_u32 s21, s8, 3
	s_add_i32 s53, s21, s20
	v_mul_lo_u32 v3, 0, s24
	v_mul_lo_u32 v6, v0, s25
	v_mad_u64_u32 v[4:5], s[20:21], v0, s24, 0
	v_add3_u32 v5, v5, v6, v3
	v_lshlrev_b64 v[4:5], 3, v[4:5]
	v_mov_b32_e32 v3, s23
	v_add_co_u32_e32 v4, vcc, s22, v4
	v_addc_co_u32_e32 v5, vcc, v3, v5, vcc
	v_mul_lo_u32 v3, 0, s36
	v_mul_lo_u32 v8, v0, s37
	v_mad_u64_u32 v[6:7], s[22:23], v0, s36, 0
	v_add3_u32 v7, v7, v8, v3
	v_lshlrev_b64 v[6:7], 3, v[6:7]
	s_mul_i32 s20, s33, s25
	s_mul_hi_u32 s21, s33, s24
	v_mov_b32_e32 v3, s35
	v_add_co_u32_e32 v6, vcc, s34, v6
	s_add_i32 s21, s21, s20
	s_mul_i32 s20, s33, s24
	v_addc_co_u32_e32 v7, vcc, v3, v7, vcc
	v_mul_lo_u32 v3, 0, s40
	v_mul_lo_u32 v10, v0, s41
	v_mad_u64_u32 v[8:9], s[24:25], v0, s40, 0
	v_add3_u32 v9, v9, v10, v3
	v_lshlrev_b64 v[8:9], 3, v[8:9]
	v_mov_b32_e32 v3, s39
	v_add_co_u32_e32 v8, vcc, s38, v8
	v_addc_co_u32_e32 v9, vcc, v3, v9, vcc
	v_mul_lo_u32 v3, 0, s26
	v_mul_lo_u32 v12, v0, s27
	v_mad_u64_u32 v[10:11], s[34:35], v0, s26, 0
	v_add3_u32 v11, v11, v12, v3
	v_lshlrev_b64 v[10:11], 3, v[10:11]
	v_mov_b32_e32 v3, s31
	v_add_co_u32_e32 v10, vcc, s30, v10
	s_mul_i32 s27, s33, s27
	s_mul_hi_u32 s30, s33, s26
	v_addc_co_u32_e32 v11, vcc, v3, v11, vcc
	s_add_i32 s27, s30, s27
	v_mul_lo_u32 v3, 0, s0
	v_mul_lo_u32 v14, v0, s1
	v_mad_u64_u32 v[12:13], s[30:31], v0, s0, 0
	v_add3_u32 v13, v13, v14, v3
	v_lshlrev_b64 v[12:13], 3, v[12:13]
	s_mul_i32 s22, s33, s37
	s_mul_hi_u32 s23, s33, s36
	s_mul_i32 s24, s33, s41
	s_mul_hi_u32 s25, s33, s40
	v_add_co_u32_e32 v12, vcc, s28, v12
	s_mul_i32 s1, s33, s1
	s_mul_hi_u32 s28, s33, s0
	s_add_i32 s23, s23, s22
	s_mul_i32 s22, s33, s36
	s_add_i32 s25, s25, s24
	s_mul_i32 s24, s33, s40
	s_mul_i32 s26, s33, s26
	v_mov_b32_e32 v3, s29
	s_add_i32 s1, s28, s1
	s_mul_i32 s0, s33, s0
	s_mov_b32 s30, 0x652b82fe
	s_mov_b32 s34, 0xfefa3000
	;; [unrolled: 1-line block ×7, first 2 shown]
	s_mov_b64 s[4:5], 0
	s_mov_b32 s52, 0
	s_mul_i32 s54, s8, 3
	s_lshl_b64 s[20:21], s[20:21], 3
	s_lshl_b64 s[22:23], s[22:23], 3
	s_lshl_b64 s[24:25], s[24:25], 3
	s_lshl_b64 s[26:27], s[26:27], 3
	v_addc_co_u32_e32 v13, vcc, v3, v13, vcc
	s_lshl_b64 s[28:29], s[0:1], 3
	s_brev_b32 s55, -2
	s_mov_b32 s31, 0x3ff71547
	s_mov_b32 s35, 0xbfe62e42
	;; [unrolled: 1-line block ×7, first 2 shown]
	v_mov_b32_e32 v14, 0xfca7ab0c
	v_mov_b32_e32 v15, 0x3e928af3
	;; [unrolled: 1-line block ×19, first 2 shown]
	s_branch .LBB18_3
.LBB18_2:                               ;   in Loop: Header=BB18_3 Depth=1
	s_waitcnt vmcnt(0)
	v_mul_f64 v[58:59], |v[44:45]|, s[30:31]
	v_rndne_f64_e32 v[58:59], v[58:59]
	v_fma_f64 v[60:61], v[58:59], s[34:35], |v[44:45]|
	v_add_f64 v[62:63], v[60:61], 0
	v_mul_f64 v[64:65], v[58:59], s[36:37]
	v_add_f64 v[66:67], v[62:63], v[64:65]
	v_add_f64 v[60:61], v[60:61], -v[62:63]
	v_add_f64 v[62:63], v[62:63], -v[66:67]
	v_add_f64 v[62:63], v[62:63], v[64:65]
	v_add_f64 v[60:61], v[60:61], 0
	;; [unrolled: 1-line block ×4, first 2 shown]
	v_add_f64 v[64:65], v[66:67], -v[62:63]
	v_add_f64 v[60:61], v[60:61], v[64:65]
	v_mul_f64 v[64:65], v[58:59], s[38:39]
	v_add_f64 v[66:67], v[62:63], v[64:65]
	v_add_f64 v[62:63], v[62:63], -v[66:67]
	v_add_f64 v[62:63], v[62:63], v[64:65]
	v_add_f64 v[60:61], v[60:61], v[62:63]
	;; [unrolled: 1-line block ×3, first 2 shown]
	v_add_f64 v[64:65], v[66:67], -v[62:63]
	v_add_f64 v[60:61], v[60:61], v[64:65]
	v_pk_mov_b32 v[64:65], v[14:15], v[14:15] op_sel:[0,1]
	v_fmac_f64_e32 v[64:65], s[40:41], v[62:63]
	v_pk_mov_b32 v[66:67], v[16:17], v[16:17] op_sel:[0,1]
	v_fmac_f64_e32 v[66:67], v[62:63], v[64:65]
	;; [unrolled: 2-line block ×9, first 2 shown]
	v_mul_f64 v[66:67], v[62:63], v[62:63]
	v_fma_f64 v[68:69], v[62:63], v[62:63], -v[66:67]
	v_add_f64 v[70:71], v[60:61], v[60:61]
	v_fmac_f64_e32 v[68:69], v[62:63], v[70:71]
	v_add_f64 v[70:71], v[66:67], v[68:69]
	v_add_f64 v[66:67], v[70:71], -v[66:67]
	v_add_f64 v[66:67], v[68:69], -v[66:67]
	v_mul_f64 v[68:69], v[70:71], v[64:65]
	v_fma_f64 v[70:71], v[70:71], v[64:65], -v[68:69]
	v_mul_lo_u32 v3, v3, s14
	v_mul_lo_u32 v57, v48, s15
	v_mad_u64_u32 v[48:49], s[0:1], v48, s14, 0
	v_fmac_f64_e32 v[70:71], v[66:67], v[64:65]
	v_add3_u32 v49, v49, v57, v3
	v_mul_lo_u32 v57, v51, s14
	v_mul_lo_u32 v64, v50, s15
	v_mad_u64_u32 v[50:51], s[0:1], v50, s14, 0
	v_add3_u32 v51, v51, v64, v57
	v_mul_lo_u32 v57, v53, s14
	v_mul_lo_u32 v64, v52, s15
	v_mad_u64_u32 v[52:53], s[0:1], v52, s14, 0
	;; [unrolled: 4-line block ×3, first 2 shown]
	v_add3_u32 v55, v55, v64, v57
	v_add_f64 v[64:65], v[68:69], v[70:71]
	v_add_f64 v[66:67], v[64:65], -v[68:69]
	v_add_f64 v[68:69], v[62:63], v[64:65]
	v_add_f64 v[66:67], v[70:71], -v[66:67]
	v_add_f64 v[62:63], v[68:69], -v[62:63]
	;; [unrolled: 1-line block ×3, first 2 shown]
	v_add_f64 v[60:61], v[60:61], v[66:67]
	v_add_f64 v[60:61], v[60:61], v[62:63]
	;; [unrolled: 1-line block ×3, first 2 shown]
	v_add_f64 v[64:65], v[62:63], -v[68:69]
	v_add_f64 v[60:61], v[60:61], -v[64:65]
	v_add_f64 v[64:65], v[62:63], 1.0
	v_add_f64 v[66:67], v[64:65], -1.0
	v_add_f64 v[62:63], v[62:63], -v[66:67]
	v_add_f64 v[60:61], v[60:61], v[62:63]
	v_add_f64 v[62:63], v[64:65], v[60:61]
	v_cvt_i32_f64_e32 v57, v[58:59]
	v_ldexp_f64 v[58:59], v[62:63], v57
	v_rcp_f64_e32 v[66:67], v[58:59]
	v_add_f64 v[62:63], v[62:63], -v[64:65]
	v_add_f64 v[60:61], v[60:61], -v[62:63]
	v_ldexp_f64 v[60:61], v[60:61], v57
	v_fma_f64 v[62:63], -v[58:59], v[66:67], 1.0
	v_fmac_f64_e32 v[66:67], v[62:63], v[66:67]
	v_fma_f64 v[62:63], -v[58:59], v[66:67], 1.0
	v_fmac_f64_e32 v[66:67], v[62:63], v[66:67]
	v_mul_f64 v[62:63], v[58:59], v[66:67]
	v_fma_f64 v[64:65], v[66:67], v[58:59], -v[62:63]
	v_fmac_f64_e32 v[64:65], v[66:67], v[60:61]
	v_add_f64 v[68:69], v[62:63], v[64:65]
	v_add_f64 v[70:71], -v[68:69], 1.0
	v_add_f64 v[62:63], v[68:69], -v[62:63]
	v_add_f64 v[72:73], -v[70:71], 1.0
	v_add_f64 v[68:69], v[72:73], -v[68:69]
	v_add_f64 v[62:63], v[62:63], -v[64:65]
	v_add_f64 v[62:63], v[62:63], v[68:69]
	v_add_f64 v[64:65], v[70:71], v[62:63]
	v_add_f64 v[68:69], v[70:71], -v[64:65]
	v_add_f64 v[62:63], v[62:63], v[68:69]
	v_mul_f64 v[68:69], v[66:67], v[64:65]
	v_mul_f64 v[70:71], v[58:59], v[68:69]
	v_fma_f64 v[72:73], v[68:69], v[58:59], -v[70:71]
	v_fmac_f64_e32 v[72:73], v[68:69], v[60:61]
	v_add_f64 v[74:75], v[70:71], v[72:73]
	v_add_f64 v[76:77], v[64:65], -v[74:75]
	v_add_f64 v[64:65], v[64:65], -v[76:77]
	;; [unrolled: 1-line block ×4, first 2 shown]
	v_add_f64 v[62:63], v[62:63], v[64:65]
	v_add_f64 v[64:65], v[70:71], -v[72:73]
	v_add_f64 v[62:63], v[64:65], v[62:63]
	v_add_f64 v[62:63], v[76:77], v[62:63]
	;; [unrolled: 1-line block ×3, first 2 shown]
	v_mul_f64 v[62:63], v[66:67], v[62:63]
	v_add_f64 v[66:67], v[64:65], -v[66:67]
	v_add_f64 v[66:67], v[68:69], -v[66:67]
	v_add_f64 v[62:63], v[66:67], v[62:63]
	v_add_f64 v[66:67], v[64:65], v[62:63]
	v_add_f64 v[64:65], v[66:67], -v[64:65]
	v_add_f64 v[62:63], v[62:63], -v[64:65]
	;; [unrolled: 1-line block ×4, first 2 shown]
	v_add_f64 v[72:73], v[58:59], v[66:67]
	v_add_f64 v[68:69], v[68:69], -v[66:67]
	v_add_f64 v[58:59], v[72:73], -v[58:59]
	v_add_f64 v[68:69], v[60:61], v[68:69]
	v_add_f64 v[58:59], v[66:67], -v[58:59]
	v_add_f64 v[60:61], v[60:61], v[62:63]
	v_add_f64 v[58:59], v[60:61], v[58:59]
	v_add_f64 v[60:61], v[72:73], v[58:59]
	v_add_f64 v[68:69], v[68:69], -v[62:63]
	v_rcp_f64_e32 v[62:63], v[60:61]
	v_add_f64 v[66:67], v[60:61], -v[72:73]
	v_add_f64 v[58:59], v[58:59], -v[66:67]
	v_add_f64 v[70:71], v[64:65], v[68:69]
	v_fma_f64 v[66:67], -v[60:61], v[62:63], 1.0
	v_fmac_f64_e32 v[62:63], v[66:67], v[62:63]
	v_fma_f64 v[66:67], -v[60:61], v[62:63], 1.0
	v_fmac_f64_e32 v[62:63], v[66:67], v[62:63]
	v_add_f64 v[64:65], v[70:71], -v[64:65]
	v_mul_f64 v[66:67], v[70:71], v[62:63]
	v_add_f64 v[64:65], v[68:69], -v[64:65]
	v_mul_f64 v[68:69], v[60:61], v[66:67]
	v_fma_f64 v[60:61], v[66:67], v[60:61], -v[68:69]
	v_fmac_f64_e32 v[60:61], v[66:67], v[58:59]
	v_lshlrev_b64 v[48:49], 3, v[48:49]
	v_add_f64 v[58:59], v[68:69], v[60:61]
	v_mov_b32_e32 v3, s13
	v_add_co_u32_e32 v48, vcc, s12, v48
	v_add_f64 v[68:69], v[58:59], -v[68:69]
	v_addc_co_u32_e32 v49, vcc, v3, v49, vcc
	v_lshlrev_b64 v[50:51], 3, v[50:51]
	v_add_f64 v[60:61], v[60:61], -v[68:69]
	v_add_f64 v[68:69], v[70:71], -v[58:59]
	v_add_co_u32_e32 v50, vcc, s12, v50
	v_add_f64 v[70:71], v[70:71], -v[68:69]
	v_addc_co_u32_e32 v51, vcc, v3, v51, vcc
	v_lshlrev_b64 v[52:53], 3, v[52:53]
	v_add_f64 v[58:59], v[70:71], -v[58:59]
	v_add_co_u32_e32 v52, vcc, s12, v52
	v_add_f64 v[58:59], v[58:59], -v[60:61]
	v_addc_co_u32_e32 v53, vcc, v3, v53, vcc
	v_lshlrev_b64 v[54:55], 3, v[54:55]
	v_add_f64 v[58:59], v[64:65], v[58:59]
	v_add_co_u32_e32 v54, vcc, s12, v54
	v_add_f64 v[58:59], v[68:69], v[58:59]
	v_addc_co_u32_e32 v55, vcc, v3, v55, vcc
	v_mul_f64 v[58:59], v[62:63], v[58:59]
	v_add_f64 v[58:59], v[66:67], v[58:59]
	v_cmp_ngt_f64_e64 vcc, |v[44:45]|, s[42:43]
	v_and_b32_e32 v3, 0x7fffffff, v45
	v_cndmask_b32_e32 v57, v56, v59, vcc
	v_cndmask_b32_e32 v58, 0, v58, vcc
	v_cmp_lt_f64_e64 vcc, |v[44:45]|, s[44:45]
	v_cndmask_b32_e32 v3, v57, v3, vcc
	v_cndmask_b32_e32 v44, v58, v44, vcc
	v_bfi_b32 v45, s55, v3, v45
	v_mul_f64 v[58:59], v[44:45], v[46:47]
	v_mul_f64 v[46:47], v[32:33], v[46:47]
	v_fma_f64 v[44:45], -v[44:45], v[44:45], 1.0
	v_fmac_f64_e32 v[42:43], v[44:45], v[46:47]
	v_mul_f64 v[44:45], v[36:37], v[42:43]
	v_add_f64 v[60:61], -v[38:39], 1.0
	v_mov_b32_e32 v3, s52
	v_add_co_u32_e32 v0, vcc, s33, v0
	v_mul_f64 v[44:45], v[60:61], v[44:45]
	v_addc_co_u32_e32 v1, vcc, v1, v3, vcc
	v_mul_f64 v[40:41], v[40:41], v[42:43]
	v_mul_f64 v[46:47], v[38:39], v[42:43]
	;; [unrolled: 1-line block ×3, first 2 shown]
	v_add_f64 v[44:45], -v[34:35], 1.0
	v_mov_b32_e32 v3, s21
	v_add_co_u32_e32 v4, vcc, s20, v4
	v_mul_f64 v[40:41], v[44:45], v[40:41]
	v_addc_co_u32_e32 v5, vcc, v5, v3, vcc
	v_mul_f64 v[42:43], v[34:35], v[42:43]
	v_mul_f64 v[34:35], v[34:35], v[40:41]
	v_add_f64 v[40:41], -v[32:33], 1.0
	v_mov_b32_e32 v3, s23
	v_add_co_u32_e32 v6, vcc, s22, v6
	v_fma_f64 v[36:37], -v[36:37], v[36:37], 1.0
	v_mul_f64 v[40:41], v[40:41], v[58:59]
	v_addc_co_u32_e32 v7, vcc, v7, v3, vcc
	v_mul_f64 v[36:37], v[36:37], v[46:47]
	v_mul_f64 v[32:33], v[32:33], v[40:41]
	global_store_dwordx2 v[48:49], v[38:39], off
	global_store_dwordx2 v[50:51], v[34:35], off
	global_store_dwordx2 v[52:53], v[36:37], off
	global_store_dwordx2 v[54:55], v[32:33], off
	global_store_dwordx2 v[8:9], v[42:43], off
	v_mov_b32_e32 v3, s25
	v_add_co_u32_e32 v8, vcc, s24, v8
	v_addc_co_u32_e32 v9, vcc, v9, v3, vcc
	v_mov_b32_e32 v3, s27
	v_add_co_u32_e32 v10, vcc, s26, v10
	v_addc_co_u32_e32 v11, vcc, v11, v3, vcc
	v_cmp_le_i64_e32 vcc, s[10:11], v[0:1]
	v_mov_b32_e32 v3, s29
	s_or_b64 s[4:5], vcc, s[4:5]
	v_add_co_u32_e32 v12, vcc, s28, v12
	v_addc_co_u32_e32 v13, vcc, v13, v3, vcc
	s_andn2_b64 exec, exec, s[4:5]
	s_cbranch_execz .LBB18_11
.LBB18_3:                               ; =>This Inner Loop Header: Depth=1
	v_or_b32_e32 v3, s9, v1
	v_cmp_ne_u64_e32 vcc, 0, v[2:3]
                                        ; implicit-def: $vgpr32_vgpr33
	s_and_saveexec_b64 s[0:1], vcc
	s_xor_b64 s[46:47], exec, s[0:1]
	s_cbranch_execz .LBB18_5
; %bb.4:                                ;   in Loop: Header=BB18_3 Depth=1
	s_ashr_i32 s48, s9, 31
	s_add_u32 s0, s8, s48
	s_mov_b32 s49, s48
	s_addc_u32 s1, s9, s48
	s_xor_b64 s[50:51], s[0:1], s[48:49]
	v_cvt_f32_u32_e32 v3, s50
	v_cvt_f32_u32_e32 v32, s51
	s_sub_u32 s0, 0, s50
	s_subb_u32 s1, 0, s51
	v_mac_f32_e32 v3, 0x4f800000, v32
	v_rcp_f32_e32 v3, v3
	v_mul_f32_e32 v3, 0x5f7ffffc, v3
	v_mul_f32_e32 v32, 0x2f800000, v3
	v_trunc_f32_e32 v32, v32
	v_mac_f32_e32 v3, 0xcf800000, v32
	v_cvt_u32_f32_e32 v32, v32
	v_cvt_u32_f32_e32 v3, v3
	v_mul_lo_u32 v33, s0, v32
	v_mul_hi_u32 v35, s0, v3
	v_mul_lo_u32 v34, s1, v3
	v_add_u32_e32 v33, v35, v33
	v_mul_lo_u32 v36, s0, v3
	v_add_u32_e32 v33, v33, v34
	v_mul_lo_u32 v35, v3, v33
	v_mul_hi_u32 v37, v3, v36
	v_mul_hi_u32 v34, v3, v33
	v_add_co_u32_e32 v35, vcc, v37, v35
	v_addc_co_u32_e32 v34, vcc, 0, v34, vcc
	v_mul_hi_u32 v38, v32, v36
	v_mul_lo_u32 v36, v32, v36
	v_add_co_u32_e32 v35, vcc, v35, v36
	v_mul_hi_u32 v37, v32, v33
	v_addc_co_u32_e32 v34, vcc, v34, v38, vcc
	v_addc_co_u32_e32 v35, vcc, 0, v37, vcc
	v_mul_lo_u32 v33, v32, v33
	v_add_co_u32_e32 v33, vcc, v34, v33
	v_addc_co_u32_e32 v34, vcc, 0, v35, vcc
	v_add_co_u32_e32 v3, vcc, v3, v33
	v_addc_co_u32_e32 v32, vcc, v32, v34, vcc
	v_mul_lo_u32 v33, s0, v32
	v_mul_hi_u32 v34, s0, v3
	v_add_u32_e32 v33, v34, v33
	v_mul_lo_u32 v34, s1, v3
	v_add_u32_e32 v33, v33, v34
	v_mul_lo_u32 v35, s0, v3
	v_mul_hi_u32 v36, v32, v35
	v_mul_lo_u32 v37, v32, v35
	v_mul_lo_u32 v39, v3, v33
	v_mul_hi_u32 v35, v3, v35
	v_mul_hi_u32 v38, v3, v33
	v_add_co_u32_e32 v35, vcc, v35, v39
	v_addc_co_u32_e32 v38, vcc, 0, v38, vcc
	v_add_co_u32_e32 v35, vcc, v35, v37
	v_mul_hi_u32 v34, v32, v33
	v_addc_co_u32_e32 v35, vcc, v38, v36, vcc
	v_addc_co_u32_e32 v34, vcc, 0, v34, vcc
	v_mul_lo_u32 v33, v32, v33
	v_add_co_u32_e32 v33, vcc, v35, v33
	v_addc_co_u32_e32 v34, vcc, 0, v34, vcc
	v_add_co_u32_e32 v3, vcc, v3, v33
	v_addc_co_u32_e32 v34, vcc, v32, v34, vcc
	v_ashrrev_i32_e32 v36, 31, v1
	v_add_co_u32_e32 v32, vcc, v0, v36
	v_addc_co_u32_e32 v33, vcc, v1, v36, vcc
	v_xor_b32_e32 v38, v32, v36
	v_xor_b32_e32 v37, v33, v36
	v_mad_u64_u32 v[32:33], s[0:1], v38, v34, 0
	v_mul_hi_u32 v35, v38, v3
	v_add_co_u32_e32 v39, vcc, v35, v32
	v_addc_co_u32_e32 v40, vcc, 0, v33, vcc
	v_mad_u64_u32 v[32:33], s[0:1], v37, v34, 0
	v_mad_u64_u32 v[34:35], s[0:1], v37, v3, 0
	v_add_co_u32_e32 v3, vcc, v39, v34
	v_addc_co_u32_e32 v3, vcc, v40, v35, vcc
	v_addc_co_u32_e32 v33, vcc, 0, v33, vcc
	v_add_co_u32_e32 v3, vcc, v3, v32
	v_addc_co_u32_e32 v34, vcc, 0, v33, vcc
	v_mul_lo_u32 v35, s51, v3
	v_mul_lo_u32 v39, s50, v34
	v_mad_u64_u32 v[32:33], s[0:1], s50, v3, 0
	v_add3_u32 v33, v33, v39, v35
	v_sub_u32_e32 v35, v37, v33
	v_mov_b32_e32 v39, s51
	v_sub_co_u32_e32 v32, vcc, v38, v32
	v_subb_co_u32_e64 v35, s[0:1], v35, v39, vcc
	v_subrev_co_u32_e64 v38, s[0:1], s50, v32
	v_subbrev_co_u32_e64 v35, s[0:1], 0, v35, s[0:1]
	v_cmp_le_u32_e64 s[0:1], s51, v35
	v_cndmask_b32_e64 v39, 0, -1, s[0:1]
	v_cmp_le_u32_e64 s[0:1], s50, v38
	v_cndmask_b32_e64 v38, 0, -1, s[0:1]
	v_cmp_eq_u32_e64 s[0:1], s51, v35
	v_cndmask_b32_e64 v35, v39, v38, s[0:1]
	v_add_co_u32_e64 v38, s[0:1], 2, v3
	v_subb_co_u32_e32 v33, vcc, v37, v33, vcc
	v_addc_co_u32_e64 v39, s[0:1], 0, v34, s[0:1]
	v_cmp_le_u32_e32 vcc, s51, v33
	v_add_co_u32_e64 v40, s[0:1], 1, v3
	v_cndmask_b32_e64 v37, 0, -1, vcc
	v_cmp_le_u32_e32 vcc, s50, v32
	v_addc_co_u32_e64 v41, s[0:1], 0, v34, s[0:1]
	v_cndmask_b32_e64 v32, 0, -1, vcc
	v_cmp_eq_u32_e32 vcc, s51, v33
	v_cmp_ne_u32_e64 s[0:1], 0, v35
	v_cndmask_b32_e32 v32, v37, v32, vcc
	v_cmp_ne_u32_e32 vcc, 0, v32
	v_cndmask_b32_e64 v33, v40, v38, s[0:1]
	v_cndmask_b32_e64 v35, v41, v39, s[0:1]
	v_cndmask_b32_e32 v3, v3, v33, vcc
	v_xor_b32_e32 v33, s48, v36
	v_cndmask_b32_e32 v32, v34, v35, vcc
	v_xor_b32_e32 v3, v3, v33
	v_xor_b32_e32 v34, v32, v33
	v_sub_co_u32_e32 v32, vcc, v3, v33
	v_subb_co_u32_e32 v33, vcc, v34, v33, vcc
.LBB18_5:                               ;   in Loop: Header=BB18_3 Depth=1
	s_andn2_saveexec_b64 s[0:1], s[46:47]
	s_cbranch_execz .LBB18_7
; %bb.6:                                ;   in Loop: Header=BB18_3 Depth=1
	v_cvt_f32_u32_e32 v3, s8
	s_sub_i32 s46, 0, s8
	v_rcp_iflag_f32_e32 v3, v3
	v_mul_f32_e32 v3, 0x4f7ffffe, v3
	v_cvt_u32_f32_e32 v3, v3
	v_mul_lo_u32 v32, s46, v3
	v_mul_hi_u32 v32, v3, v32
	v_add_u32_e32 v3, v3, v32
	v_mul_hi_u32 v3, v0, v3
	v_mul_lo_u32 v32, v3, s8
	v_sub_u32_e32 v32, v0, v32
	v_add_u32_e32 v33, 1, v3
	v_subrev_u32_e32 v34, s8, v32
	v_cmp_le_u32_e32 vcc, s8, v32
	v_cndmask_b32_e32 v32, v32, v34, vcc
	v_cndmask_b32_e32 v3, v3, v33, vcc
	v_add_u32_e32 v33, 1, v3
	v_cmp_le_u32_e32 vcc, s8, v32
	v_cndmask_b32_e32 v32, v3, v33, vcc
	v_mov_b32_e32 v33, v2
.LBB18_7:                               ;   in Loop: Header=BB18_3 Depth=1
	s_or_b64 exec, exec, s[0:1]
	v_mad_u64_u32 v[48:49], s[0:1], s54, v32, v[0:1]
	v_mul_lo_u32 v3, s54, v33
	v_mul_lo_u32 v34, s53, v32
	v_add3_u32 v3, v34, v49, v3
	v_mul_lo_u32 v36, v48, s7
	v_mul_lo_u32 v37, v3, s6
	v_mad_u64_u32 v[34:35], s[0:1], v48, s6, 0
	v_add3_u32 v35, v35, v36, v37
	v_lshlrev_b64 v[34:35], 3, v[34:35]
	v_mov_b32_e32 v36, s3
	v_add_co_u32_e32 v42, vcc, s2, v34
	v_addc_co_u32_e32 v43, vcc, v36, v35, vcc
	v_mad_u64_u32 v[34:35], s[0:1], v32, 3, 1
	v_lshl_add_u32 v37, v33, 1, v33
	v_add_u32_e32 v33, v37, v35
	v_mul_lo_u32 v35, s9, v34
	v_mul_lo_u32 v33, s8, v33
	v_mad_u64_u32 v[50:51], s[0:1], s8, v34, v[0:1]
	v_add3_u32 v51, v35, v51, v33
	v_mul_lo_u32 v33, v51, s6
	v_mul_lo_u32 v38, v50, s7
	v_mad_u64_u32 v[34:35], s[0:1], v50, s6, 0
	v_add3_u32 v35, v35, v38, v33
	v_lshlrev_b64 v[34:35], 3, v[34:35]
	v_add_co_u32_e32 v46, vcc, s2, v34
	v_addc_co_u32_e32 v47, vcc, v36, v35, vcc
	v_mad_u64_u32 v[34:35], s[0:1], v32, 3, 2
	v_add_u32_e32 v33, v37, v35
	v_mul_lo_u32 v35, s9, v34
	v_mul_lo_u32 v33, s8, v33
	v_mad_u64_u32 v[52:53], s[0:1], s8, v34, v[0:1]
	v_add3_u32 v53, v35, v53, v33
	v_mul_lo_u32 v33, v53, s6
	v_mul_lo_u32 v38, v52, s7
	v_mad_u64_u32 v[34:35], s[0:1], v52, s6, 0
	v_add3_u32 v35, v35, v38, v33
	v_mad_u64_u32 v[32:33], s[0:1], v32, 3, 3
	v_lshlrev_b64 v[34:35], 3, v[34:35]
	v_add_u32_e32 v33, v37, v33
	v_add_co_u32_e32 v58, vcc, s2, v34
	v_mul_lo_u32 v34, s9, v32
	v_mul_lo_u32 v33, s8, v33
	v_mad_u64_u32 v[54:55], s[0:1], s8, v32, v[0:1]
	v_add3_u32 v55, v34, v55, v33
	v_addc_co_u32_e32 v59, vcc, v36, v35, vcc
	v_mul_lo_u32 v34, v55, s6
	v_mul_lo_u32 v35, v54, s7
	v_mad_u64_u32 v[32:33], s[0:1], v54, s6, 0
	v_add3_u32 v33, v33, v35, v34
	v_lshlrev_b64 v[32:33], 3, v[32:33]
	v_add_co_u32_e32 v60, vcc, s2, v32
	v_addc_co_u32_e32 v61, vcc, v36, v33, vcc
	global_load_dwordx2 v[38:39], v[42:43], off
	global_load_dwordx2 v[34:35], v[46:47], off
	;; [unrolled: 1-line block ×6, first 2 shown]
	v_pk_mov_b32 v[42:43], 0, 0
	s_andn2_b64 vcc, exec, s[16:17]
	v_pk_mov_b32 v[46:47], v[42:43], v[42:43] op_sel:[0,1]
	s_cbranch_vccnz .LBB18_9
; %bb.8:                                ;   in Loop: Header=BB18_3 Depth=1
	global_load_dwordx2 v[46:47], v[10:11], off
.LBB18_9:                               ;   in Loop: Header=BB18_3 Depth=1
	s_andn2_b64 vcc, exec, s[18:19]
	s_cbranch_vccnz .LBB18_2
; %bb.10:                               ;   in Loop: Header=BB18_3 Depth=1
	global_load_dwordx2 v[42:43], v[12:13], off
	s_branch .LBB18_2
.LBB18_11:
	s_endpgm
	.section	.rodata,"a",@progbits
	.p2align	6, 0x0
	.amdhsa_kernel _ZN2at6native12_GLOBAL__N_16kernel18lstm_cell_backwardIddlLi1EEEvNS_4cuda6detail10TensorInfoIT_T1_EES9_S9_S9_S9_S9_S9_S8_S8_
		.amdhsa_group_segment_fixed_size 0
		.amdhsa_private_segment_fixed_size 0
		.amdhsa_kernarg_size 3184
		.amdhsa_user_sgpr_count 6
		.amdhsa_user_sgpr_private_segment_buffer 1
		.amdhsa_user_sgpr_dispatch_ptr 0
		.amdhsa_user_sgpr_queue_ptr 0
		.amdhsa_user_sgpr_kernarg_segment_ptr 1
		.amdhsa_user_sgpr_dispatch_id 0
		.amdhsa_user_sgpr_flat_scratch_init 0
		.amdhsa_user_sgpr_kernarg_preload_length 0
		.amdhsa_user_sgpr_kernarg_preload_offset 0
		.amdhsa_user_sgpr_private_segment_size 0
		.amdhsa_uses_dynamic_stack 0
		.amdhsa_system_sgpr_private_segment_wavefront_offset 0
		.amdhsa_system_sgpr_workgroup_id_x 1
		.amdhsa_system_sgpr_workgroup_id_y 0
		.amdhsa_system_sgpr_workgroup_id_z 0
		.amdhsa_system_sgpr_workgroup_info 0
		.amdhsa_system_vgpr_workitem_id 0
		.amdhsa_next_free_vgpr 78
		.amdhsa_next_free_sgpr 56
		.amdhsa_accum_offset 80
		.amdhsa_reserve_vcc 1
		.amdhsa_reserve_flat_scratch 0
		.amdhsa_float_round_mode_32 0
		.amdhsa_float_round_mode_16_64 0
		.amdhsa_float_denorm_mode_32 3
		.amdhsa_float_denorm_mode_16_64 3
		.amdhsa_dx10_clamp 1
		.amdhsa_ieee_mode 1
		.amdhsa_fp16_overflow 0
		.amdhsa_tg_split 0
		.amdhsa_exception_fp_ieee_invalid_op 0
		.amdhsa_exception_fp_denorm_src 0
		.amdhsa_exception_fp_ieee_div_zero 0
		.amdhsa_exception_fp_ieee_overflow 0
		.amdhsa_exception_fp_ieee_underflow 0
		.amdhsa_exception_fp_ieee_inexact 0
		.amdhsa_exception_int_div_zero 0
	.end_amdhsa_kernel
	.section	.text._ZN2at6native12_GLOBAL__N_16kernel18lstm_cell_backwardIddlLi1EEEvNS_4cuda6detail10TensorInfoIT_T1_EES9_S9_S9_S9_S9_S9_S8_S8_,"axG",@progbits,_ZN2at6native12_GLOBAL__N_16kernel18lstm_cell_backwardIddlLi1EEEvNS_4cuda6detail10TensorInfoIT_T1_EES9_S9_S9_S9_S9_S9_S8_S8_,comdat
.Lfunc_end18:
	.size	_ZN2at6native12_GLOBAL__N_16kernel18lstm_cell_backwardIddlLi1EEEvNS_4cuda6detail10TensorInfoIT_T1_EES9_S9_S9_S9_S9_S9_S8_S8_, .Lfunc_end18-_ZN2at6native12_GLOBAL__N_16kernel18lstm_cell_backwardIddlLi1EEEvNS_4cuda6detail10TensorInfoIT_T1_EES9_S9_S9_S9_S9_S9_S8_S8_
                                        ; -- End function
	.section	.AMDGPU.csdata,"",@progbits
; Kernel info:
; codeLenInByte = 3732
; NumSgprs: 60
; NumVgprs: 78
; NumAgprs: 0
; TotalNumVgprs: 78
; ScratchSize: 0
; MemoryBound: 0
; FloatMode: 240
; IeeeMode: 1
; LDSByteSize: 0 bytes/workgroup (compile time only)
; SGPRBlocks: 7
; VGPRBlocks: 9
; NumSGPRsForWavesPerEU: 60
; NumVGPRsForWavesPerEU: 78
; AccumOffset: 80
; Occupancy: 6
; WaveLimiterHint : 1
; COMPUTE_PGM_RSRC2:SCRATCH_EN: 0
; COMPUTE_PGM_RSRC2:USER_SGPR: 6
; COMPUTE_PGM_RSRC2:TRAP_HANDLER: 0
; COMPUTE_PGM_RSRC2:TGID_X_EN: 1
; COMPUTE_PGM_RSRC2:TGID_Y_EN: 0
; COMPUTE_PGM_RSRC2:TGID_Z_EN: 0
; COMPUTE_PGM_RSRC2:TIDIG_COMP_CNT: 0
; COMPUTE_PGM_RSRC3_GFX90A:ACCUM_OFFSET: 19
; COMPUTE_PGM_RSRC3_GFX90A:TG_SPLIT: 0
	.section	.text._ZN2at6native12_GLOBAL__N_16kernel18lstm_cell_backwardIddlLi2EEEvNS_4cuda6detail10TensorInfoIT_T1_EES9_S9_S9_S9_S9_S9_S8_S8_,"axG",@progbits,_ZN2at6native12_GLOBAL__N_16kernel18lstm_cell_backwardIddlLi2EEEvNS_4cuda6detail10TensorInfoIT_T1_EES9_S9_S9_S9_S9_S9_S8_S8_,comdat
	.globl	_ZN2at6native12_GLOBAL__N_16kernel18lstm_cell_backwardIddlLi2EEEvNS_4cuda6detail10TensorInfoIT_T1_EES9_S9_S9_S9_S9_S9_S8_S8_ ; -- Begin function _ZN2at6native12_GLOBAL__N_16kernel18lstm_cell_backwardIddlLi2EEEvNS_4cuda6detail10TensorInfoIT_T1_EES9_S9_S9_S9_S9_S9_S8_S8_
	.p2align	8
	.type	_ZN2at6native12_GLOBAL__N_16kernel18lstm_cell_backwardIddlLi2EEEvNS_4cuda6detail10TensorInfoIT_T1_EES9_S9_S9_S9_S9_S9_S8_S8_,@function
_ZN2at6native12_GLOBAL__N_16kernel18lstm_cell_backwardIddlLi2EEEvNS_4cuda6detail10TensorInfoIT_T1_EES9_S9_S9_S9_S9_S9_S8_S8_: ; @_ZN2at6native12_GLOBAL__N_16kernel18lstm_cell_backwardIddlLi2EEEvNS_4cuda6detail10TensorInfoIT_T1_EES9_S9_S9_S9_S9_S9_S8_S8_
; %bb.0:
	s_load_dword s2, s[4:5], 0xb7c
	s_load_dwordx4 s[8:11], s[4:5], 0xb60
	s_add_u32 s0, s4, 0xb70
	s_addc_u32 s1, s5, 0
	v_mov_b32_e32 v2, 0
	s_waitcnt lgkmcnt(0)
	s_and_b32 s7, s2, 0xffff
	s_mul_i32 s6, s6, s7
	v_add_u32_e32 v0, s6, v0
	v_mov_b32_e32 v1, v2
	v_cmp_gt_i64_e32 vcc, s[10:11], v[0:1]
	s_and_saveexec_b64 s[2:3], vcc
	s_cbranch_execz .LBB19_64
; %bb.1:
	s_load_dwordx2 s[2:3], s[4:5], 0x0
	s_load_dwordx2 s[34:35], s[4:5], 0x10
	s_load_dwordx4 s[12:15], s[4:5], 0xd0
	s_load_dwordx2 s[40:41], s[4:5], 0x1a0
	s_load_dwordx2 s[42:43], s[4:5], 0x1b0
	s_load_dwordx4 s[16:19], s[4:5], 0x270
	;; [unrolled: 3-line block ×6, first 2 shown]
	s_load_dwordx2 s[60:61], s[4:5], 0x9c0
	s_load_dwordx2 s[62:63], s[4:5], 0x9d0
	s_nop 0
	s_load_dword s0, s[0:1], 0x0
	s_waitcnt lgkmcnt(0)
	s_cmp_lg_u64 s[52:53], 0
                                        ; implicit-def: $vgpr70 : SGPR spill to VGPR lane
	v_cvt_f32_u32_e32 v3, s8
	s_cselect_b64 s[64:65], -1, 0
	s_cmp_lg_u64 s[56:57], 0
	s_mul_i32 s0, s0, s7
	v_writelane_b32 v70, s0, 0
	s_mul_i32 s0, s9, 3
	s_mul_hi_u32 s1, s8, 3
	s_cselect_b64 s[66:67], -1, 0
	s_add_i32 s91, s1, s0
	s_sub_u32 s93, 0, s46
	s_subb_u32 s94, 0, s47
	v_rcp_iflag_f32_e32 v3, v3
	s_sub_u32 s95, 0, s50
	s_subb_u32 s33, 0, s51
	s_sub_u32 s90, 0, s62
	s_subb_u32 s70, 0, s63
	v_mul_f32_e32 v3, 0x4f7ffffe, v3
	s_load_dwordx4 s[4:7], s[4:5], 0xa90
	s_sub_u32 s71, 0, s54
	v_cvt_u32_f32_e32 v56, v3
	s_subb_u32 s72, 0, s55
	s_sub_u32 s73, 0, s58
	s_mov_b32 s76, 0xf97b57a0
	s_mov_b32 s78, 0x6a5dcb37
	;; [unrolled: 1-line block ×4, first 2 shown]
	s_mul_i32 s92, s8, 3
	s_subb_u32 s74, 0, s59
	v_mov_b32_e32 v4, 0xfca7ab0c
	v_mov_b32_e32 v5, 0x3e928af3
	v_mov_b32_e32 v6, 0x623fde64
	v_mov_b32_e32 v7, 0x3ec71dee
	v_mov_b32_e32 v8, 0x7c89e6b0
	v_mov_b32_e32 v9, 0x3efa0199
	v_mov_b32_e32 v10, 0x14761f6e
	v_mov_b32_e32 v11, 0x3f2a01a0
	v_mov_b32_e32 v12, 0x1852b7b0
	v_mov_b32_e32 v13, 0x3f56c16c
	v_mov_b32_e32 v14, 0x11122322
	v_mov_b32_e32 v15, 0x3f811111
	v_mov_b32_e32 v16, 0x555502a1
	v_mov_b32_e32 v17, 0x3fa55555
	v_mov_b32_e32 v18, 0x55555511
	v_mov_b32_e32 v19, 0x3fc55555
	v_mov_b32_e32 v20, 11
	v_mov_b32_e32 v21, 0x3fe00000
	v_mov_b32_e32 v57, 0x3ff00000
	s_brev_b32 s75, -2
	s_mov_b64 s[68:69], 0
	s_mov_b32 s77, 0xbac9cc01
	s_mov_b32 s79, 0x3e5ade15
	;; [unrolled: 1-line block ×4, first 2 shown]
	s_branch .LBB19_4
.LBB19_2:                               ;   in Loop: Header=BB19_4 Depth=1
	s_or_b64 exec, exec, s[0:1]
	v_mad_u64_u32 v[58:59], s[0:1], s73, v54, v[0:1]
	v_mul_lo_u32 v3, s73, v55
	v_mul_lo_u32 v60, s74, v54
	v_add3_u32 v3, v60, v59, v3
	v_mul_lo_u32 v60, v58, s39
	v_mul_lo_u32 v3, v3, s38
	v_mad_u64_u32 v[58:59], s[0:1], v58, s38, 0
	v_add3_u32 v59, v59, v60, v3
	v_mul_lo_u32 v3, v55, s36
	v_mul_lo_u32 v60, v54, s37
	v_mad_u64_u32 v[54:55], s[0:1], v54, s36, 0
	v_add3_u32 v55, v55, v60, v3
	v_lshlrev_b64 v[54:55], 3, v[54:55]
	v_mov_b32_e32 v3, s57
	v_add_co_u32_e32 v60, vcc, s56, v54
	v_addc_co_u32_e32 v3, vcc, v3, v55, vcc
	v_lshlrev_b64 v[54:55], 3, v[58:59]
	v_add_co_u32_e32 v54, vcc, v60, v54
	v_addc_co_u32_e32 v55, vcc, v3, v55, vcc
	global_load_dwordx2 v[54:55], v[54:55], off
.LBB19_3:                               ;   in Loop: Header=BB19_4 Depth=1
	v_mad_u64_u32 v[58:59], s[0:1], s90, v52, v[0:1]
	v_mul_lo_u32 v3, s90, v53
	v_mul_lo_u32 v60, s70, v52
	v_add3_u32 v3, v60, v59, v3
	s_waitcnt lgkmcnt(0)
	v_mul_lo_u32 v60, v58, s7
	v_mul_lo_u32 v3, v3, s6
	v_mad_u64_u32 v[58:59], s[0:1], v58, s6, 0
	v_add3_u32 v59, v59, v60, v3
	v_mul_lo_u32 v3, v53, s4
	v_mul_lo_u32 v60, v52, s5
	v_mad_u64_u32 v[52:53], s[0:1], v52, s4, 0
	v_add3_u32 v53, v53, v60, v3
	v_lshlrev_b64 v[52:53], 3, v[52:53]
	v_mov_b32_e32 v3, s61
	v_add_co_u32_e32 v60, vcc, s60, v52
	v_addc_co_u32_e32 v3, vcc, v3, v53, vcc
	v_lshlrev_b64 v[52:53], 3, v[58:59]
	v_add_co_u32_e32 v52, vcc, v60, v52
	v_addc_co_u32_e32 v53, vcc, v3, v53, vcc
	v_mul_lo_u32 v3, v47, s42
	v_mul_lo_u32 v60, v46, s43
	v_mad_u64_u32 v[58:59], s[0:1], v46, s42, 0
	v_add3_u32 v3, v59, v60, v3
	v_sub_co_u32_e32 v36, vcc, v36, v58
	v_subb_co_u32_e32 v3, vcc, v37, v3, vcc
	v_add_co_u32_e32 v36, vcc, v0, v36
	v_addc_co_u32_e32 v3, vcc, v1, v3, vcc
	v_mul_lo_u32 v3, v3, s18
	v_mul_lo_u32 v58, v36, s19
	v_mad_u64_u32 v[36:37], s[0:1], v36, s18, 0
	v_add3_u32 v37, v37, v58, v3
	v_mul_lo_u32 v3, v47, s16
	v_mul_lo_u32 v58, v46, s17
	v_mad_u64_u32 v[46:47], s[0:1], v46, s16, 0
	v_add3_u32 v47, v47, v58, v3
	v_lshlrev_b64 v[46:47], 3, v[46:47]
	v_mov_b32_e32 v3, s41
	v_add_co_u32_e32 v46, vcc, s40, v46
	v_addc_co_u32_e32 v47, vcc, v3, v47, vcc
	v_lshlrev_b64 v[36:37], 3, v[36:37]
	v_add_co_u32_e32 v36, vcc, v46, v36
	v_addc_co_u32_e32 v37, vcc, v47, v37, vcc
	v_mul_lo_u32 v58, v43, s42
	v_mul_lo_u32 v59, v42, s43
	v_mad_u64_u32 v[46:47], s[0:1], v42, s42, 0
	v_add3_u32 v47, v47, v59, v58
	v_sub_co_u32_e32 v34, vcc, v34, v46
	v_subb_co_u32_e32 v35, vcc, v35, v47, vcc
	v_add_co_u32_e32 v34, vcc, v0, v34
	v_addc_co_u32_e32 v35, vcc, v1, v35, vcc
	v_mul_lo_u32 v46, v35, s18
	v_mul_lo_u32 v47, v34, s19
	v_mad_u64_u32 v[34:35], s[0:1], v34, s18, 0
	v_add3_u32 v35, v35, v47, v46
	v_mul_lo_u32 v46, v43, s16
	v_mul_lo_u32 v47, v42, s17
	v_mad_u64_u32 v[42:43], s[0:1], v42, s16, 0
	v_add3_u32 v43, v43, v47, v46
	v_lshlrev_b64 v[42:43], 3, v[42:43]
	v_add_co_u32_e32 v42, vcc, s40, v42
	v_addc_co_u32_e32 v43, vcc, v3, v43, vcc
	v_lshlrev_b64 v[34:35], 3, v[34:35]
	v_add_co_u32_e32 v34, vcc, v42, v34
	v_addc_co_u32_e32 v35, vcc, v43, v35, vcc
	v_mul_lo_u32 v46, v41, s42
	v_mul_lo_u32 v47, v40, s43
	v_mad_u64_u32 v[42:43], s[0:1], v40, s42, 0
	v_add3_u32 v43, v43, v47, v46
	v_sub_co_u32_e32 v28, vcc, v28, v42
	v_subb_co_u32_e32 v29, vcc, v29, v43, vcc
	v_add_co_u32_e32 v28, vcc, v0, v28
	v_addc_co_u32_e32 v29, vcc, v1, v29, vcc
	v_mul_lo_u32 v42, v29, s18
	v_mul_lo_u32 v43, v28, s19
	v_mad_u64_u32 v[28:29], s[0:1], v28, s18, 0
	v_add3_u32 v29, v29, v43, v42
	v_mul_lo_u32 v42, v41, s16
	v_mul_lo_u32 v43, v40, s17
	v_mad_u64_u32 v[40:41], s[0:1], v40, s16, 0
	v_add3_u32 v41, v41, v43, v42
	v_lshlrev_b64 v[40:41], 3, v[40:41]
	;; [unrolled: 22-line block ×3, first 2 shown]
	v_add_co_u32_e32 v38, vcc, s40, v38
	s_mov_b32 s0, 0x652b82fe
	v_addc_co_u32_e32 v3, vcc, v3, v39, vcc
	v_lshlrev_b64 v[24:25], 3, v[24:25]
	s_mov_b32 s1, 0x3ff71547
	v_add_co_u32_e32 v24, vcc, v38, v24
	s_waitcnt vmcnt(0)
	v_mul_f64 v[38:39], |v[48:49]|, s[0:1]
	s_mov_b32 s0, 0xfefa3000
	v_rndne_f64_e32 v[38:39], v[38:39]
	s_mov_b32 s1, 0xbfe62e42
	v_fma_f64 v[40:41], v[38:39], s[0:1], |v[48:49]|
	s_mov_b32 s0, 0xf278e000
	s_mov_b32 s1, 0xbd53de6a
	v_add_f64 v[42:43], v[40:41], 0
	v_mul_f64 v[46:47], v[38:39], s[0:1]
	v_add_f64 v[58:59], v[42:43], v[46:47]
	v_add_f64 v[40:41], v[40:41], -v[42:43]
	v_add_f64 v[42:43], v[42:43], -v[58:59]
	v_add_f64 v[40:41], v[40:41], 0
	v_add_f64 v[42:43], v[42:43], v[46:47]
	;; [unrolled: 1-line block ×4, first 2 shown]
	v_add_f64 v[46:47], v[58:59], -v[42:43]
	v_add_f64 v[40:41], v[40:41], v[46:47]
	v_mul_f64 v[46:47], v[38:39], s[76:77]
	v_add_f64 v[58:59], v[42:43], v[46:47]
	v_add_f64 v[42:43], v[42:43], -v[58:59]
	v_add_f64 v[42:43], v[42:43], v[46:47]
	v_add_f64 v[40:41], v[40:41], v[42:43]
	;; [unrolled: 1-line block ×3, first 2 shown]
	v_add_f64 v[46:47], v[58:59], -v[42:43]
	v_add_f64 v[40:41], v[40:41], v[46:47]
	v_pk_mov_b32 v[46:47], v[4:5], v[4:5] op_sel:[0,1]
	v_fmac_f64_e32 v[46:47], s[78:79], v[42:43]
	v_pk_mov_b32 v[58:59], v[6:7], v[6:7] op_sel:[0,1]
	v_fmac_f64_e32 v[58:59], v[42:43], v[46:47]
	;; [unrolled: 2-line block ×9, first 2 shown]
	v_mul_f64 v[58:59], v[42:43], v[42:43]
	v_fma_f64 v[60:61], v[42:43], v[42:43], -v[58:59]
	v_add_f64 v[62:63], v[40:41], v[40:41]
	v_fmac_f64_e32 v[60:61], v[42:43], v[62:63]
	v_add_f64 v[62:63], v[58:59], v[60:61]
	v_add_f64 v[58:59], v[62:63], -v[58:59]
	v_add_f64 v[58:59], v[60:61], -v[58:59]
	v_mul_f64 v[60:61], v[62:63], v[46:47]
	v_fma_f64 v[62:63], v[62:63], v[46:47], -v[60:61]
	v_fmac_f64_e32 v[62:63], v[58:59], v[46:47]
	v_add_f64 v[46:47], v[60:61], v[62:63]
	v_add_f64 v[58:59], v[46:47], -v[60:61]
	v_add_f64 v[60:61], v[42:43], v[46:47]
	v_add_f64 v[58:59], v[62:63], -v[58:59]
	v_add_f64 v[42:43], v[60:61], -v[42:43]
	;; [unrolled: 1-line block ×3, first 2 shown]
	v_add_f64 v[40:41], v[40:41], v[58:59]
	v_add_f64 v[40:41], v[40:41], v[42:43]
	v_add_f64 v[42:43], v[60:61], v[40:41]
	v_add_f64 v[46:47], v[42:43], -v[60:61]
	v_add_f64 v[40:41], v[40:41], -v[46:47]
	v_add_f64 v[46:47], v[42:43], 1.0
	v_add_f64 v[58:59], v[46:47], -1.0
	v_add_f64 v[42:43], v[42:43], -v[58:59]
	v_add_f64 v[40:41], v[40:41], v[42:43]
	v_add_f64 v[42:43], v[46:47], v[40:41]
	v_cvt_i32_f64_e32 v60, v[38:39]
	v_ldexp_f64 v[38:39], v[42:43], v60
	v_rcp_f64_e32 v[58:59], v[38:39]
	v_add_f64 v[42:43], v[42:43], -v[46:47]
	v_add_f64 v[40:41], v[40:41], -v[42:43]
	v_ldexp_f64 v[40:41], v[40:41], v60
	v_fma_f64 v[42:43], -v[38:39], v[58:59], 1.0
	v_fmac_f64_e32 v[58:59], v[42:43], v[58:59]
	v_fma_f64 v[42:43], -v[38:39], v[58:59], 1.0
	v_fmac_f64_e32 v[58:59], v[42:43], v[58:59]
	v_mul_f64 v[42:43], v[38:39], v[58:59]
	v_fma_f64 v[46:47], v[58:59], v[38:39], -v[42:43]
	v_fmac_f64_e32 v[46:47], v[58:59], v[40:41]
	v_add_f64 v[60:61], v[42:43], v[46:47]
	v_add_f64 v[62:63], -v[60:61], 1.0
	v_add_f64 v[42:43], v[60:61], -v[42:43]
	v_add_f64 v[64:65], -v[62:63], 1.0
	v_add_f64 v[60:61], v[64:65], -v[60:61]
	v_add_f64 v[42:43], v[42:43], -v[46:47]
	v_add_f64 v[42:43], v[42:43], v[60:61]
	v_add_f64 v[46:47], v[62:63], v[42:43]
	v_add_f64 v[60:61], v[62:63], -v[46:47]
	v_add_f64 v[42:43], v[42:43], v[60:61]
	v_mul_f64 v[60:61], v[58:59], v[46:47]
	v_mul_f64 v[62:63], v[38:39], v[60:61]
	v_fma_f64 v[64:65], v[60:61], v[38:39], -v[62:63]
	v_fmac_f64_e32 v[64:65], v[60:61], v[40:41]
	v_add_f64 v[66:67], v[62:63], v[64:65]
	v_add_f64 v[68:69], v[46:47], -v[66:67]
	v_add_f64 v[46:47], v[46:47], -v[68:69]
	;; [unrolled: 1-line block ×4, first 2 shown]
	v_add_f64 v[42:43], v[42:43], v[46:47]
	v_add_f64 v[46:47], v[62:63], -v[64:65]
	v_add_f64 v[42:43], v[46:47], v[42:43]
	v_add_f64 v[42:43], v[68:69], v[42:43]
	;; [unrolled: 1-line block ×3, first 2 shown]
	v_mul_f64 v[42:43], v[58:59], v[42:43]
	v_add_f64 v[58:59], v[46:47], -v[58:59]
	v_add_f64 v[58:59], v[60:61], -v[58:59]
	v_add_f64 v[42:43], v[58:59], v[42:43]
	v_add_f64 v[58:59], v[46:47], v[42:43]
	v_add_f64 v[46:47], v[58:59], -v[46:47]
	v_add_f64 v[42:43], v[42:43], -v[46:47]
	;; [unrolled: 1-line block ×4, first 2 shown]
	v_add_f64 v[64:65], v[38:39], v[58:59]
	v_add_f64 v[60:61], v[60:61], -v[58:59]
	v_add_f64 v[38:39], v[64:65], -v[38:39]
	v_add_f64 v[60:61], v[40:41], v[60:61]
	v_add_f64 v[38:39], v[58:59], -v[38:39]
	v_add_f64 v[40:41], v[40:41], v[42:43]
	v_add_f64 v[38:39], v[40:41], v[38:39]
	;; [unrolled: 1-line block ×3, first 2 shown]
	v_add_f64 v[60:61], v[60:61], -v[42:43]
	v_rcp_f64_e32 v[42:43], v[40:41]
	v_add_f64 v[58:59], v[40:41], -v[64:65]
	v_add_f64 v[38:39], v[38:39], -v[58:59]
	v_add_f64 v[62:63], v[46:47], v[60:61]
	v_fma_f64 v[58:59], -v[40:41], v[42:43], 1.0
	v_fmac_f64_e32 v[42:43], v[58:59], v[42:43]
	v_fma_f64 v[58:59], -v[40:41], v[42:43], 1.0
	v_fmac_f64_e32 v[42:43], v[58:59], v[42:43]
	v_add_f64 v[46:47], v[62:63], -v[46:47]
	v_mul_f64 v[58:59], v[62:63], v[42:43]
	v_add_f64 v[46:47], v[60:61], -v[46:47]
	v_mul_f64 v[60:61], v[40:41], v[58:59]
	v_fma_f64 v[40:41], v[58:59], v[40:41], -v[60:61]
	v_fmac_f64_e32 v[40:41], v[58:59], v[38:39]
	v_add_f64 v[38:39], v[60:61], v[40:41]
	v_add_f64 v[60:61], v[38:39], -v[60:61]
	v_add_f64 v[40:41], v[40:41], -v[60:61]
	;; [unrolled: 1-line block ×6, first 2 shown]
	v_add_f64 v[38:39], v[46:47], v[38:39]
	v_add_f64 v[38:39], v[60:61], v[38:39]
	v_addc_co_u32_e32 v25, vcc, v3, v25, vcc
	v_mul_f64 v[38:39], v[42:43], v[38:39]
	v_add_f64 v[38:39], v[58:59], v[38:39]
	v_cmp_ngt_f64_e64 vcc, |v[48:49]|, s[80:81]
	v_and_b32_e32 v3, 0x7fffffff, v49
	v_cndmask_b32_e32 v39, v57, v39, vcc
	v_cndmask_b32_e32 v38, 0, v38, vcc
	v_cmp_lt_f64_e64 vcc, |v[48:49]|, s[82:83]
	v_cndmask_b32_e32 v3, v39, v3, vcc
	v_cndmask_b32_e32 v38, v38, v48, vcc
	v_bfi_b32 v39, s75, v3, v49
	v_mul_f64 v[40:41], v[38:39], v[50:51]
	v_mul_f64 v[42:43], v[32:33], v[50:51]
	v_fma_f64 v[38:39], -v[38:39], v[38:39], 1.0
	v_fmac_f64_e32 v[54:55], v[38:39], v[42:43]
	v_mul_f64 v[38:39], v[30:31], v[54:55]
	v_add_f64 v[48:49], -v[22:23], 1.0
	s_mov_b32 s0, 0
	v_mul_f64 v[38:39], v[48:49], v[38:39]
	v_mov_b32_e32 v3, s0
	v_readlane_b32 s0, v70, 0
	v_mul_f64 v[42:43], v[44:45], v[54:55]
	v_mul_f64 v[44:45], v[22:23], v[54:55]
	;; [unrolled: 1-line block ×3, first 2 shown]
	v_add_f64 v[38:39], -v[26:27], 1.0
	v_add_co_u32_e32 v0, vcc, s0, v0
	v_mul_f64 v[38:39], v[38:39], v[42:43]
	v_addc_co_u32_e32 v1, vcc, v1, v3, vcc
	v_mul_f64 v[46:47], v[26:27], v[54:55]
	v_mul_f64 v[26:27], v[26:27], v[38:39]
	v_add_f64 v[38:39], -v[32:33], 1.0
	v_cmp_le_i64_e32 vcc, s[10:11], v[0:1]
	v_fma_f64 v[30:31], -v[30:31], v[30:31], 1.0
	v_mul_f64 v[38:39], v[38:39], v[40:41]
	s_or_b64 s[68:69], vcc, s[68:69]
	v_mul_f64 v[30:31], v[30:31], v[44:45]
	v_mul_f64 v[32:33], v[32:33], v[38:39]
	global_store_dwordx2 v[24:25], v[22:23], off
	global_store_dwordx2 v[28:29], v[26:27], off
	;; [unrolled: 1-line block ×5, first 2 shown]
	s_andn2_b64 exec, exec, s[68:69]
	s_cbranch_execz .LBB19_64
.LBB19_4:                               ; =>This Inner Loop Header: Depth=1
	v_or_b32_e32 v3, s9, v1
	v_cmp_ne_u64_e32 vcc, 0, v[2:3]
                                        ; implicit-def: $vgpr30_vgpr31
	s_and_saveexec_b64 s[0:1], vcc
	s_xor_b64 s[84:85], exec, s[0:1]
	s_cbranch_execz .LBB19_6
; %bb.5:                                ;   in Loop: Header=BB19_4 Depth=1
	s_ashr_i32 s86, s9, 31
	s_add_u32 s0, s8, s86
	s_mov_b32 s87, s86
	s_addc_u32 s1, s9, s86
	s_xor_b64 s[88:89], s[0:1], s[86:87]
	v_cvt_f32_u32_e32 v3, s88
	v_cvt_f32_u32_e32 v22, s89
	s_sub_u32 s0, 0, s88
	s_subb_u32 s1, 0, s89
	v_mac_f32_e32 v3, 0x4f800000, v22
	v_rcp_f32_e32 v3, v3
	v_mul_f32_e32 v3, 0x5f7ffffc, v3
	v_mul_f32_e32 v22, 0x2f800000, v3
	v_trunc_f32_e32 v22, v22
	v_mac_f32_e32 v3, 0xcf800000, v22
	v_cvt_u32_f32_e32 v22, v22
	v_cvt_u32_f32_e32 v3, v3
	v_mul_lo_u32 v23, s0, v22
	v_mul_hi_u32 v25, s0, v3
	v_mul_lo_u32 v24, s1, v3
	v_add_u32_e32 v23, v25, v23
	v_mul_lo_u32 v26, s0, v3
	v_add_u32_e32 v23, v23, v24
	v_mul_lo_u32 v25, v3, v23
	v_mul_hi_u32 v27, v3, v26
	v_mul_hi_u32 v24, v3, v23
	v_add_co_u32_e32 v25, vcc, v27, v25
	v_addc_co_u32_e32 v24, vcc, 0, v24, vcc
	v_mul_hi_u32 v28, v22, v26
	v_mul_lo_u32 v26, v22, v26
	v_add_co_u32_e32 v25, vcc, v25, v26
	v_mul_hi_u32 v27, v22, v23
	v_addc_co_u32_e32 v24, vcc, v24, v28, vcc
	v_addc_co_u32_e32 v25, vcc, 0, v27, vcc
	v_mul_lo_u32 v23, v22, v23
	v_add_co_u32_e32 v23, vcc, v24, v23
	v_addc_co_u32_e32 v24, vcc, 0, v25, vcc
	v_add_co_u32_e32 v3, vcc, v3, v23
	v_addc_co_u32_e32 v22, vcc, v22, v24, vcc
	v_mul_lo_u32 v23, s0, v22
	v_mul_hi_u32 v24, s0, v3
	v_add_u32_e32 v23, v24, v23
	v_mul_lo_u32 v24, s1, v3
	v_add_u32_e32 v23, v23, v24
	v_mul_lo_u32 v25, s0, v3
	v_mul_hi_u32 v26, v22, v25
	v_mul_lo_u32 v27, v22, v25
	v_mul_lo_u32 v29, v3, v23
	v_mul_hi_u32 v25, v3, v25
	v_mul_hi_u32 v28, v3, v23
	v_add_co_u32_e32 v25, vcc, v25, v29
	v_addc_co_u32_e32 v28, vcc, 0, v28, vcc
	v_add_co_u32_e32 v25, vcc, v25, v27
	v_mul_hi_u32 v24, v22, v23
	v_addc_co_u32_e32 v25, vcc, v28, v26, vcc
	v_addc_co_u32_e32 v24, vcc, 0, v24, vcc
	v_mul_lo_u32 v23, v22, v23
	v_add_co_u32_e32 v23, vcc, v25, v23
	v_addc_co_u32_e32 v24, vcc, 0, v24, vcc
	v_add_co_u32_e32 v3, vcc, v3, v23
	v_addc_co_u32_e32 v24, vcc, v22, v24, vcc
	v_ashrrev_i32_e32 v26, 31, v1
	v_add_co_u32_e32 v22, vcc, v0, v26
	v_addc_co_u32_e32 v23, vcc, v1, v26, vcc
	v_xor_b32_e32 v28, v22, v26
	v_xor_b32_e32 v27, v23, v26
	v_mad_u64_u32 v[22:23], s[0:1], v28, v24, 0
	v_mul_hi_u32 v25, v28, v3
	v_add_co_u32_e32 v29, vcc, v25, v22
	v_addc_co_u32_e32 v30, vcc, 0, v23, vcc
	v_mad_u64_u32 v[22:23], s[0:1], v27, v24, 0
	v_mad_u64_u32 v[24:25], s[0:1], v27, v3, 0
	v_add_co_u32_e32 v3, vcc, v29, v24
	v_addc_co_u32_e32 v3, vcc, v30, v25, vcc
	v_addc_co_u32_e32 v23, vcc, 0, v23, vcc
	v_add_co_u32_e32 v3, vcc, v3, v22
	v_addc_co_u32_e32 v24, vcc, 0, v23, vcc
	v_mul_lo_u32 v25, s89, v3
	v_mul_lo_u32 v29, s88, v24
	v_mad_u64_u32 v[22:23], s[0:1], s88, v3, 0
	v_add3_u32 v23, v23, v29, v25
	v_sub_u32_e32 v25, v27, v23
	v_mov_b32_e32 v29, s89
	v_sub_co_u32_e32 v22, vcc, v28, v22
	v_subb_co_u32_e64 v25, s[0:1], v25, v29, vcc
	v_subrev_co_u32_e64 v28, s[0:1], s88, v22
	v_subbrev_co_u32_e64 v25, s[0:1], 0, v25, s[0:1]
	v_cmp_le_u32_e64 s[0:1], s89, v25
	v_cndmask_b32_e64 v29, 0, -1, s[0:1]
	v_cmp_le_u32_e64 s[0:1], s88, v28
	v_cndmask_b32_e64 v28, 0, -1, s[0:1]
	v_cmp_eq_u32_e64 s[0:1], s89, v25
	v_cndmask_b32_e64 v25, v29, v28, s[0:1]
	v_add_co_u32_e64 v28, s[0:1], 2, v3
	v_subb_co_u32_e32 v23, vcc, v27, v23, vcc
	v_addc_co_u32_e64 v29, s[0:1], 0, v24, s[0:1]
	v_cmp_le_u32_e32 vcc, s89, v23
	v_add_co_u32_e64 v30, s[0:1], 1, v3
	v_cndmask_b32_e64 v27, 0, -1, vcc
	v_cmp_le_u32_e32 vcc, s88, v22
	v_addc_co_u32_e64 v31, s[0:1], 0, v24, s[0:1]
	v_cndmask_b32_e64 v22, 0, -1, vcc
	v_cmp_eq_u32_e32 vcc, s89, v23
	v_cmp_ne_u32_e64 s[0:1], 0, v25
	v_cndmask_b32_e32 v22, v27, v22, vcc
	v_cmp_ne_u32_e32 vcc, 0, v22
	v_cndmask_b32_e64 v23, v30, v28, s[0:1]
	v_cndmask_b32_e64 v25, v31, v29, s[0:1]
	v_cndmask_b32_e32 v3, v3, v23, vcc
	v_xor_b32_e32 v23, s86, v26
	v_cndmask_b32_e32 v22, v24, v25, vcc
	v_xor_b32_e32 v3, v3, v23
	v_xor_b32_e32 v22, v22, v23
	v_sub_co_u32_e32 v30, vcc, v3, v23
	v_subb_co_u32_e32 v31, vcc, v22, v23, vcc
.LBB19_6:                               ;   in Loop: Header=BB19_4 Depth=1
	s_andn2_saveexec_b64 s[0:1], s[84:85]
	s_cbranch_execz .LBB19_8
; %bb.7:                                ;   in Loop: Header=BB19_4 Depth=1
	s_sub_i32 s84, 0, s8
	v_mul_lo_u32 v3, s84, v56
	v_mul_hi_u32 v3, v56, v3
	v_add_u32_e32 v3, v56, v3
	v_mul_hi_u32 v3, v0, v3
	v_mul_lo_u32 v22, v3, s8
	v_sub_u32_e32 v22, v0, v22
	v_subrev_u32_e32 v23, s8, v22
	v_cmp_le_u32_e32 vcc, s8, v22
	v_cndmask_b32_e32 v22, v22, v23, vcc
	v_add_u32_e32 v23, 1, v3
	v_cndmask_b32_e32 v3, v3, v23, vcc
	v_add_u32_e32 v23, 1, v3
	v_cmp_le_u32_e32 vcc, s8, v22
	v_cndmask_b32_e32 v30, v3, v23, vcc
	v_mov_b32_e32 v31, v2
.LBB19_8:                               ;   in Loop: Header=BB19_4 Depth=1
	s_or_b64 exec, exec, s[0:1]
	v_mul_lo_u32 v26, s91, v30
	v_mul_lo_u32 v27, s92, v31
	v_mad_u64_u32 v[40:41], s[0:1], s92, v30, v[0:1]
	v_add3_u32 v41, v26, v41, v27
	v_or_b32_e32 v3, s35, v41
	v_cmp_ne_u64_e32 vcc, 0, v[2:3]
	v_ashrrev_i32_e32 v46, 31, v41
                                        ; implicit-def: $vgpr22_vgpr23
	s_and_saveexec_b64 s[0:1], vcc
	s_xor_b64 s[84:85], exec, s[0:1]
	s_cbranch_execz .LBB19_10
; %bb.9:                                ;   in Loop: Header=BB19_4 Depth=1
	s_ashr_i32 s86, s35, 31
	s_add_u32 s0, s34, s86
	s_mov_b32 s87, s86
	s_addc_u32 s1, s35, s86
	s_xor_b64 s[88:89], s[0:1], s[86:87]
	v_cvt_f32_u32_e32 v3, s88
	v_cvt_f32_u32_e32 v22, s89
	s_sub_u32 s0, 0, s88
	s_subb_u32 s1, 0, s89
	v_mac_f32_e32 v3, 0x4f800000, v22
	v_rcp_f32_e32 v3, v3
	v_mul_f32_e32 v3, 0x5f7ffffc, v3
	v_mul_f32_e32 v22, 0x2f800000, v3
	v_trunc_f32_e32 v22, v22
	v_mac_f32_e32 v3, 0xcf800000, v22
	v_cvt_u32_f32_e32 v22, v22
	v_cvt_u32_f32_e32 v3, v3
	v_mul_lo_u32 v23, s0, v22
	v_mul_hi_u32 v25, s0, v3
	v_mul_lo_u32 v24, s1, v3
	v_add_u32_e32 v23, v25, v23
	v_mul_lo_u32 v28, s0, v3
	v_add_u32_e32 v23, v23, v24
	v_mul_lo_u32 v25, v3, v23
	v_mul_hi_u32 v29, v3, v28
	v_mul_hi_u32 v24, v3, v23
	v_add_co_u32_e32 v25, vcc, v29, v25
	v_addc_co_u32_e32 v24, vcc, 0, v24, vcc
	v_mul_hi_u32 v32, v22, v28
	v_mul_lo_u32 v28, v22, v28
	v_add_co_u32_e32 v25, vcc, v25, v28
	v_mul_hi_u32 v29, v22, v23
	v_addc_co_u32_e32 v24, vcc, v24, v32, vcc
	v_addc_co_u32_e32 v25, vcc, 0, v29, vcc
	v_mul_lo_u32 v23, v22, v23
	v_add_co_u32_e32 v23, vcc, v24, v23
	v_addc_co_u32_e32 v24, vcc, 0, v25, vcc
	v_add_co_u32_e32 v3, vcc, v3, v23
	v_addc_co_u32_e32 v22, vcc, v22, v24, vcc
	v_mul_lo_u32 v23, s0, v22
	v_mul_hi_u32 v24, s0, v3
	v_add_u32_e32 v23, v24, v23
	v_mul_lo_u32 v24, s1, v3
	v_add_u32_e32 v23, v23, v24
	v_mul_lo_u32 v25, s0, v3
	v_mul_hi_u32 v28, v22, v25
	v_mul_lo_u32 v29, v22, v25
	v_mul_lo_u32 v33, v3, v23
	v_mul_hi_u32 v25, v3, v25
	v_mul_hi_u32 v32, v3, v23
	v_add_co_u32_e32 v25, vcc, v25, v33
	v_addc_co_u32_e32 v32, vcc, 0, v32, vcc
	v_add_co_u32_e32 v25, vcc, v25, v29
	v_mul_hi_u32 v24, v22, v23
	v_addc_co_u32_e32 v25, vcc, v32, v28, vcc
	v_addc_co_u32_e32 v24, vcc, 0, v24, vcc
	v_mul_lo_u32 v23, v22, v23
	v_add_co_u32_e32 v23, vcc, v25, v23
	v_addc_co_u32_e32 v24, vcc, 0, v24, vcc
	v_add_co_u32_e32 v3, vcc, v3, v23
	v_addc_co_u32_e32 v24, vcc, v22, v24, vcc
	;; [unrolled: 2-line block ×3, first 2 shown]
	v_xor_b32_e32 v29, v22, v46
	v_xor_b32_e32 v28, v23, v46
	v_mad_u64_u32 v[22:23], s[0:1], v29, v24, 0
	v_mul_hi_u32 v25, v29, v3
	v_add_co_u32_e32 v32, vcc, v25, v22
	v_addc_co_u32_e32 v33, vcc, 0, v23, vcc
	v_mad_u64_u32 v[22:23], s[0:1], v28, v24, 0
	v_mad_u64_u32 v[24:25], s[0:1], v28, v3, 0
	v_add_co_u32_e32 v3, vcc, v32, v24
	v_addc_co_u32_e32 v3, vcc, v33, v25, vcc
	v_addc_co_u32_e32 v23, vcc, 0, v23, vcc
	v_add_co_u32_e32 v3, vcc, v3, v22
	v_addc_co_u32_e32 v24, vcc, 0, v23, vcc
	v_mul_lo_u32 v25, s89, v3
	v_mul_lo_u32 v32, s88, v24
	v_mad_u64_u32 v[22:23], s[0:1], s88, v3, 0
	v_add3_u32 v23, v23, v32, v25
	v_sub_u32_e32 v25, v28, v23
	v_mov_b32_e32 v32, s89
	v_sub_co_u32_e32 v22, vcc, v29, v22
	v_subb_co_u32_e64 v25, s[0:1], v25, v32, vcc
	v_subrev_co_u32_e64 v29, s[0:1], s88, v22
	v_subbrev_co_u32_e64 v25, s[0:1], 0, v25, s[0:1]
	v_cmp_le_u32_e64 s[0:1], s89, v25
	v_cndmask_b32_e64 v32, 0, -1, s[0:1]
	v_cmp_le_u32_e64 s[0:1], s88, v29
	v_cndmask_b32_e64 v29, 0, -1, s[0:1]
	v_cmp_eq_u32_e64 s[0:1], s89, v25
	v_cndmask_b32_e64 v25, v32, v29, s[0:1]
	v_add_co_u32_e64 v29, s[0:1], 2, v3
	v_subb_co_u32_e32 v23, vcc, v28, v23, vcc
	v_addc_co_u32_e64 v32, s[0:1], 0, v24, s[0:1]
	v_cmp_le_u32_e32 vcc, s89, v23
	v_add_co_u32_e64 v33, s[0:1], 1, v3
	v_cndmask_b32_e64 v28, 0, -1, vcc
	v_cmp_le_u32_e32 vcc, s88, v22
	v_addc_co_u32_e64 v34, s[0:1], 0, v24, s[0:1]
	v_cndmask_b32_e64 v22, 0, -1, vcc
	v_cmp_eq_u32_e32 vcc, s89, v23
	v_cmp_ne_u32_e64 s[0:1], 0, v25
	v_cndmask_b32_e32 v22, v28, v22, vcc
	v_cmp_ne_u32_e32 vcc, 0, v22
	v_cndmask_b32_e64 v23, v33, v29, s[0:1]
	v_cndmask_b32_e64 v25, v34, v32, s[0:1]
	v_cndmask_b32_e32 v3, v3, v23, vcc
	v_xor_b32_e32 v23, s86, v46
	v_cndmask_b32_e32 v22, v24, v25, vcc
	v_xor_b32_e32 v3, v3, v23
	v_xor_b32_e32 v24, v22, v23
	v_sub_co_u32_e32 v22, vcc, v3, v23
	v_subb_co_u32_e32 v23, vcc, v24, v23, vcc
.LBB19_10:                              ;   in Loop: Header=BB19_4 Depth=1
	s_or_saveexec_b64 s[0:1], s[84:85]
	v_cvt_f32_u32_e32 v36, s34
	s_xor_b64 exec, exec, s[0:1]
	s_cbranch_execz .LBB19_12
; %bb.11:                               ;   in Loop: Header=BB19_4 Depth=1
	v_rcp_iflag_f32_e32 v3, v36
	s_sub_i32 s84, 0, s34
	v_mul_f32_e32 v3, 0x4f7ffffe, v3
	v_cvt_u32_f32_e32 v3, v3
	v_mul_lo_u32 v22, s84, v3
	v_mul_hi_u32 v22, v3, v22
	v_add_u32_e32 v3, v3, v22
	v_mul_hi_u32 v3, v40, v3
	v_mul_lo_u32 v22, v3, s34
	v_sub_u32_e32 v22, v40, v22
	v_add_u32_e32 v23, 1, v3
	v_subrev_u32_e32 v24, s34, v22
	v_cmp_le_u32_e32 vcc, s34, v22
	v_cndmask_b32_e32 v22, v22, v24, vcc
	v_cndmask_b32_e32 v3, v3, v23, vcc
	v_add_u32_e32 v23, 1, v3
	v_cmp_le_u32_e32 vcc, s34, v22
	v_cndmask_b32_e32 v22, v3, v23, vcc
	v_mov_b32_e32 v23, v2
.LBB19_12:                              ;   in Loop: Header=BB19_4 Depth=1
	s_or_b64 exec, exec, s[0:1]
	v_mad_u64_u32 v[24:25], s[0:1], s92, v30, 0
	v_add3_u32 v25, v25, v27, v26
	v_mul_lo_u32 v3, v23, s34
	v_mul_lo_u32 v28, v22, s35
	v_mad_u64_u32 v[26:27], s[0:1], v22, s34, 0
	v_add3_u32 v3, v27, v28, v3
	v_sub_co_u32_e32 v26, vcc, v24, v26
	v_subb_co_u32_e32 v3, vcc, v25, v3, vcc
	v_add_co_u32_e32 v26, vcc, v0, v26
	v_addc_co_u32_e32 v3, vcc, v1, v3, vcc
	v_mul_lo_u32 v3, v3, s14
	v_mul_lo_u32 v28, v26, s15
	v_mad_u64_u32 v[26:27], s[0:1], v26, s14, 0
	v_add3_u32 v27, v27, v28, v3
	v_mul_lo_u32 v3, v23, s12
	v_mul_lo_u32 v28, v22, s13
	v_mad_u64_u32 v[22:23], s[0:1], v22, s12, 0
	v_add3_u32 v23, v23, v28, v3
	v_lshlrev_b64 v[22:23], 3, v[22:23]
	v_mov_b32_e32 v3, s3
	v_add_co_u32_e32 v28, vcc, s2, v22
	v_addc_co_u32_e32 v3, vcc, v3, v23, vcc
	v_lshlrev_b64 v[22:23], 3, v[26:27]
	v_add_co_u32_e32 v22, vcc, v28, v22
	v_addc_co_u32_e32 v23, vcc, v3, v23, vcc
	global_load_dwordx2 v[22:23], v[22:23], off
	v_lshl_add_u32 v31, v31, 1, v31
	v_mad_u64_u32 v[26:27], s[0:1], v30, 3, 1
	v_add_u32_e32 v3, v31, v27
	v_mul_lo_u32 v27, s9, v26
	v_mul_lo_u32 v34, s8, v3
	v_mad_u64_u32 v[42:43], s[0:1], s8, v26, v[0:1]
	v_add3_u32 v43, v27, v43, v34
	v_or_b32_e32 v3, s35, v43
	v_cmp_ne_u64_e32 vcc, 0, v[2:3]
	v_ashrrev_i32_e32 v47, 31, v43
                                        ; implicit-def: $vgpr32_vgpr33
	s_and_saveexec_b64 s[0:1], vcc
	s_xor_b64 s[84:85], exec, s[0:1]
	s_cbranch_execz .LBB19_14
; %bb.13:                               ;   in Loop: Header=BB19_4 Depth=1
	s_ashr_i32 s86, s35, 31
	s_add_u32 s0, s34, s86
	s_mov_b32 s87, s86
	s_addc_u32 s1, s35, s86
	s_xor_b64 s[88:89], s[0:1], s[86:87]
	v_cvt_f32_u32_e32 v3, s88
	v_cvt_f32_u32_e32 v28, s89
	s_sub_u32 s0, 0, s88
	s_subb_u32 s1, 0, s89
	v_mac_f32_e32 v3, 0x4f800000, v28
	v_rcp_f32_e32 v3, v3
	v_mul_f32_e32 v3, 0x5f7ffffc, v3
	v_mul_f32_e32 v28, 0x2f800000, v3
	v_trunc_f32_e32 v28, v28
	v_mac_f32_e32 v3, 0xcf800000, v28
	v_cvt_u32_f32_e32 v28, v28
	v_cvt_u32_f32_e32 v3, v3
	v_mul_lo_u32 v29, s0, v28
	v_mul_hi_u32 v33, s0, v3
	v_mul_lo_u32 v32, s1, v3
	v_add_u32_e32 v29, v33, v29
	v_mul_lo_u32 v35, s0, v3
	v_add_u32_e32 v29, v29, v32
	v_mul_lo_u32 v33, v3, v29
	v_mul_hi_u32 v37, v3, v35
	v_mul_hi_u32 v32, v3, v29
	v_add_co_u32_e32 v33, vcc, v37, v33
	v_addc_co_u32_e32 v32, vcc, 0, v32, vcc
	v_mul_hi_u32 v38, v28, v35
	v_mul_lo_u32 v35, v28, v35
	v_add_co_u32_e32 v33, vcc, v33, v35
	v_mul_hi_u32 v37, v28, v29
	v_addc_co_u32_e32 v32, vcc, v32, v38, vcc
	v_addc_co_u32_e32 v33, vcc, 0, v37, vcc
	v_mul_lo_u32 v29, v28, v29
	v_add_co_u32_e32 v29, vcc, v32, v29
	v_addc_co_u32_e32 v32, vcc, 0, v33, vcc
	v_add_co_u32_e32 v3, vcc, v3, v29
	v_addc_co_u32_e32 v28, vcc, v28, v32, vcc
	v_mul_lo_u32 v29, s0, v28
	v_mul_hi_u32 v32, s0, v3
	v_add_u32_e32 v29, v32, v29
	v_mul_lo_u32 v32, s1, v3
	v_add_u32_e32 v29, v29, v32
	v_mul_lo_u32 v33, s0, v3
	v_mul_hi_u32 v35, v28, v33
	v_mul_lo_u32 v37, v28, v33
	v_mul_lo_u32 v39, v3, v29
	v_mul_hi_u32 v33, v3, v33
	v_mul_hi_u32 v38, v3, v29
	v_add_co_u32_e32 v33, vcc, v33, v39
	v_addc_co_u32_e32 v38, vcc, 0, v38, vcc
	v_add_co_u32_e32 v33, vcc, v33, v37
	v_mul_hi_u32 v32, v28, v29
	v_addc_co_u32_e32 v33, vcc, v38, v35, vcc
	v_addc_co_u32_e32 v32, vcc, 0, v32, vcc
	v_mul_lo_u32 v29, v28, v29
	v_add_co_u32_e32 v29, vcc, v33, v29
	v_addc_co_u32_e32 v32, vcc, 0, v32, vcc
	v_add_co_u32_e32 v3, vcc, v3, v29
	v_addc_co_u32_e32 v32, vcc, v28, v32, vcc
	;; [unrolled: 2-line block ×3, first 2 shown]
	v_xor_b32_e32 v37, v28, v47
	v_xor_b32_e32 v35, v29, v47
	v_mad_u64_u32 v[28:29], s[0:1], v37, v32, 0
	v_mul_hi_u32 v33, v37, v3
	v_add_co_u32_e32 v38, vcc, v33, v28
	v_addc_co_u32_e32 v39, vcc, 0, v29, vcc
	v_mad_u64_u32 v[28:29], s[0:1], v35, v32, 0
	v_mad_u64_u32 v[32:33], s[0:1], v35, v3, 0
	v_add_co_u32_e32 v3, vcc, v38, v32
	v_addc_co_u32_e32 v3, vcc, v39, v33, vcc
	v_addc_co_u32_e32 v29, vcc, 0, v29, vcc
	v_add_co_u32_e32 v3, vcc, v3, v28
	v_addc_co_u32_e32 v32, vcc, 0, v29, vcc
	v_mul_lo_u32 v33, s89, v3
	v_mul_lo_u32 v38, s88, v32
	v_mad_u64_u32 v[28:29], s[0:1], s88, v3, 0
	v_add3_u32 v29, v29, v38, v33
	v_sub_u32_e32 v33, v35, v29
	v_mov_b32_e32 v38, s89
	v_sub_co_u32_e32 v28, vcc, v37, v28
	v_subb_co_u32_e64 v33, s[0:1], v33, v38, vcc
	v_subrev_co_u32_e64 v37, s[0:1], s88, v28
	v_subbrev_co_u32_e64 v33, s[0:1], 0, v33, s[0:1]
	v_cmp_le_u32_e64 s[0:1], s89, v33
	v_cndmask_b32_e64 v38, 0, -1, s[0:1]
	v_cmp_le_u32_e64 s[0:1], s88, v37
	v_cndmask_b32_e64 v37, 0, -1, s[0:1]
	v_cmp_eq_u32_e64 s[0:1], s89, v33
	v_cndmask_b32_e64 v33, v38, v37, s[0:1]
	v_add_co_u32_e64 v37, s[0:1], 2, v3
	v_subb_co_u32_e32 v29, vcc, v35, v29, vcc
	v_addc_co_u32_e64 v38, s[0:1], 0, v32, s[0:1]
	v_cmp_le_u32_e32 vcc, s89, v29
	v_add_co_u32_e64 v39, s[0:1], 1, v3
	v_cndmask_b32_e64 v35, 0, -1, vcc
	v_cmp_le_u32_e32 vcc, s88, v28
	v_addc_co_u32_e64 v44, s[0:1], 0, v32, s[0:1]
	v_cndmask_b32_e64 v28, 0, -1, vcc
	v_cmp_eq_u32_e32 vcc, s89, v29
	v_cmp_ne_u32_e64 s[0:1], 0, v33
	v_cndmask_b32_e32 v28, v35, v28, vcc
	v_cmp_ne_u32_e32 vcc, 0, v28
	v_cndmask_b32_e64 v29, v39, v37, s[0:1]
	v_cndmask_b32_e64 v33, v44, v38, s[0:1]
	v_cndmask_b32_e32 v3, v3, v29, vcc
	v_xor_b32_e32 v29, s86, v47
	v_cndmask_b32_e32 v28, v32, v33, vcc
	v_xor_b32_e32 v3, v3, v29
	v_xor_b32_e32 v28, v28, v29
	v_sub_co_u32_e32 v32, vcc, v3, v29
	v_subb_co_u32_e32 v33, vcc, v28, v29, vcc
.LBB19_14:                              ;   in Loop: Header=BB19_4 Depth=1
	s_andn2_saveexec_b64 s[0:1], s[84:85]
	s_cbranch_execz .LBB19_16
; %bb.15:                               ;   in Loop: Header=BB19_4 Depth=1
	v_rcp_iflag_f32_e32 v3, v36
	s_sub_i32 s84, 0, s34
	v_mov_b32_e32 v33, v2
	v_mul_f32_e32 v3, 0x4f7ffffe, v3
	v_cvt_u32_f32_e32 v3, v3
	v_mul_lo_u32 v28, s84, v3
	v_mul_hi_u32 v28, v3, v28
	v_add_u32_e32 v3, v3, v28
	v_mul_hi_u32 v3, v42, v3
	v_mul_lo_u32 v28, v3, s34
	v_sub_u32_e32 v28, v42, v28
	v_add_u32_e32 v29, 1, v3
	v_subrev_u32_e32 v32, s34, v28
	v_cmp_le_u32_e32 vcc, s34, v28
	v_cndmask_b32_e32 v28, v28, v32, vcc
	v_cndmask_b32_e32 v3, v3, v29, vcc
	v_add_u32_e32 v29, 1, v3
	v_cmp_le_u32_e32 vcc, s34, v28
	v_cndmask_b32_e32 v32, v3, v29, vcc
.LBB19_16:                              ;   in Loop: Header=BB19_4 Depth=1
	s_or_b64 exec, exec, s[0:1]
	v_mad_u64_u32 v[28:29], s[0:1], s8, v26, 0
	v_add3_u32 v29, v29, v34, v27
	v_mul_lo_u32 v3, v33, s34
	v_mul_lo_u32 v34, v32, s35
	v_mad_u64_u32 v[26:27], s[0:1], v32, s34, 0
	v_add3_u32 v3, v27, v34, v3
	v_sub_co_u32_e32 v26, vcc, v28, v26
	v_subb_co_u32_e32 v3, vcc, v29, v3, vcc
	v_add_co_u32_e32 v26, vcc, v0, v26
	v_addc_co_u32_e32 v3, vcc, v1, v3, vcc
	v_mul_lo_u32 v3, v3, s14
	v_mul_lo_u32 v34, v26, s15
	v_mad_u64_u32 v[26:27], s[0:1], v26, s14, 0
	v_add3_u32 v27, v27, v34, v3
	v_mul_lo_u32 v3, v33, s12
	v_mul_lo_u32 v34, v32, s13
	v_mad_u64_u32 v[32:33], s[0:1], v32, s12, 0
	v_add3_u32 v33, v33, v34, v3
	v_lshlrev_b64 v[32:33], 3, v[32:33]
	v_mov_b32_e32 v3, s3
	v_add_co_u32_e32 v32, vcc, s2, v32
	v_addc_co_u32_e32 v3, vcc, v3, v33, vcc
	v_lshlrev_b64 v[26:27], 3, v[26:27]
	v_add_co_u32_e32 v26, vcc, v32, v26
	v_addc_co_u32_e32 v27, vcc, v3, v27, vcc
	global_load_dwordx2 v[26:27], v[26:27], off
	v_mad_u64_u32 v[32:33], s[0:1], v30, 3, 0
	v_add_u32_e32 v33, v33, v31
	v_add_co_u32_e32 v34, vcc, 2, v32
	v_addc_co_u32_e32 v3, vcc, 0, v33, vcc
	v_mul_lo_u32 v37, s9, v34
	v_mul_lo_u32 v38, s8, v3
	v_mad_u64_u32 v[44:45], s[0:1], s8, v34, v[0:1]
	v_add3_u32 v45, v37, v45, v38
	v_or_b32_e32 v3, s35, v45
	v_cmp_ne_u64_e32 vcc, 0, v[2:3]
	v_ashrrev_i32_e32 v50, 31, v45
                                        ; implicit-def: $vgpr30_vgpr31
	s_and_saveexec_b64 s[0:1], vcc
	s_xor_b64 s[84:85], exec, s[0:1]
	s_cbranch_execz .LBB19_18
; %bb.17:                               ;   in Loop: Header=BB19_4 Depth=1
	s_ashr_i32 s86, s35, 31
	s_add_u32 s0, s34, s86
	s_mov_b32 s87, s86
	s_addc_u32 s1, s35, s86
	s_xor_b64 s[88:89], s[0:1], s[86:87]
	v_cvt_f32_u32_e32 v3, s88
	v_cvt_f32_u32_e32 v30, s89
	s_sub_u32 s0, 0, s88
	s_subb_u32 s1, 0, s89
	v_mac_f32_e32 v3, 0x4f800000, v30
	v_rcp_f32_e32 v3, v3
	v_mul_f32_e32 v3, 0x5f7ffffc, v3
	v_mul_f32_e32 v30, 0x2f800000, v3
	v_trunc_f32_e32 v30, v30
	v_mac_f32_e32 v3, 0xcf800000, v30
	v_cvt_u32_f32_e32 v30, v30
	v_cvt_u32_f32_e32 v3, v3
	v_mul_lo_u32 v31, s0, v30
	v_mul_hi_u32 v39, s0, v3
	v_mul_lo_u32 v35, s1, v3
	v_add_u32_e32 v31, v39, v31
	v_mul_lo_u32 v48, s0, v3
	v_add_u32_e32 v31, v31, v35
	v_mul_lo_u32 v39, v3, v31
	v_mul_hi_u32 v49, v3, v48
	v_mul_hi_u32 v35, v3, v31
	v_add_co_u32_e32 v39, vcc, v49, v39
	v_addc_co_u32_e32 v35, vcc, 0, v35, vcc
	v_mul_hi_u32 v51, v30, v48
	v_mul_lo_u32 v48, v30, v48
	v_add_co_u32_e32 v39, vcc, v39, v48
	v_mul_hi_u32 v49, v30, v31
	v_addc_co_u32_e32 v35, vcc, v35, v51, vcc
	v_addc_co_u32_e32 v39, vcc, 0, v49, vcc
	v_mul_lo_u32 v31, v30, v31
	v_add_co_u32_e32 v31, vcc, v35, v31
	v_addc_co_u32_e32 v35, vcc, 0, v39, vcc
	v_add_co_u32_e32 v3, vcc, v3, v31
	v_addc_co_u32_e32 v30, vcc, v30, v35, vcc
	v_mul_lo_u32 v31, s0, v30
	v_mul_hi_u32 v35, s0, v3
	v_add_u32_e32 v31, v35, v31
	v_mul_lo_u32 v35, s1, v3
	v_add_u32_e32 v31, v31, v35
	v_mul_lo_u32 v39, s0, v3
	v_mul_hi_u32 v48, v30, v39
	v_mul_lo_u32 v49, v30, v39
	v_mul_lo_u32 v52, v3, v31
	v_mul_hi_u32 v39, v3, v39
	v_mul_hi_u32 v51, v3, v31
	v_add_co_u32_e32 v39, vcc, v39, v52
	v_addc_co_u32_e32 v51, vcc, 0, v51, vcc
	v_add_co_u32_e32 v39, vcc, v39, v49
	v_mul_hi_u32 v35, v30, v31
	v_addc_co_u32_e32 v39, vcc, v51, v48, vcc
	v_addc_co_u32_e32 v35, vcc, 0, v35, vcc
	v_mul_lo_u32 v31, v30, v31
	v_add_co_u32_e32 v31, vcc, v39, v31
	v_addc_co_u32_e32 v35, vcc, 0, v35, vcc
	v_add_co_u32_e32 v3, vcc, v3, v31
	v_addc_co_u32_e32 v35, vcc, v30, v35, vcc
	;; [unrolled: 2-line block ×3, first 2 shown]
	v_xor_b32_e32 v51, v30, v50
	v_xor_b32_e32 v39, v31, v50
	v_mad_u64_u32 v[30:31], s[0:1], v51, v35, 0
	v_mul_hi_u32 v48, v51, v3
	v_add_co_u32_e32 v52, vcc, v48, v30
	v_addc_co_u32_e32 v53, vcc, 0, v31, vcc
	v_mad_u64_u32 v[48:49], s[0:1], v39, v3, 0
	v_add_co_u32_e32 v3, vcc, v52, v48
	v_mad_u64_u32 v[30:31], s[0:1], v39, v35, 0
	v_addc_co_u32_e32 v3, vcc, v53, v49, vcc
	v_addc_co_u32_e32 v31, vcc, 0, v31, vcc
	v_add_co_u32_e32 v3, vcc, v3, v30
	v_addc_co_u32_e32 v35, vcc, 0, v31, vcc
	v_mul_lo_u32 v48, s89, v3
	v_mul_lo_u32 v49, s88, v35
	v_mad_u64_u32 v[30:31], s[0:1], s88, v3, 0
	v_add3_u32 v31, v31, v49, v48
	v_sub_u32_e32 v48, v39, v31
	v_mov_b32_e32 v49, s89
	v_sub_co_u32_e32 v30, vcc, v51, v30
	v_subb_co_u32_e64 v48, s[0:1], v48, v49, vcc
	v_subrev_co_u32_e64 v49, s[0:1], s88, v30
	v_subbrev_co_u32_e64 v48, s[0:1], 0, v48, s[0:1]
	v_cmp_le_u32_e64 s[0:1], s89, v48
	v_cndmask_b32_e64 v51, 0, -1, s[0:1]
	v_cmp_le_u32_e64 s[0:1], s88, v49
	v_cndmask_b32_e64 v49, 0, -1, s[0:1]
	v_cmp_eq_u32_e64 s[0:1], s89, v48
	v_cndmask_b32_e64 v48, v51, v49, s[0:1]
	v_add_co_u32_e64 v49, s[0:1], 2, v3
	v_subb_co_u32_e32 v31, vcc, v39, v31, vcc
	v_addc_co_u32_e64 v51, s[0:1], 0, v35, s[0:1]
	v_cmp_le_u32_e32 vcc, s89, v31
	v_add_co_u32_e64 v52, s[0:1], 1, v3
	v_cndmask_b32_e64 v39, 0, -1, vcc
	v_cmp_le_u32_e32 vcc, s88, v30
	v_addc_co_u32_e64 v53, s[0:1], 0, v35, s[0:1]
	v_cndmask_b32_e64 v30, 0, -1, vcc
	v_cmp_eq_u32_e32 vcc, s89, v31
	v_cmp_ne_u32_e64 s[0:1], 0, v48
	v_cndmask_b32_e32 v30, v39, v30, vcc
	v_cmp_ne_u32_e32 vcc, 0, v30
	v_cndmask_b32_e64 v31, v52, v49, s[0:1]
	v_cndmask_b32_e64 v48, v53, v51, s[0:1]
	v_cndmask_b32_e32 v3, v3, v31, vcc
	v_xor_b32_e32 v31, s86, v50
	v_cndmask_b32_e32 v30, v35, v48, vcc
	v_xor_b32_e32 v3, v3, v31
	v_xor_b32_e32 v35, v30, v31
	v_sub_co_u32_e32 v30, vcc, v3, v31
	v_subb_co_u32_e32 v31, vcc, v35, v31, vcc
.LBB19_18:                              ;   in Loop: Header=BB19_4 Depth=1
	s_andn2_saveexec_b64 s[0:1], s[84:85]
	s_cbranch_execz .LBB19_20
; %bb.19:                               ;   in Loop: Header=BB19_4 Depth=1
	v_rcp_iflag_f32_e32 v3, v36
	s_sub_i32 s84, 0, s34
	v_mul_f32_e32 v3, 0x4f7ffffe, v3
	v_cvt_u32_f32_e32 v3, v3
	v_mul_lo_u32 v30, s84, v3
	v_mul_hi_u32 v30, v3, v30
	v_add_u32_e32 v3, v3, v30
	v_mul_hi_u32 v3, v44, v3
	v_mul_lo_u32 v30, v3, s34
	v_sub_u32_e32 v30, v44, v30
	v_add_u32_e32 v31, 1, v3
	v_subrev_u32_e32 v35, s34, v30
	v_cmp_le_u32_e32 vcc, s34, v30
	v_cndmask_b32_e32 v30, v30, v35, vcc
	v_cndmask_b32_e32 v3, v3, v31, vcc
	v_add_u32_e32 v31, 1, v3
	v_cmp_le_u32_e32 vcc, s34, v30
	v_cndmask_b32_e32 v30, v3, v31, vcc
	v_mov_b32_e32 v31, v2
.LBB19_20:                              ;   in Loop: Header=BB19_4 Depth=1
	s_or_b64 exec, exec, s[0:1]
	v_mad_u64_u32 v[34:35], s[0:1], s8, v34, 0
	v_add3_u32 v35, v35, v38, v37
	v_mul_lo_u32 v3, v31, s34
	v_mul_lo_u32 v37, v30, s35
	v_mad_u64_u32 v[38:39], s[0:1], v30, s34, 0
	v_add3_u32 v3, v39, v37, v3
	v_sub_co_u32_e32 v37, vcc, v34, v38
	v_subb_co_u32_e32 v3, vcc, v35, v3, vcc
	v_add_co_u32_e32 v37, vcc, v0, v37
	v_addc_co_u32_e32 v3, vcc, v1, v3, vcc
	v_mul_lo_u32 v3, v3, s14
	v_mul_lo_u32 v48, v37, s15
	v_mad_u64_u32 v[38:39], s[0:1], v37, s14, 0
	v_add3_u32 v39, v39, v48, v3
	v_mul_lo_u32 v3, v31, s12
	v_mul_lo_u32 v37, v30, s13
	v_mad_u64_u32 v[30:31], s[0:1], v30, s12, 0
	v_add3_u32 v31, v31, v37, v3
	v_lshlrev_b64 v[30:31], 3, v[30:31]
	v_mov_b32_e32 v3, s3
	v_add_co_u32_e32 v37, vcc, s2, v30
	v_addc_co_u32_e32 v3, vcc, v3, v31, vcc
	v_lshlrev_b64 v[30:31], 3, v[38:39]
	v_add_co_u32_e32 v30, vcc, v37, v30
	v_addc_co_u32_e32 v31, vcc, v3, v31, vcc
	global_load_dwordx2 v[30:31], v[30:31], off
	v_add_co_u32_e32 v37, vcc, 3, v32
	v_addc_co_u32_e32 v3, vcc, 0, v33, vcc
	v_mul_lo_u32 v38, s9, v37
	v_mul_lo_u32 v39, s8, v3
	v_mad_u64_u32 v[48:49], s[0:1], s8, v37, v[0:1]
	v_add3_u32 v49, v38, v49, v39
	v_or_b32_e32 v3, s35, v49
	v_cmp_ne_u64_e32 vcc, 0, v[2:3]
	v_ashrrev_i32_e32 v51, 31, v49
                                        ; implicit-def: $vgpr32_vgpr33
	s_and_saveexec_b64 s[0:1], vcc
	s_xor_b64 s[84:85], exec, s[0:1]
	s_cbranch_execz .LBB19_22
; %bb.21:                               ;   in Loop: Header=BB19_4 Depth=1
	s_ashr_i32 s86, s35, 31
	s_add_u32 s0, s34, s86
	s_mov_b32 s87, s86
	s_addc_u32 s1, s35, s86
	s_xor_b64 s[88:89], s[0:1], s[86:87]
	v_cvt_f32_u32_e32 v3, s88
	v_cvt_f32_u32_e32 v32, s89
	s_sub_u32 s0, 0, s88
	s_subb_u32 s1, 0, s89
	v_mac_f32_e32 v3, 0x4f800000, v32
	v_rcp_f32_e32 v3, v3
	v_mul_f32_e32 v3, 0x5f7ffffc, v3
	v_mul_f32_e32 v32, 0x2f800000, v3
	v_trunc_f32_e32 v32, v32
	v_mac_f32_e32 v3, 0xcf800000, v32
	v_cvt_u32_f32_e32 v32, v32
	v_cvt_u32_f32_e32 v3, v3
	v_mul_lo_u32 v33, s0, v32
	v_mul_hi_u32 v52, s0, v3
	v_mul_lo_u32 v36, s1, v3
	v_add_u32_e32 v33, v52, v33
	v_mul_lo_u32 v53, s0, v3
	v_add_u32_e32 v33, v33, v36
	v_mul_lo_u32 v52, v3, v33
	v_mul_hi_u32 v54, v3, v53
	v_mul_hi_u32 v36, v3, v33
	v_add_co_u32_e32 v52, vcc, v54, v52
	v_addc_co_u32_e32 v36, vcc, 0, v36, vcc
	v_mul_hi_u32 v55, v32, v53
	v_mul_lo_u32 v53, v32, v53
	v_add_co_u32_e32 v52, vcc, v52, v53
	v_mul_hi_u32 v54, v32, v33
	v_addc_co_u32_e32 v36, vcc, v36, v55, vcc
	v_addc_co_u32_e32 v52, vcc, 0, v54, vcc
	v_mul_lo_u32 v33, v32, v33
	v_add_co_u32_e32 v33, vcc, v36, v33
	v_addc_co_u32_e32 v36, vcc, 0, v52, vcc
	v_add_co_u32_e32 v3, vcc, v3, v33
	v_addc_co_u32_e32 v32, vcc, v32, v36, vcc
	v_mul_lo_u32 v33, s0, v32
	v_mul_hi_u32 v36, s0, v3
	v_add_u32_e32 v33, v36, v33
	v_mul_lo_u32 v36, s1, v3
	v_add_u32_e32 v33, v33, v36
	v_mul_lo_u32 v52, s0, v3
	v_mul_hi_u32 v53, v32, v52
	v_mul_lo_u32 v54, v32, v52
	v_mul_lo_u32 v58, v3, v33
	v_mul_hi_u32 v52, v3, v52
	v_mul_hi_u32 v55, v3, v33
	v_add_co_u32_e32 v52, vcc, v52, v58
	v_addc_co_u32_e32 v55, vcc, 0, v55, vcc
	v_add_co_u32_e32 v52, vcc, v52, v54
	v_mul_hi_u32 v36, v32, v33
	v_addc_co_u32_e32 v52, vcc, v55, v53, vcc
	v_addc_co_u32_e32 v36, vcc, 0, v36, vcc
	v_mul_lo_u32 v33, v32, v33
	v_add_co_u32_e32 v33, vcc, v52, v33
	v_addc_co_u32_e32 v36, vcc, 0, v36, vcc
	v_add_co_u32_e32 v3, vcc, v3, v33
	v_addc_co_u32_e32 v36, vcc, v32, v36, vcc
	v_add_co_u32_e32 v32, vcc, v48, v51
	v_addc_co_u32_e32 v33, vcc, v49, v51, vcc
	v_xor_b32_e32 v55, v32, v51
	v_xor_b32_e32 v54, v33, v51
	v_mad_u64_u32 v[32:33], s[0:1], v55, v36, 0
	v_mul_hi_u32 v52, v55, v3
	v_add_co_u32_e32 v58, vcc, v52, v32
	v_addc_co_u32_e32 v59, vcc, 0, v33, vcc
	v_mad_u64_u32 v[52:53], s[0:1], v54, v3, 0
	v_add_co_u32_e32 v3, vcc, v58, v52
	v_mad_u64_u32 v[32:33], s[0:1], v54, v36, 0
	v_addc_co_u32_e32 v3, vcc, v59, v53, vcc
	v_addc_co_u32_e32 v33, vcc, 0, v33, vcc
	v_add_co_u32_e32 v3, vcc, v3, v32
	v_addc_co_u32_e32 v36, vcc, 0, v33, vcc
	v_mul_lo_u32 v52, s89, v3
	v_mul_lo_u32 v53, s88, v36
	v_mad_u64_u32 v[32:33], s[0:1], s88, v3, 0
	v_add3_u32 v33, v33, v53, v52
	v_sub_u32_e32 v52, v54, v33
	v_mov_b32_e32 v53, s89
	v_sub_co_u32_e32 v32, vcc, v55, v32
	v_subb_co_u32_e64 v52, s[0:1], v52, v53, vcc
	v_subrev_co_u32_e64 v53, s[0:1], s88, v32
	v_subbrev_co_u32_e64 v52, s[0:1], 0, v52, s[0:1]
	v_cmp_le_u32_e64 s[0:1], s89, v52
	v_cndmask_b32_e64 v55, 0, -1, s[0:1]
	v_cmp_le_u32_e64 s[0:1], s88, v53
	v_cndmask_b32_e64 v53, 0, -1, s[0:1]
	v_cmp_eq_u32_e64 s[0:1], s89, v52
	v_cndmask_b32_e64 v52, v55, v53, s[0:1]
	v_add_co_u32_e64 v53, s[0:1], 2, v3
	v_subb_co_u32_e32 v33, vcc, v54, v33, vcc
	v_addc_co_u32_e64 v55, s[0:1], 0, v36, s[0:1]
	v_cmp_le_u32_e32 vcc, s89, v33
	v_add_co_u32_e64 v58, s[0:1], 1, v3
	v_cndmask_b32_e64 v54, 0, -1, vcc
	v_cmp_le_u32_e32 vcc, s88, v32
	v_addc_co_u32_e64 v59, s[0:1], 0, v36, s[0:1]
	v_cndmask_b32_e64 v32, 0, -1, vcc
	v_cmp_eq_u32_e32 vcc, s89, v33
	v_cmp_ne_u32_e64 s[0:1], 0, v52
	v_cndmask_b32_e32 v32, v54, v32, vcc
	v_cmp_ne_u32_e32 vcc, 0, v32
	v_cndmask_b32_e64 v33, v58, v53, s[0:1]
	v_cndmask_b32_e64 v52, v59, v55, s[0:1]
	v_cndmask_b32_e32 v3, v3, v33, vcc
	v_xor_b32_e32 v33, s86, v51
	v_cndmask_b32_e32 v32, v36, v52, vcc
	v_xor_b32_e32 v3, v3, v33
	v_xor_b32_e32 v36, v32, v33
	v_sub_co_u32_e32 v32, vcc, v3, v33
	v_subb_co_u32_e32 v33, vcc, v36, v33, vcc
                                        ; implicit-def: $vgpr36
.LBB19_22:                              ;   in Loop: Header=BB19_4 Depth=1
	s_andn2_saveexec_b64 s[0:1], s[84:85]
	s_cbranch_execz .LBB19_24
; %bb.23:                               ;   in Loop: Header=BB19_4 Depth=1
	v_rcp_iflag_f32_e32 v3, v36
	s_sub_i32 s84, 0, s34
	v_mul_f32_e32 v3, 0x4f7ffffe, v3
	v_cvt_u32_f32_e32 v3, v3
	v_mul_lo_u32 v32, s84, v3
	v_mul_hi_u32 v32, v3, v32
	v_add_u32_e32 v3, v3, v32
	v_mul_hi_u32 v3, v48, v3
	v_mul_lo_u32 v32, v3, s34
	v_sub_u32_e32 v32, v48, v32
	v_add_u32_e32 v33, 1, v3
	v_subrev_u32_e32 v36, s34, v32
	v_cmp_le_u32_e32 vcc, s34, v32
	v_cndmask_b32_e32 v32, v32, v36, vcc
	v_cndmask_b32_e32 v3, v3, v33, vcc
	v_add_u32_e32 v33, 1, v3
	v_cmp_le_u32_e32 vcc, s34, v32
	v_cndmask_b32_e32 v32, v3, v33, vcc
	v_mov_b32_e32 v33, v2
.LBB19_24:                              ;   in Loop: Header=BB19_4 Depth=1
	s_or_b64 exec, exec, s[0:1]
	v_mad_u64_u32 v[36:37], s[0:1], s8, v37, 0
	v_add3_u32 v37, v37, v39, v38
	v_mul_lo_u32 v3, v33, s34
	v_mul_lo_u32 v52, v32, s35
	v_mad_u64_u32 v[38:39], s[0:1], v32, s34, 0
	v_add3_u32 v3, v39, v52, v3
	v_sub_co_u32_e32 v38, vcc, v36, v38
	v_subb_co_u32_e32 v3, vcc, v37, v3, vcc
	v_add_co_u32_e32 v38, vcc, v0, v38
	v_addc_co_u32_e32 v3, vcc, v1, v3, vcc
	v_mul_lo_u32 v3, v3, s14
	v_mul_lo_u32 v52, v38, s15
	v_mad_u64_u32 v[38:39], s[0:1], v38, s14, 0
	v_add3_u32 v39, v39, v52, v3
	v_mul_lo_u32 v3, v33, s12
	v_mul_lo_u32 v52, v32, s13
	v_mad_u64_u32 v[32:33], s[0:1], v32, s12, 0
	v_add3_u32 v33, v33, v52, v3
	v_lshlrev_b64 v[32:33], 3, v[32:33]
	v_mov_b32_e32 v3, s3
	v_add_co_u32_e32 v52, vcc, s2, v32
	v_addc_co_u32_e32 v3, vcc, v3, v33, vcc
	v_lshlrev_b64 v[32:33], 3, v[38:39]
	v_add_co_u32_e32 v32, vcc, v52, v32
	v_addc_co_u32_e32 v33, vcc, v3, v33, vcc
	global_load_dwordx2 v[32:33], v[32:33], off
	v_or_b32_e32 v3, s43, v41
	v_cmp_ne_u64_e32 vcc, 0, v[2:3]
                                        ; implicit-def: $vgpr38_vgpr39
	s_and_saveexec_b64 s[0:1], vcc
	s_xor_b64 s[84:85], exec, s[0:1]
	s_cbranch_execz .LBB19_26
; %bb.25:                               ;   in Loop: Header=BB19_4 Depth=1
	s_ashr_i32 s86, s43, 31
	s_add_u32 s0, s42, s86
	s_mov_b32 s87, s86
	s_addc_u32 s1, s43, s86
	s_xor_b64 s[88:89], s[0:1], s[86:87]
	v_cvt_f32_u32_e32 v3, s88
	v_cvt_f32_u32_e32 v38, s89
	s_sub_u32 s0, 0, s88
	s_subb_u32 s1, 0, s89
	v_mac_f32_e32 v3, 0x4f800000, v38
	v_rcp_f32_e32 v3, v3
	v_mul_f32_e32 v3, 0x5f7ffffc, v3
	v_mul_f32_e32 v38, 0x2f800000, v3
	v_trunc_f32_e32 v38, v38
	v_mac_f32_e32 v3, 0xcf800000, v38
	v_cvt_u32_f32_e32 v38, v38
	v_cvt_u32_f32_e32 v3, v3
	v_mul_lo_u32 v39, s0, v38
	v_mul_hi_u32 v53, s0, v3
	v_mul_lo_u32 v52, s1, v3
	v_add_u32_e32 v39, v53, v39
	v_mul_lo_u32 v54, s0, v3
	v_add_u32_e32 v39, v39, v52
	v_mul_lo_u32 v53, v3, v39
	v_mul_hi_u32 v55, v3, v54
	v_mul_hi_u32 v52, v3, v39
	v_add_co_u32_e32 v53, vcc, v55, v53
	v_addc_co_u32_e32 v52, vcc, 0, v52, vcc
	v_mul_hi_u32 v58, v38, v54
	v_mul_lo_u32 v54, v38, v54
	v_add_co_u32_e32 v53, vcc, v53, v54
	v_mul_hi_u32 v55, v38, v39
	v_addc_co_u32_e32 v52, vcc, v52, v58, vcc
	v_addc_co_u32_e32 v53, vcc, 0, v55, vcc
	v_mul_lo_u32 v39, v38, v39
	v_add_co_u32_e32 v39, vcc, v52, v39
	v_addc_co_u32_e32 v52, vcc, 0, v53, vcc
	v_add_co_u32_e32 v3, vcc, v3, v39
	v_addc_co_u32_e32 v38, vcc, v38, v52, vcc
	v_mul_lo_u32 v39, s0, v38
	v_mul_hi_u32 v52, s0, v3
	v_add_u32_e32 v39, v52, v39
	v_mul_lo_u32 v52, s1, v3
	v_add_u32_e32 v39, v39, v52
	v_mul_lo_u32 v53, s0, v3
	v_mul_hi_u32 v54, v38, v53
	v_mul_lo_u32 v55, v38, v53
	v_mul_lo_u32 v59, v3, v39
	v_mul_hi_u32 v53, v3, v53
	v_mul_hi_u32 v58, v3, v39
	v_add_co_u32_e32 v53, vcc, v53, v59
	v_addc_co_u32_e32 v58, vcc, 0, v58, vcc
	v_add_co_u32_e32 v53, vcc, v53, v55
	v_mul_hi_u32 v52, v38, v39
	v_addc_co_u32_e32 v53, vcc, v58, v54, vcc
	v_addc_co_u32_e32 v52, vcc, 0, v52, vcc
	v_mul_lo_u32 v39, v38, v39
	v_add_co_u32_e32 v39, vcc, v53, v39
	v_addc_co_u32_e32 v52, vcc, 0, v52, vcc
	v_add_co_u32_e32 v3, vcc, v3, v39
	v_addc_co_u32_e32 v52, vcc, v38, v52, vcc
	;; [unrolled: 2-line block ×3, first 2 shown]
	v_xor_b32_e32 v54, v38, v46
	v_xor_b32_e32 v53, v39, v46
	v_mad_u64_u32 v[38:39], s[0:1], v54, v52, 0
	v_mul_hi_u32 v40, v54, v3
	v_add_co_u32_e32 v55, vcc, v40, v38
	v_addc_co_u32_e32 v58, vcc, 0, v39, vcc
	v_mad_u64_u32 v[40:41], s[0:1], v53, v3, 0
	v_add_co_u32_e32 v3, vcc, v55, v40
	v_mad_u64_u32 v[38:39], s[0:1], v53, v52, 0
	v_addc_co_u32_e32 v3, vcc, v58, v41, vcc
	v_addc_co_u32_e32 v39, vcc, 0, v39, vcc
	v_add_co_u32_e32 v3, vcc, v3, v38
	v_addc_co_u32_e32 v40, vcc, 0, v39, vcc
	v_mul_lo_u32 v41, s89, v3
	v_mul_lo_u32 v52, s88, v40
	v_mad_u64_u32 v[38:39], s[0:1], s88, v3, 0
	v_add3_u32 v39, v39, v52, v41
	v_sub_u32_e32 v41, v53, v39
	v_mov_b32_e32 v52, s89
	v_sub_co_u32_e32 v38, vcc, v54, v38
	v_subb_co_u32_e64 v41, s[0:1], v41, v52, vcc
	v_subrev_co_u32_e64 v52, s[0:1], s88, v38
	v_subbrev_co_u32_e64 v41, s[0:1], 0, v41, s[0:1]
	v_cmp_le_u32_e64 s[0:1], s89, v41
	v_cndmask_b32_e64 v54, 0, -1, s[0:1]
	v_cmp_le_u32_e64 s[0:1], s88, v52
	v_cndmask_b32_e64 v52, 0, -1, s[0:1]
	v_cmp_eq_u32_e64 s[0:1], s89, v41
	v_cndmask_b32_e64 v41, v54, v52, s[0:1]
	v_add_co_u32_e64 v52, s[0:1], 2, v3
	v_subb_co_u32_e32 v39, vcc, v53, v39, vcc
	v_addc_co_u32_e64 v54, s[0:1], 0, v40, s[0:1]
	v_cmp_le_u32_e32 vcc, s89, v39
	v_add_co_u32_e64 v55, s[0:1], 1, v3
	v_cndmask_b32_e64 v53, 0, -1, vcc
	v_cmp_le_u32_e32 vcc, s88, v38
	v_addc_co_u32_e64 v58, s[0:1], 0, v40, s[0:1]
	v_cndmask_b32_e64 v38, 0, -1, vcc
	v_cmp_eq_u32_e32 vcc, s89, v39
	v_cmp_ne_u32_e64 s[0:1], 0, v41
	v_cndmask_b32_e32 v38, v53, v38, vcc
	v_cmp_ne_u32_e32 vcc, 0, v38
	v_cndmask_b32_e64 v39, v55, v52, s[0:1]
	v_cndmask_b32_e64 v41, v58, v54, s[0:1]
	v_cndmask_b32_e32 v3, v3, v39, vcc
	v_xor_b32_e32 v39, s86, v46
	v_cndmask_b32_e32 v38, v40, v41, vcc
	v_xor_b32_e32 v3, v3, v39
	v_xor_b32_e32 v40, v38, v39
	v_sub_co_u32_e32 v38, vcc, v3, v39
	v_subb_co_u32_e32 v39, vcc, v40, v39, vcc
                                        ; implicit-def: $vgpr40_vgpr41
.LBB19_26:                              ;   in Loop: Header=BB19_4 Depth=1
	s_or_saveexec_b64 s[0:1], s[84:85]
	v_cvt_f32_u32_e32 v52, s42
	s_xor_b64 exec, exec, s[0:1]
	s_cbranch_execz .LBB19_28
; %bb.27:                               ;   in Loop: Header=BB19_4 Depth=1
	v_rcp_iflag_f32_e32 v3, v52
	s_sub_i32 s84, 0, s42
	v_mul_f32_e32 v3, 0x4f7ffffe, v3
	v_cvt_u32_f32_e32 v3, v3
	v_mul_lo_u32 v38, s84, v3
	v_mul_hi_u32 v38, v3, v38
	v_add_u32_e32 v3, v3, v38
	v_mul_hi_u32 v3, v40, v3
	v_mul_lo_u32 v38, v3, s42
	v_sub_u32_e32 v38, v40, v38
	v_add_u32_e32 v39, 1, v3
	v_subrev_u32_e32 v40, s42, v38
	v_cmp_le_u32_e32 vcc, s42, v38
	v_cndmask_b32_e32 v38, v38, v40, vcc
	v_cndmask_b32_e32 v3, v3, v39, vcc
	v_add_u32_e32 v39, 1, v3
	v_cmp_le_u32_e32 vcc, s42, v38
	v_cndmask_b32_e32 v38, v3, v39, vcc
	v_mov_b32_e32 v39, v2
.LBB19_28:                              ;   in Loop: Header=BB19_4 Depth=1
	s_or_b64 exec, exec, s[0:1]
	v_or_b32_e32 v3, s43, v43
	v_cmp_ne_u64_e32 vcc, 0, v[2:3]
                                        ; implicit-def: $vgpr40_vgpr41
	s_and_saveexec_b64 s[0:1], vcc
	s_xor_b64 s[84:85], exec, s[0:1]
	s_cbranch_execz .LBB19_30
; %bb.29:                               ;   in Loop: Header=BB19_4 Depth=1
	s_ashr_i32 s86, s43, 31
	s_add_u32 s0, s42, s86
	s_mov_b32 s87, s86
	s_addc_u32 s1, s43, s86
	s_xor_b64 s[88:89], s[0:1], s[86:87]
	v_cvt_f32_u32_e32 v3, s88
	v_cvt_f32_u32_e32 v40, s89
	s_sub_u32 s0, 0, s88
	s_subb_u32 s1, 0, s89
	v_mac_f32_e32 v3, 0x4f800000, v40
	v_rcp_f32_e32 v3, v3
	v_mul_f32_e32 v3, 0x5f7ffffc, v3
	v_mul_f32_e32 v40, 0x2f800000, v3
	v_trunc_f32_e32 v40, v40
	v_mac_f32_e32 v3, 0xcf800000, v40
	v_cvt_u32_f32_e32 v40, v40
	v_cvt_u32_f32_e32 v3, v3
	v_mul_lo_u32 v41, s0, v40
	v_mul_hi_u32 v53, s0, v3
	v_mul_lo_u32 v46, s1, v3
	v_add_u32_e32 v41, v53, v41
	v_mul_lo_u32 v54, s0, v3
	v_add_u32_e32 v41, v41, v46
	v_mul_lo_u32 v53, v3, v41
	v_mul_hi_u32 v55, v3, v54
	v_mul_hi_u32 v46, v3, v41
	v_add_co_u32_e32 v53, vcc, v55, v53
	v_addc_co_u32_e32 v46, vcc, 0, v46, vcc
	v_mul_hi_u32 v58, v40, v54
	v_mul_lo_u32 v54, v40, v54
	v_add_co_u32_e32 v53, vcc, v53, v54
	v_mul_hi_u32 v55, v40, v41
	v_addc_co_u32_e32 v46, vcc, v46, v58, vcc
	v_addc_co_u32_e32 v53, vcc, 0, v55, vcc
	v_mul_lo_u32 v41, v40, v41
	v_add_co_u32_e32 v41, vcc, v46, v41
	v_addc_co_u32_e32 v46, vcc, 0, v53, vcc
	v_add_co_u32_e32 v3, vcc, v3, v41
	v_addc_co_u32_e32 v40, vcc, v40, v46, vcc
	v_mul_lo_u32 v41, s0, v40
	v_mul_hi_u32 v46, s0, v3
	v_add_u32_e32 v41, v46, v41
	v_mul_lo_u32 v46, s1, v3
	v_add_u32_e32 v41, v41, v46
	v_mul_lo_u32 v53, s0, v3
	v_mul_hi_u32 v54, v40, v53
	v_mul_lo_u32 v55, v40, v53
	v_mul_lo_u32 v59, v3, v41
	v_mul_hi_u32 v53, v3, v53
	v_mul_hi_u32 v58, v3, v41
	v_add_co_u32_e32 v53, vcc, v53, v59
	v_addc_co_u32_e32 v58, vcc, 0, v58, vcc
	v_add_co_u32_e32 v53, vcc, v53, v55
	v_mul_hi_u32 v46, v40, v41
	v_addc_co_u32_e32 v53, vcc, v58, v54, vcc
	v_addc_co_u32_e32 v46, vcc, 0, v46, vcc
	v_mul_lo_u32 v41, v40, v41
	v_add_co_u32_e32 v41, vcc, v53, v41
	v_addc_co_u32_e32 v46, vcc, 0, v46, vcc
	v_add_co_u32_e32 v3, vcc, v3, v41
	v_addc_co_u32_e32 v46, vcc, v40, v46, vcc
	;; [unrolled: 2-line block ×3, first 2 shown]
	v_xor_b32_e32 v54, v40, v47
	v_xor_b32_e32 v53, v41, v47
	v_mad_u64_u32 v[40:41], s[0:1], v54, v46, 0
	v_mul_hi_u32 v42, v54, v3
	v_add_co_u32_e32 v55, vcc, v42, v40
	v_addc_co_u32_e32 v58, vcc, 0, v41, vcc
	v_mad_u64_u32 v[42:43], s[0:1], v53, v3, 0
	v_add_co_u32_e32 v3, vcc, v55, v42
	v_mad_u64_u32 v[40:41], s[0:1], v53, v46, 0
	v_addc_co_u32_e32 v3, vcc, v58, v43, vcc
	v_addc_co_u32_e32 v41, vcc, 0, v41, vcc
	v_add_co_u32_e32 v3, vcc, v3, v40
	v_addc_co_u32_e32 v42, vcc, 0, v41, vcc
	v_mul_lo_u32 v43, s89, v3
	v_mul_lo_u32 v46, s88, v42
	v_mad_u64_u32 v[40:41], s[0:1], s88, v3, 0
	v_add3_u32 v41, v41, v46, v43
	v_sub_u32_e32 v43, v53, v41
	v_mov_b32_e32 v46, s89
	v_sub_co_u32_e32 v40, vcc, v54, v40
	v_subb_co_u32_e64 v43, s[0:1], v43, v46, vcc
	v_subrev_co_u32_e64 v46, s[0:1], s88, v40
	v_subbrev_co_u32_e64 v43, s[0:1], 0, v43, s[0:1]
	v_cmp_le_u32_e64 s[0:1], s89, v43
	v_cndmask_b32_e64 v54, 0, -1, s[0:1]
	v_cmp_le_u32_e64 s[0:1], s88, v46
	v_cndmask_b32_e64 v46, 0, -1, s[0:1]
	v_cmp_eq_u32_e64 s[0:1], s89, v43
	v_cndmask_b32_e64 v43, v54, v46, s[0:1]
	v_add_co_u32_e64 v46, s[0:1], 2, v3
	v_subb_co_u32_e32 v41, vcc, v53, v41, vcc
	v_addc_co_u32_e64 v54, s[0:1], 0, v42, s[0:1]
	v_cmp_le_u32_e32 vcc, s89, v41
	v_add_co_u32_e64 v55, s[0:1], 1, v3
	v_cndmask_b32_e64 v53, 0, -1, vcc
	v_cmp_le_u32_e32 vcc, s88, v40
	v_addc_co_u32_e64 v58, s[0:1], 0, v42, s[0:1]
	v_cndmask_b32_e64 v40, 0, -1, vcc
	v_cmp_eq_u32_e32 vcc, s89, v41
	v_cmp_ne_u32_e64 s[0:1], 0, v43
	v_cndmask_b32_e32 v40, v53, v40, vcc
	v_cmp_ne_u32_e32 vcc, 0, v40
	v_cndmask_b32_e64 v41, v55, v46, s[0:1]
	v_cndmask_b32_e64 v43, v58, v54, s[0:1]
	v_cndmask_b32_e32 v3, v3, v41, vcc
	v_xor_b32_e32 v41, s86, v47
	v_cndmask_b32_e32 v40, v42, v43, vcc
	v_xor_b32_e32 v3, v3, v41
	v_xor_b32_e32 v42, v40, v41
	v_sub_co_u32_e32 v40, vcc, v3, v41
	v_subb_co_u32_e32 v41, vcc, v42, v41, vcc
                                        ; implicit-def: $vgpr42_vgpr43
.LBB19_30:                              ;   in Loop: Header=BB19_4 Depth=1
	s_andn2_saveexec_b64 s[0:1], s[84:85]
	s_cbranch_execz .LBB19_32
; %bb.31:                               ;   in Loop: Header=BB19_4 Depth=1
	v_rcp_iflag_f32_e32 v3, v52
	s_sub_i32 s84, 0, s42
	v_mul_f32_e32 v3, 0x4f7ffffe, v3
	v_cvt_u32_f32_e32 v3, v3
	v_mul_lo_u32 v40, s84, v3
	v_mul_hi_u32 v40, v3, v40
	v_add_u32_e32 v3, v3, v40
	v_mul_hi_u32 v3, v42, v3
	v_mul_lo_u32 v40, v3, s42
	v_sub_u32_e32 v40, v42, v40
	v_add_u32_e32 v41, 1, v3
	v_subrev_u32_e32 v42, s42, v40
	v_cmp_le_u32_e32 vcc, s42, v40
	v_cndmask_b32_e32 v40, v40, v42, vcc
	v_cndmask_b32_e32 v3, v3, v41, vcc
	v_add_u32_e32 v41, 1, v3
	v_cmp_le_u32_e32 vcc, s42, v40
	v_cndmask_b32_e32 v40, v3, v41, vcc
	v_mov_b32_e32 v41, v2
.LBB19_32:                              ;   in Loop: Header=BB19_4 Depth=1
	s_or_b64 exec, exec, s[0:1]
	v_or_b32_e32 v3, s43, v45
	v_cmp_ne_u64_e32 vcc, 0, v[2:3]
                                        ; implicit-def: $vgpr42_vgpr43
	s_and_saveexec_b64 s[0:1], vcc
	s_xor_b64 s[84:85], exec, s[0:1]
	s_cbranch_execz .LBB19_34
; %bb.33:                               ;   in Loop: Header=BB19_4 Depth=1
	s_ashr_i32 s86, s43, 31
	s_add_u32 s0, s42, s86
	s_mov_b32 s87, s86
	s_addc_u32 s1, s43, s86
	s_xor_b64 s[88:89], s[0:1], s[86:87]
	v_cvt_f32_u32_e32 v3, s88
	v_cvt_f32_u32_e32 v42, s89
	s_sub_u32 s0, 0, s88
	s_subb_u32 s1, 0, s89
	v_mac_f32_e32 v3, 0x4f800000, v42
	v_rcp_f32_e32 v3, v3
	v_mul_f32_e32 v3, 0x5f7ffffc, v3
	v_mul_f32_e32 v42, 0x2f800000, v3
	v_trunc_f32_e32 v42, v42
	v_mac_f32_e32 v3, 0xcf800000, v42
	v_cvt_u32_f32_e32 v42, v42
	v_cvt_u32_f32_e32 v3, v3
	v_mul_lo_u32 v43, s0, v42
	v_mul_hi_u32 v47, s0, v3
	v_mul_lo_u32 v46, s1, v3
	v_add_u32_e32 v43, v47, v43
	v_mul_lo_u32 v53, s0, v3
	v_add_u32_e32 v43, v43, v46
	v_mul_lo_u32 v47, v3, v43
	v_mul_hi_u32 v54, v3, v53
	v_mul_hi_u32 v46, v3, v43
	v_add_co_u32_e32 v47, vcc, v54, v47
	v_addc_co_u32_e32 v46, vcc, 0, v46, vcc
	v_mul_hi_u32 v55, v42, v53
	v_mul_lo_u32 v53, v42, v53
	v_add_co_u32_e32 v47, vcc, v47, v53
	v_mul_hi_u32 v54, v42, v43
	v_addc_co_u32_e32 v46, vcc, v46, v55, vcc
	v_addc_co_u32_e32 v47, vcc, 0, v54, vcc
	v_mul_lo_u32 v43, v42, v43
	v_add_co_u32_e32 v43, vcc, v46, v43
	v_addc_co_u32_e32 v46, vcc, 0, v47, vcc
	v_add_co_u32_e32 v3, vcc, v3, v43
	v_addc_co_u32_e32 v42, vcc, v42, v46, vcc
	v_mul_lo_u32 v43, s0, v42
	v_mul_hi_u32 v46, s0, v3
	v_add_u32_e32 v43, v46, v43
	v_mul_lo_u32 v46, s1, v3
	v_add_u32_e32 v43, v43, v46
	v_mul_lo_u32 v47, s0, v3
	v_mul_hi_u32 v53, v42, v47
	v_mul_lo_u32 v54, v42, v47
	v_mul_lo_u32 v58, v3, v43
	v_mul_hi_u32 v47, v3, v47
	v_mul_hi_u32 v55, v3, v43
	v_add_co_u32_e32 v47, vcc, v47, v58
	v_addc_co_u32_e32 v55, vcc, 0, v55, vcc
	v_add_co_u32_e32 v47, vcc, v47, v54
	v_mul_hi_u32 v46, v42, v43
	v_addc_co_u32_e32 v47, vcc, v55, v53, vcc
	v_addc_co_u32_e32 v46, vcc, 0, v46, vcc
	v_mul_lo_u32 v43, v42, v43
	v_add_co_u32_e32 v43, vcc, v47, v43
	v_addc_co_u32_e32 v46, vcc, 0, v46, vcc
	v_add_co_u32_e32 v3, vcc, v3, v43
	v_addc_co_u32_e32 v46, vcc, v42, v46, vcc
	v_add_co_u32_e32 v42, vcc, v44, v50
	v_addc_co_u32_e32 v43, vcc, v45, v50, vcc
	v_xor_b32_e32 v53, v42, v50
	v_xor_b32_e32 v47, v43, v50
	v_mad_u64_u32 v[42:43], s[0:1], v53, v46, 0
	v_mul_hi_u32 v44, v53, v3
	v_add_co_u32_e32 v54, vcc, v44, v42
	v_addc_co_u32_e32 v55, vcc, 0, v43, vcc
	v_mad_u64_u32 v[44:45], s[0:1], v47, v3, 0
	v_add_co_u32_e32 v3, vcc, v54, v44
	v_mad_u64_u32 v[42:43], s[0:1], v47, v46, 0
	v_addc_co_u32_e32 v3, vcc, v55, v45, vcc
	v_addc_co_u32_e32 v43, vcc, 0, v43, vcc
	v_add_co_u32_e32 v3, vcc, v3, v42
	v_addc_co_u32_e32 v44, vcc, 0, v43, vcc
	v_mul_lo_u32 v45, s89, v3
	v_mul_lo_u32 v46, s88, v44
	v_mad_u64_u32 v[42:43], s[0:1], s88, v3, 0
	v_add3_u32 v43, v43, v46, v45
	v_sub_u32_e32 v45, v47, v43
	v_mov_b32_e32 v46, s89
	v_sub_co_u32_e32 v42, vcc, v53, v42
	v_subb_co_u32_e64 v45, s[0:1], v45, v46, vcc
	v_subrev_co_u32_e64 v46, s[0:1], s88, v42
	v_subbrev_co_u32_e64 v45, s[0:1], 0, v45, s[0:1]
	v_cmp_le_u32_e64 s[0:1], s89, v45
	v_cndmask_b32_e64 v53, 0, -1, s[0:1]
	v_cmp_le_u32_e64 s[0:1], s88, v46
	v_cndmask_b32_e64 v46, 0, -1, s[0:1]
	v_cmp_eq_u32_e64 s[0:1], s89, v45
	v_cndmask_b32_e64 v45, v53, v46, s[0:1]
	v_add_co_u32_e64 v46, s[0:1], 2, v3
	v_subb_co_u32_e32 v43, vcc, v47, v43, vcc
	v_addc_co_u32_e64 v53, s[0:1], 0, v44, s[0:1]
	v_cmp_le_u32_e32 vcc, s89, v43
	v_add_co_u32_e64 v54, s[0:1], 1, v3
	v_cndmask_b32_e64 v47, 0, -1, vcc
	v_cmp_le_u32_e32 vcc, s88, v42
	v_addc_co_u32_e64 v55, s[0:1], 0, v44, s[0:1]
	v_cndmask_b32_e64 v42, 0, -1, vcc
	v_cmp_eq_u32_e32 vcc, s89, v43
	v_cmp_ne_u32_e64 s[0:1], 0, v45
	v_cndmask_b32_e32 v42, v47, v42, vcc
	v_cmp_ne_u32_e32 vcc, 0, v42
	v_cndmask_b32_e64 v43, v54, v46, s[0:1]
	v_cndmask_b32_e64 v45, v55, v53, s[0:1]
	v_cndmask_b32_e32 v3, v3, v43, vcc
	v_xor_b32_e32 v43, s86, v50
	v_cndmask_b32_e32 v42, v44, v45, vcc
	v_xor_b32_e32 v3, v3, v43
	v_xor_b32_e32 v44, v42, v43
	v_sub_co_u32_e32 v42, vcc, v3, v43
	v_subb_co_u32_e32 v43, vcc, v44, v43, vcc
                                        ; implicit-def: $vgpr44_vgpr45
.LBB19_34:                              ;   in Loop: Header=BB19_4 Depth=1
	s_andn2_saveexec_b64 s[0:1], s[84:85]
	s_cbranch_execz .LBB19_36
; %bb.35:                               ;   in Loop: Header=BB19_4 Depth=1
	v_rcp_iflag_f32_e32 v3, v52
	s_sub_i32 s84, 0, s42
	v_mul_f32_e32 v3, 0x4f7ffffe, v3
	v_cvt_u32_f32_e32 v3, v3
	v_mul_lo_u32 v42, s84, v3
	v_mul_hi_u32 v42, v3, v42
	v_add_u32_e32 v3, v3, v42
	v_mul_hi_u32 v3, v44, v3
	v_mul_lo_u32 v42, v3, s42
	v_sub_u32_e32 v42, v44, v42
	v_add_u32_e32 v43, 1, v3
	v_subrev_u32_e32 v44, s42, v42
	v_cmp_le_u32_e32 vcc, s42, v42
	v_cndmask_b32_e32 v42, v42, v44, vcc
	v_cndmask_b32_e32 v3, v3, v43, vcc
	v_add_u32_e32 v43, 1, v3
	v_cmp_le_u32_e32 vcc, s42, v42
	v_cndmask_b32_e32 v42, v3, v43, vcc
	v_mov_b32_e32 v43, v2
.LBB19_36:                              ;   in Loop: Header=BB19_4 Depth=1
	s_or_b64 exec, exec, s[0:1]
	v_or_b32_e32 v3, s43, v49
	v_cmp_ne_u64_e32 vcc, 0, v[2:3]
                                        ; implicit-def: $vgpr46_vgpr47
	s_and_saveexec_b64 s[0:1], vcc
	s_xor_b64 s[84:85], exec, s[0:1]
	s_cbranch_execz .LBB19_38
; %bb.37:                               ;   in Loop: Header=BB19_4 Depth=1
	s_ashr_i32 s86, s43, 31
	s_add_u32 s0, s42, s86
	s_mov_b32 s87, s86
	s_addc_u32 s1, s43, s86
	s_xor_b64 s[88:89], s[0:1], s[86:87]
	v_cvt_f32_u32_e32 v3, s88
	v_cvt_f32_u32_e32 v44, s89
	s_sub_u32 s0, 0, s88
	s_subb_u32 s1, 0, s89
	v_mac_f32_e32 v3, 0x4f800000, v44
	v_rcp_f32_e32 v3, v3
	v_mul_f32_e32 v3, 0x5f7ffffc, v3
	v_mul_f32_e32 v44, 0x2f800000, v3
	v_trunc_f32_e32 v44, v44
	v_mac_f32_e32 v3, 0xcf800000, v44
	v_cvt_u32_f32_e32 v44, v44
	v_cvt_u32_f32_e32 v3, v3
	v_mul_lo_u32 v45, s0, v44
	v_mul_hi_u32 v47, s0, v3
	v_mul_lo_u32 v46, s1, v3
	v_add_u32_e32 v45, v47, v45
	v_mul_lo_u32 v50, s0, v3
	v_add_u32_e32 v45, v45, v46
	v_mul_lo_u32 v47, v3, v45
	v_mul_hi_u32 v52, v3, v50
	v_mul_hi_u32 v46, v3, v45
	v_add_co_u32_e32 v47, vcc, v52, v47
	v_addc_co_u32_e32 v46, vcc, 0, v46, vcc
	v_mul_hi_u32 v53, v44, v50
	v_mul_lo_u32 v50, v44, v50
	v_add_co_u32_e32 v47, vcc, v47, v50
	v_mul_hi_u32 v52, v44, v45
	v_addc_co_u32_e32 v46, vcc, v46, v53, vcc
	v_addc_co_u32_e32 v47, vcc, 0, v52, vcc
	v_mul_lo_u32 v45, v44, v45
	v_add_co_u32_e32 v45, vcc, v46, v45
	v_addc_co_u32_e32 v46, vcc, 0, v47, vcc
	v_add_co_u32_e32 v3, vcc, v3, v45
	v_addc_co_u32_e32 v44, vcc, v44, v46, vcc
	v_mul_lo_u32 v45, s0, v44
	v_mul_hi_u32 v46, s0, v3
	v_add_u32_e32 v45, v46, v45
	v_mul_lo_u32 v46, s1, v3
	v_add_u32_e32 v45, v45, v46
	v_mul_lo_u32 v47, s0, v3
	v_mul_hi_u32 v50, v44, v47
	v_mul_lo_u32 v52, v44, v47
	v_mul_lo_u32 v54, v3, v45
	v_mul_hi_u32 v47, v3, v47
	v_mul_hi_u32 v53, v3, v45
	v_add_co_u32_e32 v47, vcc, v47, v54
	v_addc_co_u32_e32 v53, vcc, 0, v53, vcc
	v_add_co_u32_e32 v47, vcc, v47, v52
	v_mul_hi_u32 v46, v44, v45
	v_addc_co_u32_e32 v47, vcc, v53, v50, vcc
	v_addc_co_u32_e32 v46, vcc, 0, v46, vcc
	v_mul_lo_u32 v45, v44, v45
	v_add_co_u32_e32 v45, vcc, v47, v45
	v_addc_co_u32_e32 v46, vcc, 0, v46, vcc
	v_add_co_u32_e32 v3, vcc, v3, v45
	v_addc_co_u32_e32 v46, vcc, v44, v46, vcc
	;; [unrolled: 2-line block ×3, first 2 shown]
	v_xor_b32_e32 v49, v44, v51
	v_xor_b32_e32 v48, v45, v51
	v_mad_u64_u32 v[44:45], s[0:1], v49, v46, 0
	v_mul_hi_u32 v47, v49, v3
	v_add_co_u32_e32 v50, vcc, v47, v44
	v_addc_co_u32_e32 v52, vcc, 0, v45, vcc
	v_mad_u64_u32 v[44:45], s[0:1], v48, v46, 0
	v_mad_u64_u32 v[46:47], s[0:1], v48, v3, 0
	v_add_co_u32_e32 v3, vcc, v50, v46
	v_addc_co_u32_e32 v3, vcc, v52, v47, vcc
	v_addc_co_u32_e32 v45, vcc, 0, v45, vcc
	v_add_co_u32_e32 v3, vcc, v3, v44
	v_addc_co_u32_e32 v46, vcc, 0, v45, vcc
	v_mul_lo_u32 v47, s89, v3
	v_mul_lo_u32 v50, s88, v46
	v_mad_u64_u32 v[44:45], s[0:1], s88, v3, 0
	v_add3_u32 v45, v45, v50, v47
	v_sub_u32_e32 v47, v48, v45
	v_mov_b32_e32 v50, s89
	v_sub_co_u32_e32 v44, vcc, v49, v44
	v_subb_co_u32_e64 v47, s[0:1], v47, v50, vcc
	v_subrev_co_u32_e64 v49, s[0:1], s88, v44
	v_subbrev_co_u32_e64 v47, s[0:1], 0, v47, s[0:1]
	v_cmp_le_u32_e64 s[0:1], s89, v47
	v_cndmask_b32_e64 v50, 0, -1, s[0:1]
	v_cmp_le_u32_e64 s[0:1], s88, v49
	v_cndmask_b32_e64 v49, 0, -1, s[0:1]
	v_cmp_eq_u32_e64 s[0:1], s89, v47
	v_cndmask_b32_e64 v47, v50, v49, s[0:1]
	v_add_co_u32_e64 v49, s[0:1], 2, v3
	v_subb_co_u32_e32 v45, vcc, v48, v45, vcc
	v_addc_co_u32_e64 v50, s[0:1], 0, v46, s[0:1]
	v_cmp_le_u32_e32 vcc, s89, v45
	v_add_co_u32_e64 v52, s[0:1], 1, v3
	v_cndmask_b32_e64 v48, 0, -1, vcc
	v_cmp_le_u32_e32 vcc, s88, v44
	v_addc_co_u32_e64 v53, s[0:1], 0, v46, s[0:1]
	v_cndmask_b32_e64 v44, 0, -1, vcc
	v_cmp_eq_u32_e32 vcc, s89, v45
	v_cmp_ne_u32_e64 s[0:1], 0, v47
	v_cndmask_b32_e32 v44, v48, v44, vcc
	v_cmp_ne_u32_e32 vcc, 0, v44
	v_cndmask_b32_e64 v45, v52, v49, s[0:1]
	v_cndmask_b32_e64 v47, v53, v50, s[0:1]
	v_cndmask_b32_e32 v3, v3, v45, vcc
	v_xor_b32_e32 v45, s86, v51
	v_cndmask_b32_e32 v44, v46, v47, vcc
	v_xor_b32_e32 v3, v3, v45
	v_xor_b32_e32 v44, v44, v45
	v_sub_co_u32_e32 v46, vcc, v3, v45
	v_subb_co_u32_e32 v47, vcc, v44, v45, vcc
                                        ; implicit-def: $vgpr52
                                        ; implicit-def: $vgpr48_vgpr49
.LBB19_38:                              ;   in Loop: Header=BB19_4 Depth=1
	s_andn2_saveexec_b64 s[0:1], s[84:85]
	s_cbranch_execz .LBB19_40
; %bb.39:                               ;   in Loop: Header=BB19_4 Depth=1
	v_rcp_iflag_f32_e32 v3, v52
	s_sub_i32 s84, 0, s42
	v_mov_b32_e32 v47, v2
	v_mul_f32_e32 v3, 0x4f7ffffe, v3
	v_cvt_u32_f32_e32 v3, v3
	v_mul_lo_u32 v44, s84, v3
	v_mul_hi_u32 v44, v3, v44
	v_add_u32_e32 v3, v3, v44
	v_mul_hi_u32 v3, v48, v3
	v_mul_lo_u32 v44, v3, s42
	v_sub_u32_e32 v44, v48, v44
	v_add_u32_e32 v45, 1, v3
	v_subrev_u32_e32 v46, s42, v44
	v_cmp_le_u32_e32 vcc, s42, v44
	v_cndmask_b32_e32 v44, v44, v46, vcc
	v_cndmask_b32_e32 v3, v3, v45, vcc
	v_add_u32_e32 v45, 1, v3
	v_cmp_le_u32_e32 vcc, s42, v44
	v_cndmask_b32_e32 v46, v3, v45, vcc
.LBB19_40:                              ;   in Loop: Header=BB19_4 Depth=1
	s_or_b64 exec, exec, s[0:1]
	v_or_b32_e32 v3, s47, v1
	v_cmp_ne_u64_e32 vcc, 0, v[2:3]
                                        ; implicit-def: $vgpr44_vgpr45
	s_and_saveexec_b64 s[0:1], vcc
	s_xor_b64 s[84:85], exec, s[0:1]
	s_cbranch_execz .LBB19_42
; %bb.41:                               ;   in Loop: Header=BB19_4 Depth=1
	s_ashr_i32 s86, s47, 31
	s_add_u32 s0, s46, s86
	s_mov_b32 s87, s86
	s_addc_u32 s1, s47, s86
	s_xor_b64 s[88:89], s[0:1], s[86:87]
	v_cvt_f32_u32_e32 v3, s88
	v_cvt_f32_u32_e32 v44, s89
	s_sub_u32 s0, 0, s88
	s_subb_u32 s1, 0, s89
	v_mac_f32_e32 v3, 0x4f800000, v44
	v_rcp_f32_e32 v3, v3
	v_mul_f32_e32 v3, 0x5f7ffffc, v3
	v_mul_f32_e32 v44, 0x2f800000, v3
	v_trunc_f32_e32 v44, v44
	v_mac_f32_e32 v3, 0xcf800000, v44
	v_cvt_u32_f32_e32 v44, v44
	v_cvt_u32_f32_e32 v3, v3
	v_mul_lo_u32 v45, s0, v44
	v_mul_hi_u32 v49, s0, v3
	v_mul_lo_u32 v48, s1, v3
	v_add_u32_e32 v45, v49, v45
	v_mul_lo_u32 v50, s0, v3
	v_add_u32_e32 v45, v45, v48
	v_mul_lo_u32 v49, v3, v45
	v_mul_hi_u32 v51, v3, v50
	v_mul_hi_u32 v48, v3, v45
	v_add_co_u32_e32 v49, vcc, v51, v49
	v_addc_co_u32_e32 v48, vcc, 0, v48, vcc
	v_mul_hi_u32 v52, v44, v50
	v_mul_lo_u32 v50, v44, v50
	v_add_co_u32_e32 v49, vcc, v49, v50
	v_mul_hi_u32 v51, v44, v45
	v_addc_co_u32_e32 v48, vcc, v48, v52, vcc
	v_addc_co_u32_e32 v49, vcc, 0, v51, vcc
	v_mul_lo_u32 v45, v44, v45
	v_add_co_u32_e32 v45, vcc, v48, v45
	v_addc_co_u32_e32 v48, vcc, 0, v49, vcc
	v_add_co_u32_e32 v3, vcc, v3, v45
	v_addc_co_u32_e32 v44, vcc, v44, v48, vcc
	v_mul_lo_u32 v45, s0, v44
	v_mul_hi_u32 v48, s0, v3
	v_add_u32_e32 v45, v48, v45
	v_mul_lo_u32 v48, s1, v3
	v_add_u32_e32 v45, v45, v48
	v_mul_lo_u32 v49, s0, v3
	v_mul_hi_u32 v50, v44, v49
	v_mul_lo_u32 v51, v44, v49
	v_mul_lo_u32 v53, v3, v45
	v_mul_hi_u32 v49, v3, v49
	v_mul_hi_u32 v52, v3, v45
	v_add_co_u32_e32 v49, vcc, v49, v53
	v_addc_co_u32_e32 v52, vcc, 0, v52, vcc
	v_add_co_u32_e32 v49, vcc, v49, v51
	v_mul_hi_u32 v48, v44, v45
	v_addc_co_u32_e32 v49, vcc, v52, v50, vcc
	v_addc_co_u32_e32 v48, vcc, 0, v48, vcc
	v_mul_lo_u32 v45, v44, v45
	v_add_co_u32_e32 v45, vcc, v49, v45
	v_addc_co_u32_e32 v48, vcc, 0, v48, vcc
	v_add_co_u32_e32 v3, vcc, v3, v45
	v_addc_co_u32_e32 v48, vcc, v44, v48, vcc
	v_ashrrev_i32_e32 v50, 31, v1
	v_add_co_u32_e32 v44, vcc, v0, v50
	v_addc_co_u32_e32 v45, vcc, v1, v50, vcc
	v_xor_b32_e32 v52, v44, v50
	v_xor_b32_e32 v51, v45, v50
	v_mad_u64_u32 v[44:45], s[0:1], v52, v48, 0
	v_mul_hi_u32 v49, v52, v3
	v_add_co_u32_e32 v53, vcc, v49, v44
	v_addc_co_u32_e32 v54, vcc, 0, v45, vcc
	v_mad_u64_u32 v[44:45], s[0:1], v51, v48, 0
	v_mad_u64_u32 v[48:49], s[0:1], v51, v3, 0
	v_add_co_u32_e32 v3, vcc, v53, v48
	v_addc_co_u32_e32 v3, vcc, v54, v49, vcc
	v_addc_co_u32_e32 v45, vcc, 0, v45, vcc
	v_add_co_u32_e32 v3, vcc, v3, v44
	v_addc_co_u32_e32 v48, vcc, 0, v45, vcc
	v_mul_lo_u32 v49, s89, v3
	v_mul_lo_u32 v53, s88, v48
	v_mad_u64_u32 v[44:45], s[0:1], s88, v3, 0
	v_add3_u32 v45, v45, v53, v49
	v_sub_u32_e32 v49, v51, v45
	v_mov_b32_e32 v53, s89
	v_sub_co_u32_e32 v44, vcc, v52, v44
	v_subb_co_u32_e64 v49, s[0:1], v49, v53, vcc
	v_subrev_co_u32_e64 v52, s[0:1], s88, v44
	v_subbrev_co_u32_e64 v49, s[0:1], 0, v49, s[0:1]
	v_cmp_le_u32_e64 s[0:1], s89, v49
	v_cndmask_b32_e64 v53, 0, -1, s[0:1]
	v_cmp_le_u32_e64 s[0:1], s88, v52
	v_cndmask_b32_e64 v52, 0, -1, s[0:1]
	v_cmp_eq_u32_e64 s[0:1], s89, v49
	v_cndmask_b32_e64 v49, v53, v52, s[0:1]
	v_add_co_u32_e64 v52, s[0:1], 2, v3
	v_subb_co_u32_e32 v45, vcc, v51, v45, vcc
	v_addc_co_u32_e64 v53, s[0:1], 0, v48, s[0:1]
	v_cmp_le_u32_e32 vcc, s89, v45
	v_add_co_u32_e64 v54, s[0:1], 1, v3
	v_cndmask_b32_e64 v51, 0, -1, vcc
	v_cmp_le_u32_e32 vcc, s88, v44
	v_addc_co_u32_e64 v55, s[0:1], 0, v48, s[0:1]
	v_cndmask_b32_e64 v44, 0, -1, vcc
	v_cmp_eq_u32_e32 vcc, s89, v45
	v_cmp_ne_u32_e64 s[0:1], 0, v49
	v_cndmask_b32_e32 v44, v51, v44, vcc
	v_cmp_ne_u32_e32 vcc, 0, v44
	v_cndmask_b32_e64 v45, v54, v52, s[0:1]
	v_cndmask_b32_e64 v49, v55, v53, s[0:1]
	v_cndmask_b32_e32 v3, v3, v45, vcc
	v_xor_b32_e32 v45, s86, v50
	v_cndmask_b32_e32 v44, v48, v49, vcc
	v_xor_b32_e32 v3, v3, v45
	v_xor_b32_e32 v48, v44, v45
	v_sub_co_u32_e32 v44, vcc, v3, v45
	v_subb_co_u32_e32 v45, vcc, v48, v45, vcc
.LBB19_42:                              ;   in Loop: Header=BB19_4 Depth=1
	s_andn2_saveexec_b64 s[0:1], s[84:85]
	s_cbranch_execz .LBB19_44
; %bb.43:                               ;   in Loop: Header=BB19_4 Depth=1
	v_cvt_f32_u32_e32 v3, s46
	s_sub_i32 s84, 0, s46
	v_rcp_iflag_f32_e32 v3, v3
	v_mul_f32_e32 v3, 0x4f7ffffe, v3
	v_cvt_u32_f32_e32 v3, v3
	v_mul_lo_u32 v44, s84, v3
	v_mul_hi_u32 v44, v3, v44
	v_add_u32_e32 v3, v3, v44
	v_mul_hi_u32 v3, v0, v3
	v_mul_lo_u32 v44, v3, s46
	v_sub_u32_e32 v44, v0, v44
	v_add_u32_e32 v45, 1, v3
	v_subrev_u32_e32 v48, s46, v44
	v_cmp_le_u32_e32 vcc, s46, v44
	v_cndmask_b32_e32 v44, v44, v48, vcc
	v_cndmask_b32_e32 v3, v3, v45, vcc
	v_add_u32_e32 v45, 1, v3
	v_cmp_le_u32_e32 vcc, s46, v44
	v_cndmask_b32_e32 v44, v3, v45, vcc
	v_mov_b32_e32 v45, v2
.LBB19_44:                              ;   in Loop: Header=BB19_4 Depth=1
	s_or_b64 exec, exec, s[0:1]
	v_mad_u64_u32 v[48:49], s[0:1], s93, v44, v[0:1]
	v_mul_lo_u32 v3, s93, v45
	v_mul_lo_u32 v50, s94, v44
	v_add3_u32 v3, v50, v49, v3
	v_mul_lo_u32 v50, v48, s23
	v_mul_lo_u32 v3, v3, s22
	v_mad_u64_u32 v[48:49], s[0:1], v48, s22, 0
	v_add3_u32 v49, v49, v50, v3
	v_mul_lo_u32 v3, v45, s20
	v_mul_lo_u32 v50, v44, s21
	v_mad_u64_u32 v[44:45], s[0:1], v44, s20, 0
	v_add3_u32 v45, v45, v50, v3
	v_lshlrev_b64 v[44:45], 3, v[44:45]
	v_mov_b32_e32 v3, s45
	v_add_co_u32_e32 v50, vcc, s44, v44
	v_addc_co_u32_e32 v3, vcc, v3, v45, vcc
	v_lshlrev_b64 v[44:45], 3, v[48:49]
	v_add_co_u32_e32 v44, vcc, v50, v44
	v_addc_co_u32_e32 v45, vcc, v3, v45, vcc
	global_load_dwordx2 v[44:45], v[44:45], off
	v_or_b32_e32 v3, s51, v1
	v_cmp_ne_u64_e32 vcc, 0, v[2:3]
                                        ; implicit-def: $vgpr48_vgpr49
	s_and_saveexec_b64 s[0:1], vcc
	s_xor_b64 s[84:85], exec, s[0:1]
	s_cbranch_execz .LBB19_46
; %bb.45:                               ;   in Loop: Header=BB19_4 Depth=1
	s_ashr_i32 s86, s51, 31
	s_add_u32 s0, s50, s86
	s_mov_b32 s87, s86
	s_addc_u32 s1, s51, s86
	s_xor_b64 s[88:89], s[0:1], s[86:87]
	v_cvt_f32_u32_e32 v3, s88
	v_cvt_f32_u32_e32 v48, s89
	s_sub_u32 s0, 0, s88
	s_subb_u32 s1, 0, s89
	v_mac_f32_e32 v3, 0x4f800000, v48
	v_rcp_f32_e32 v3, v3
	v_mul_f32_e32 v3, 0x5f7ffffc, v3
	v_mul_f32_e32 v48, 0x2f800000, v3
	v_trunc_f32_e32 v48, v48
	v_mac_f32_e32 v3, 0xcf800000, v48
	v_cvt_u32_f32_e32 v48, v48
	v_cvt_u32_f32_e32 v3, v3
	v_mul_lo_u32 v49, s0, v48
	v_mul_hi_u32 v51, s0, v3
	v_mul_lo_u32 v50, s1, v3
	v_add_u32_e32 v49, v51, v49
	v_mul_lo_u32 v52, s0, v3
	v_add_u32_e32 v49, v49, v50
	v_mul_lo_u32 v51, v3, v49
	v_mul_hi_u32 v53, v3, v52
	v_mul_hi_u32 v50, v3, v49
	v_add_co_u32_e32 v51, vcc, v53, v51
	v_addc_co_u32_e32 v50, vcc, 0, v50, vcc
	v_mul_hi_u32 v54, v48, v52
	v_mul_lo_u32 v52, v48, v52
	v_add_co_u32_e32 v51, vcc, v51, v52
	v_mul_hi_u32 v53, v48, v49
	v_addc_co_u32_e32 v50, vcc, v50, v54, vcc
	v_addc_co_u32_e32 v51, vcc, 0, v53, vcc
	v_mul_lo_u32 v49, v48, v49
	v_add_co_u32_e32 v49, vcc, v50, v49
	v_addc_co_u32_e32 v50, vcc, 0, v51, vcc
	v_add_co_u32_e32 v3, vcc, v3, v49
	v_addc_co_u32_e32 v48, vcc, v48, v50, vcc
	v_mul_lo_u32 v49, s0, v48
	v_mul_hi_u32 v50, s0, v3
	v_add_u32_e32 v49, v50, v49
	v_mul_lo_u32 v50, s1, v3
	v_add_u32_e32 v49, v49, v50
	v_mul_lo_u32 v51, s0, v3
	v_mul_hi_u32 v52, v48, v51
	v_mul_lo_u32 v53, v48, v51
	v_mul_lo_u32 v55, v3, v49
	v_mul_hi_u32 v51, v3, v51
	v_mul_hi_u32 v54, v3, v49
	v_add_co_u32_e32 v51, vcc, v51, v55
	v_addc_co_u32_e32 v54, vcc, 0, v54, vcc
	v_add_co_u32_e32 v51, vcc, v51, v53
	v_mul_hi_u32 v50, v48, v49
	v_addc_co_u32_e32 v51, vcc, v54, v52, vcc
	v_addc_co_u32_e32 v50, vcc, 0, v50, vcc
	v_mul_lo_u32 v49, v48, v49
	v_add_co_u32_e32 v49, vcc, v51, v49
	v_addc_co_u32_e32 v50, vcc, 0, v50, vcc
	v_add_co_u32_e32 v3, vcc, v3, v49
	v_addc_co_u32_e32 v50, vcc, v48, v50, vcc
	v_ashrrev_i32_e32 v52, 31, v1
	v_add_co_u32_e32 v48, vcc, v0, v52
	v_addc_co_u32_e32 v49, vcc, v1, v52, vcc
	v_xor_b32_e32 v54, v48, v52
	v_xor_b32_e32 v53, v49, v52
	v_mad_u64_u32 v[48:49], s[0:1], v54, v50, 0
	v_mul_hi_u32 v51, v54, v3
	v_add_co_u32_e32 v55, vcc, v51, v48
	v_addc_co_u32_e32 v58, vcc, 0, v49, vcc
	v_mad_u64_u32 v[48:49], s[0:1], v53, v50, 0
	v_mad_u64_u32 v[50:51], s[0:1], v53, v3, 0
	v_add_co_u32_e32 v3, vcc, v55, v50
	v_addc_co_u32_e32 v3, vcc, v58, v51, vcc
	v_addc_co_u32_e32 v49, vcc, 0, v49, vcc
	v_add_co_u32_e32 v3, vcc, v3, v48
	v_addc_co_u32_e32 v50, vcc, 0, v49, vcc
	v_mul_lo_u32 v51, s89, v3
	v_mul_lo_u32 v55, s88, v50
	v_mad_u64_u32 v[48:49], s[0:1], s88, v3, 0
	v_add3_u32 v49, v49, v55, v51
	v_sub_u32_e32 v51, v53, v49
	v_mov_b32_e32 v55, s89
	v_sub_co_u32_e32 v48, vcc, v54, v48
	v_subb_co_u32_e64 v51, s[0:1], v51, v55, vcc
	v_subrev_co_u32_e64 v54, s[0:1], s88, v48
	v_subbrev_co_u32_e64 v51, s[0:1], 0, v51, s[0:1]
	v_cmp_le_u32_e64 s[0:1], s89, v51
	v_cndmask_b32_e64 v55, 0, -1, s[0:1]
	v_cmp_le_u32_e64 s[0:1], s88, v54
	v_cndmask_b32_e64 v54, 0, -1, s[0:1]
	v_cmp_eq_u32_e64 s[0:1], s89, v51
	v_cndmask_b32_e64 v51, v55, v54, s[0:1]
	v_add_co_u32_e64 v54, s[0:1], 2, v3
	v_subb_co_u32_e32 v49, vcc, v53, v49, vcc
	v_addc_co_u32_e64 v55, s[0:1], 0, v50, s[0:1]
	v_cmp_le_u32_e32 vcc, s89, v49
	v_add_co_u32_e64 v58, s[0:1], 1, v3
	v_cndmask_b32_e64 v53, 0, -1, vcc
	v_cmp_le_u32_e32 vcc, s88, v48
	v_addc_co_u32_e64 v59, s[0:1], 0, v50, s[0:1]
	v_cndmask_b32_e64 v48, 0, -1, vcc
	v_cmp_eq_u32_e32 vcc, s89, v49
	v_cmp_ne_u32_e64 s[0:1], 0, v51
	v_cndmask_b32_e32 v48, v53, v48, vcc
	v_cmp_ne_u32_e32 vcc, 0, v48
	v_cndmask_b32_e64 v49, v58, v54, s[0:1]
	v_cndmask_b32_e64 v51, v59, v55, s[0:1]
	v_cndmask_b32_e32 v3, v3, v49, vcc
	v_xor_b32_e32 v49, s86, v52
	v_cndmask_b32_e32 v48, v50, v51, vcc
	v_xor_b32_e32 v3, v3, v49
	v_xor_b32_e32 v50, v48, v49
	v_sub_co_u32_e32 v48, vcc, v3, v49
	v_subb_co_u32_e32 v49, vcc, v50, v49, vcc
.LBB19_46:                              ;   in Loop: Header=BB19_4 Depth=1
	s_andn2_saveexec_b64 s[0:1], s[84:85]
	s_cbranch_execz .LBB19_48
; %bb.47:                               ;   in Loop: Header=BB19_4 Depth=1
	v_cvt_f32_u32_e32 v3, s50
	s_sub_i32 s84, 0, s50
	v_rcp_iflag_f32_e32 v3, v3
	v_mul_f32_e32 v3, 0x4f7ffffe, v3
	v_cvt_u32_f32_e32 v3, v3
	v_mul_lo_u32 v48, s84, v3
	v_mul_hi_u32 v48, v3, v48
	v_add_u32_e32 v3, v3, v48
	v_mul_hi_u32 v3, v0, v3
	v_mul_lo_u32 v48, v3, s50
	v_sub_u32_e32 v48, v0, v48
	v_add_u32_e32 v49, 1, v3
	v_subrev_u32_e32 v50, s50, v48
	v_cmp_le_u32_e32 vcc, s50, v48
	v_cndmask_b32_e32 v48, v48, v50, vcc
	v_cndmask_b32_e32 v3, v3, v49, vcc
	v_add_u32_e32 v49, 1, v3
	v_cmp_le_u32_e32 vcc, s50, v48
	v_cndmask_b32_e32 v48, v3, v49, vcc
	v_mov_b32_e32 v49, v2
.LBB19_48:                              ;   in Loop: Header=BB19_4 Depth=1
	s_or_b64 exec, exec, s[0:1]
	v_mad_u64_u32 v[50:51], s[0:1], s95, v48, v[0:1]
	v_mul_lo_u32 v3, s95, v49
	v_mul_lo_u32 v52, s33, v48
	v_add3_u32 v3, v52, v51, v3
	v_mul_lo_u32 v52, v50, s27
	v_mul_lo_u32 v3, v3, s26
	v_mad_u64_u32 v[50:51], s[0:1], v50, s26, 0
	v_add3_u32 v51, v51, v52, v3
	v_mul_lo_u32 v3, v49, s24
	v_mul_lo_u32 v52, v48, s25
	v_mad_u64_u32 v[48:49], s[0:1], v48, s24, 0
	v_add3_u32 v49, v49, v52, v3
	v_lshlrev_b64 v[48:49], 3, v[48:49]
	v_mov_b32_e32 v3, s49
	v_add_co_u32_e32 v52, vcc, s48, v48
	v_addc_co_u32_e32 v3, vcc, v3, v49, vcc
	v_lshlrev_b64 v[48:49], 3, v[50:51]
	v_add_co_u32_e32 v48, vcc, v52, v48
	v_addc_co_u32_e32 v49, vcc, v3, v49, vcc
	global_load_dwordx2 v[48:49], v[48:49], off
	v_or_b32_e32 v3, s63, v1
	v_cmp_ne_u64_e32 vcc, 0, v[2:3]
                                        ; implicit-def: $vgpr52_vgpr53
	s_and_saveexec_b64 s[0:1], vcc
	s_xor_b64 s[84:85], exec, s[0:1]
	s_cbranch_execnz .LBB19_60
; %bb.49:                               ;   in Loop: Header=BB19_4 Depth=1
	s_andn2_saveexec_b64 s[0:1], s[84:85]
	s_cbranch_execnz .LBB19_61
.LBB19_50:                              ;   in Loop: Header=BB19_4 Depth=1
	s_or_b64 exec, exec, s[0:1]
	s_andn2_b64 vcc, exec, s[64:65]
	s_cbranch_vccnz .LBB19_62
.LBB19_51:                              ;   in Loop: Header=BB19_4 Depth=1
	v_or_b32_e32 v3, s55, v1
	v_cmp_ne_u64_e32 vcc, 0, v[2:3]
                                        ; implicit-def: $vgpr50_vgpr51
	s_and_saveexec_b64 s[0:1], vcc
	s_xor_b64 s[84:85], exec, s[0:1]
	s_cbranch_execz .LBB19_53
; %bb.52:                               ;   in Loop: Header=BB19_4 Depth=1
	s_ashr_i32 s86, s55, 31
	s_add_u32 s0, s54, s86
	s_mov_b32 s87, s86
	s_addc_u32 s1, s55, s86
	s_xor_b64 s[88:89], s[0:1], s[86:87]
	v_cvt_f32_u32_e32 v3, s88
	v_cvt_f32_u32_e32 v50, s89
	s_sub_u32 s0, 0, s88
	s_subb_u32 s1, 0, s89
	v_mac_f32_e32 v3, 0x4f800000, v50
	v_rcp_f32_e32 v3, v3
	v_mul_f32_e32 v3, 0x5f7ffffc, v3
	v_mul_f32_e32 v50, 0x2f800000, v3
	v_trunc_f32_e32 v50, v50
	v_mac_f32_e32 v3, 0xcf800000, v50
	v_cvt_u32_f32_e32 v50, v50
	v_cvt_u32_f32_e32 v3, v3
	v_mul_lo_u32 v51, s0, v50
	v_mul_hi_u32 v55, s0, v3
	v_mul_lo_u32 v54, s1, v3
	v_add_u32_e32 v51, v55, v51
	v_mul_lo_u32 v58, s0, v3
	v_add_u32_e32 v51, v51, v54
	v_mul_lo_u32 v55, v3, v51
	v_mul_hi_u32 v59, v3, v58
	v_mul_hi_u32 v54, v3, v51
	v_add_co_u32_e32 v55, vcc, v59, v55
	v_addc_co_u32_e32 v54, vcc, 0, v54, vcc
	v_mul_hi_u32 v60, v50, v58
	v_mul_lo_u32 v58, v50, v58
	v_add_co_u32_e32 v55, vcc, v55, v58
	v_mul_hi_u32 v59, v50, v51
	v_addc_co_u32_e32 v54, vcc, v54, v60, vcc
	v_addc_co_u32_e32 v55, vcc, 0, v59, vcc
	v_mul_lo_u32 v51, v50, v51
	v_add_co_u32_e32 v51, vcc, v54, v51
	v_addc_co_u32_e32 v54, vcc, 0, v55, vcc
	v_add_co_u32_e32 v3, vcc, v3, v51
	v_addc_co_u32_e32 v50, vcc, v50, v54, vcc
	v_mul_lo_u32 v51, s0, v50
	v_mul_hi_u32 v54, s0, v3
	v_add_u32_e32 v51, v54, v51
	v_mul_lo_u32 v54, s1, v3
	v_add_u32_e32 v51, v51, v54
	v_mul_lo_u32 v55, s0, v3
	v_mul_hi_u32 v58, v50, v55
	v_mul_lo_u32 v59, v50, v55
	v_mul_lo_u32 v61, v3, v51
	v_mul_hi_u32 v55, v3, v55
	v_mul_hi_u32 v60, v3, v51
	v_add_co_u32_e32 v55, vcc, v55, v61
	v_addc_co_u32_e32 v60, vcc, 0, v60, vcc
	v_add_co_u32_e32 v55, vcc, v55, v59
	v_mul_hi_u32 v54, v50, v51
	v_addc_co_u32_e32 v55, vcc, v60, v58, vcc
	v_addc_co_u32_e32 v54, vcc, 0, v54, vcc
	v_mul_lo_u32 v51, v50, v51
	v_add_co_u32_e32 v51, vcc, v55, v51
	v_addc_co_u32_e32 v54, vcc, 0, v54, vcc
	v_add_co_u32_e32 v3, vcc, v3, v51
	v_addc_co_u32_e32 v54, vcc, v50, v54, vcc
	v_ashrrev_i32_e32 v58, 31, v1
	v_add_co_u32_e32 v50, vcc, v0, v58
	v_addc_co_u32_e32 v51, vcc, v1, v58, vcc
	v_xor_b32_e32 v60, v50, v58
	v_xor_b32_e32 v59, v51, v58
	v_mad_u64_u32 v[50:51], s[0:1], v60, v54, 0
	v_mul_hi_u32 v55, v60, v3
	v_add_co_u32_e32 v61, vcc, v55, v50
	v_addc_co_u32_e32 v62, vcc, 0, v51, vcc
	v_mad_u64_u32 v[50:51], s[0:1], v59, v54, 0
	v_mad_u64_u32 v[54:55], s[0:1], v59, v3, 0
	v_add_co_u32_e32 v3, vcc, v61, v54
	v_addc_co_u32_e32 v3, vcc, v62, v55, vcc
	v_addc_co_u32_e32 v51, vcc, 0, v51, vcc
	v_add_co_u32_e32 v3, vcc, v3, v50
	v_addc_co_u32_e32 v54, vcc, 0, v51, vcc
	v_mul_lo_u32 v55, s89, v3
	v_mul_lo_u32 v61, s88, v54
	v_mad_u64_u32 v[50:51], s[0:1], s88, v3, 0
	v_add3_u32 v51, v51, v61, v55
	v_sub_u32_e32 v55, v59, v51
	v_mov_b32_e32 v61, s89
	v_sub_co_u32_e32 v50, vcc, v60, v50
	v_subb_co_u32_e64 v55, s[0:1], v55, v61, vcc
	v_subrev_co_u32_e64 v60, s[0:1], s88, v50
	v_subbrev_co_u32_e64 v55, s[0:1], 0, v55, s[0:1]
	v_cmp_le_u32_e64 s[0:1], s89, v55
	v_cndmask_b32_e64 v61, 0, -1, s[0:1]
	v_cmp_le_u32_e64 s[0:1], s88, v60
	v_cndmask_b32_e64 v60, 0, -1, s[0:1]
	v_cmp_eq_u32_e64 s[0:1], s89, v55
	v_cndmask_b32_e64 v55, v61, v60, s[0:1]
	v_add_co_u32_e64 v60, s[0:1], 2, v3
	v_subb_co_u32_e32 v51, vcc, v59, v51, vcc
	v_addc_co_u32_e64 v61, s[0:1], 0, v54, s[0:1]
	v_cmp_le_u32_e32 vcc, s89, v51
	v_add_co_u32_e64 v62, s[0:1], 1, v3
	v_cndmask_b32_e64 v59, 0, -1, vcc
	v_cmp_le_u32_e32 vcc, s88, v50
	v_addc_co_u32_e64 v63, s[0:1], 0, v54, s[0:1]
	v_cndmask_b32_e64 v50, 0, -1, vcc
	v_cmp_eq_u32_e32 vcc, s89, v51
	v_cmp_ne_u32_e64 s[0:1], 0, v55
	v_cndmask_b32_e32 v50, v59, v50, vcc
	v_cmp_ne_u32_e32 vcc, 0, v50
	v_cndmask_b32_e64 v51, v62, v60, s[0:1]
	v_cndmask_b32_e64 v55, v63, v61, s[0:1]
	v_cndmask_b32_e32 v3, v3, v51, vcc
	v_xor_b32_e32 v51, s86, v58
	v_cndmask_b32_e32 v50, v54, v55, vcc
	v_xor_b32_e32 v3, v3, v51
	v_xor_b32_e32 v54, v50, v51
	v_sub_co_u32_e32 v50, vcc, v3, v51
	v_subb_co_u32_e32 v51, vcc, v54, v51, vcc
.LBB19_53:                              ;   in Loop: Header=BB19_4 Depth=1
	s_andn2_saveexec_b64 s[0:1], s[84:85]
	s_cbranch_execz .LBB19_55
; %bb.54:                               ;   in Loop: Header=BB19_4 Depth=1
	v_cvt_f32_u32_e32 v3, s54
	s_sub_i32 s84, 0, s54
	v_rcp_iflag_f32_e32 v3, v3
	v_mul_f32_e32 v3, 0x4f7ffffe, v3
	v_cvt_u32_f32_e32 v3, v3
	v_mul_lo_u32 v50, s84, v3
	v_mul_hi_u32 v50, v3, v50
	v_add_u32_e32 v3, v3, v50
	v_mul_hi_u32 v3, v0, v3
	v_mul_lo_u32 v50, v3, s54
	v_sub_u32_e32 v50, v0, v50
	v_add_u32_e32 v51, 1, v3
	v_subrev_u32_e32 v54, s54, v50
	v_cmp_le_u32_e32 vcc, s54, v50
	v_cndmask_b32_e32 v50, v50, v54, vcc
	v_cndmask_b32_e32 v3, v3, v51, vcc
	v_add_u32_e32 v51, 1, v3
	v_cmp_le_u32_e32 vcc, s54, v50
	v_cndmask_b32_e32 v50, v3, v51, vcc
	v_mov_b32_e32 v51, v2
.LBB19_55:                              ;   in Loop: Header=BB19_4 Depth=1
	s_or_b64 exec, exec, s[0:1]
	v_mad_u64_u32 v[54:55], s[0:1], s71, v50, v[0:1]
	v_mul_lo_u32 v3, s71, v51
	v_mul_lo_u32 v58, s72, v50
	v_add3_u32 v3, v58, v55, v3
	v_mul_lo_u32 v58, v54, s31
	v_mul_lo_u32 v3, v3, s30
	v_mad_u64_u32 v[54:55], s[0:1], v54, s30, 0
	v_add3_u32 v55, v55, v58, v3
	v_mul_lo_u32 v3, v51, s28
	v_mul_lo_u32 v58, v50, s29
	v_mad_u64_u32 v[50:51], s[0:1], v50, s28, 0
	v_add3_u32 v51, v51, v58, v3
	v_lshlrev_b64 v[50:51], 3, v[50:51]
	v_mov_b32_e32 v3, s53
	v_add_co_u32_e32 v58, vcc, s52, v50
	v_addc_co_u32_e32 v3, vcc, v3, v51, vcc
	v_lshlrev_b64 v[50:51], 3, v[54:55]
	v_add_co_u32_e32 v50, vcc, v58, v50
	v_addc_co_u32_e32 v51, vcc, v3, v51, vcc
	global_load_dwordx2 v[50:51], v[50:51], off
	s_andn2_b64 vcc, exec, s[66:67]
	s_cbranch_vccnz .LBB19_63
.LBB19_56:                              ;   in Loop: Header=BB19_4 Depth=1
	v_or_b32_e32 v3, s59, v1
	v_cmp_ne_u64_e32 vcc, 0, v[2:3]
                                        ; implicit-def: $vgpr54_vgpr55
	s_and_saveexec_b64 s[0:1], vcc
	s_xor_b64 s[84:85], exec, s[0:1]
	s_cbranch_execz .LBB19_58
; %bb.57:                               ;   in Loop: Header=BB19_4 Depth=1
	s_ashr_i32 s86, s59, 31
	s_add_u32 s0, s58, s86
	s_mov_b32 s87, s86
	s_addc_u32 s1, s59, s86
	s_xor_b64 s[88:89], s[0:1], s[86:87]
	v_cvt_f32_u32_e32 v3, s88
	v_cvt_f32_u32_e32 v54, s89
	s_sub_u32 s0, 0, s88
	s_subb_u32 s1, 0, s89
	v_mac_f32_e32 v3, 0x4f800000, v54
	v_rcp_f32_e32 v3, v3
	v_mul_f32_e32 v3, 0x5f7ffffc, v3
	v_mul_f32_e32 v54, 0x2f800000, v3
	v_trunc_f32_e32 v54, v54
	v_mac_f32_e32 v3, 0xcf800000, v54
	v_cvt_u32_f32_e32 v54, v54
	v_cvt_u32_f32_e32 v3, v3
	v_mul_lo_u32 v55, s0, v54
	v_mul_hi_u32 v59, s0, v3
	v_mul_lo_u32 v58, s1, v3
	v_add_u32_e32 v55, v59, v55
	v_mul_lo_u32 v60, s0, v3
	v_add_u32_e32 v55, v55, v58
	v_mul_lo_u32 v59, v3, v55
	v_mul_hi_u32 v61, v3, v60
	v_mul_hi_u32 v58, v3, v55
	v_add_co_u32_e32 v59, vcc, v61, v59
	v_addc_co_u32_e32 v58, vcc, 0, v58, vcc
	v_mul_hi_u32 v62, v54, v60
	v_mul_lo_u32 v60, v54, v60
	v_add_co_u32_e32 v59, vcc, v59, v60
	v_mul_hi_u32 v61, v54, v55
	v_addc_co_u32_e32 v58, vcc, v58, v62, vcc
	v_addc_co_u32_e32 v59, vcc, 0, v61, vcc
	v_mul_lo_u32 v55, v54, v55
	v_add_co_u32_e32 v55, vcc, v58, v55
	v_addc_co_u32_e32 v58, vcc, 0, v59, vcc
	v_add_co_u32_e32 v3, vcc, v3, v55
	v_addc_co_u32_e32 v54, vcc, v54, v58, vcc
	v_mul_lo_u32 v55, s0, v54
	v_mul_hi_u32 v58, s0, v3
	v_add_u32_e32 v55, v58, v55
	v_mul_lo_u32 v58, s1, v3
	v_add_u32_e32 v55, v55, v58
	v_mul_lo_u32 v59, s0, v3
	v_mul_hi_u32 v60, v54, v59
	v_mul_lo_u32 v61, v54, v59
	v_mul_lo_u32 v63, v3, v55
	v_mul_hi_u32 v59, v3, v59
	v_mul_hi_u32 v62, v3, v55
	v_add_co_u32_e32 v59, vcc, v59, v63
	v_addc_co_u32_e32 v62, vcc, 0, v62, vcc
	v_add_co_u32_e32 v59, vcc, v59, v61
	v_mul_hi_u32 v58, v54, v55
	v_addc_co_u32_e32 v59, vcc, v62, v60, vcc
	v_addc_co_u32_e32 v58, vcc, 0, v58, vcc
	v_mul_lo_u32 v55, v54, v55
	v_add_co_u32_e32 v55, vcc, v59, v55
	v_addc_co_u32_e32 v58, vcc, 0, v58, vcc
	v_add_co_u32_e32 v3, vcc, v3, v55
	v_addc_co_u32_e32 v58, vcc, v54, v58, vcc
	v_ashrrev_i32_e32 v60, 31, v1
	v_add_co_u32_e32 v54, vcc, v0, v60
	v_addc_co_u32_e32 v55, vcc, v1, v60, vcc
	v_xor_b32_e32 v62, v54, v60
	v_xor_b32_e32 v61, v55, v60
	v_mad_u64_u32 v[54:55], s[0:1], v62, v58, 0
	v_mul_hi_u32 v59, v62, v3
	v_add_co_u32_e32 v63, vcc, v59, v54
	v_addc_co_u32_e32 v64, vcc, 0, v55, vcc
	v_mad_u64_u32 v[54:55], s[0:1], v61, v58, 0
	v_mad_u64_u32 v[58:59], s[0:1], v61, v3, 0
	v_add_co_u32_e32 v3, vcc, v63, v58
	v_addc_co_u32_e32 v3, vcc, v64, v59, vcc
	v_addc_co_u32_e32 v55, vcc, 0, v55, vcc
	v_add_co_u32_e32 v3, vcc, v3, v54
	v_addc_co_u32_e32 v58, vcc, 0, v55, vcc
	v_mul_lo_u32 v59, s89, v3
	v_mul_lo_u32 v63, s88, v58
	v_mad_u64_u32 v[54:55], s[0:1], s88, v3, 0
	v_add3_u32 v55, v55, v63, v59
	v_sub_u32_e32 v59, v61, v55
	v_mov_b32_e32 v63, s89
	v_sub_co_u32_e32 v54, vcc, v62, v54
	v_subb_co_u32_e64 v59, s[0:1], v59, v63, vcc
	v_subrev_co_u32_e64 v62, s[0:1], s88, v54
	v_subbrev_co_u32_e64 v59, s[0:1], 0, v59, s[0:1]
	v_cmp_le_u32_e64 s[0:1], s89, v59
	v_cndmask_b32_e64 v63, 0, -1, s[0:1]
	v_cmp_le_u32_e64 s[0:1], s88, v62
	v_cndmask_b32_e64 v62, 0, -1, s[0:1]
	v_cmp_eq_u32_e64 s[0:1], s89, v59
	v_cndmask_b32_e64 v59, v63, v62, s[0:1]
	v_add_co_u32_e64 v62, s[0:1], 2, v3
	v_subb_co_u32_e32 v55, vcc, v61, v55, vcc
	v_addc_co_u32_e64 v63, s[0:1], 0, v58, s[0:1]
	v_cmp_le_u32_e32 vcc, s89, v55
	v_add_co_u32_e64 v64, s[0:1], 1, v3
	v_cndmask_b32_e64 v61, 0, -1, vcc
	v_cmp_le_u32_e32 vcc, s88, v54
	v_addc_co_u32_e64 v65, s[0:1], 0, v58, s[0:1]
	v_cndmask_b32_e64 v54, 0, -1, vcc
	v_cmp_eq_u32_e32 vcc, s89, v55
	v_cmp_ne_u32_e64 s[0:1], 0, v59
	v_cndmask_b32_e32 v54, v61, v54, vcc
	v_cmp_ne_u32_e32 vcc, 0, v54
	v_cndmask_b32_e64 v55, v64, v62, s[0:1]
	v_cndmask_b32_e64 v59, v65, v63, s[0:1]
	v_cndmask_b32_e32 v3, v3, v55, vcc
	v_xor_b32_e32 v55, s86, v60
	v_cndmask_b32_e32 v54, v58, v59, vcc
	v_xor_b32_e32 v3, v3, v55
	v_xor_b32_e32 v58, v54, v55
	v_sub_co_u32_e32 v54, vcc, v3, v55
	v_subb_co_u32_e32 v55, vcc, v58, v55, vcc
.LBB19_58:                              ;   in Loop: Header=BB19_4 Depth=1
	s_andn2_saveexec_b64 s[0:1], s[84:85]
	s_cbranch_execz .LBB19_2
; %bb.59:                               ;   in Loop: Header=BB19_4 Depth=1
	v_cvt_f32_u32_e32 v3, s58
	s_sub_i32 s84, 0, s58
	v_rcp_iflag_f32_e32 v3, v3
	v_mul_f32_e32 v3, 0x4f7ffffe, v3
	v_cvt_u32_f32_e32 v3, v3
	v_mul_lo_u32 v54, s84, v3
	v_mul_hi_u32 v54, v3, v54
	v_add_u32_e32 v3, v3, v54
	v_mul_hi_u32 v3, v0, v3
	v_mul_lo_u32 v54, v3, s58
	v_sub_u32_e32 v54, v0, v54
	v_add_u32_e32 v55, 1, v3
	v_subrev_u32_e32 v58, s58, v54
	v_cmp_le_u32_e32 vcc, s58, v54
	v_cndmask_b32_e32 v54, v54, v58, vcc
	v_cndmask_b32_e32 v3, v3, v55, vcc
	v_add_u32_e32 v55, 1, v3
	v_cmp_le_u32_e32 vcc, s58, v54
	v_cndmask_b32_e32 v54, v3, v55, vcc
	v_mov_b32_e32 v55, v2
	s_branch .LBB19_2
.LBB19_60:                              ;   in Loop: Header=BB19_4 Depth=1
	s_ashr_i32 s86, s63, 31
	s_add_u32 s0, s62, s86
	s_mov_b32 s87, s86
	s_addc_u32 s1, s63, s86
	s_xor_b64 s[88:89], s[0:1], s[86:87]
	v_cvt_f32_u32_e32 v3, s88
	v_cvt_f32_u32_e32 v50, s89
	s_sub_u32 s0, 0, s88
	s_subb_u32 s1, 0, s89
	v_mac_f32_e32 v3, 0x4f800000, v50
	v_rcp_f32_e32 v3, v3
	v_mul_f32_e32 v3, 0x5f7ffffc, v3
	v_mul_f32_e32 v50, 0x2f800000, v3
	v_trunc_f32_e32 v50, v50
	v_mac_f32_e32 v3, 0xcf800000, v50
	v_cvt_u32_f32_e32 v50, v50
	v_cvt_u32_f32_e32 v3, v3
	v_mul_lo_u32 v51, s0, v50
	v_mul_hi_u32 v53, s0, v3
	v_mul_lo_u32 v52, s1, v3
	v_add_u32_e32 v51, v53, v51
	v_mul_lo_u32 v54, s0, v3
	v_add_u32_e32 v51, v51, v52
	v_mul_lo_u32 v53, v3, v51
	v_mul_hi_u32 v55, v3, v54
	v_mul_hi_u32 v52, v3, v51
	v_add_co_u32_e32 v53, vcc, v55, v53
	v_addc_co_u32_e32 v52, vcc, 0, v52, vcc
	v_mul_hi_u32 v58, v50, v54
	v_mul_lo_u32 v54, v50, v54
	v_add_co_u32_e32 v53, vcc, v53, v54
	v_mul_hi_u32 v55, v50, v51
	v_addc_co_u32_e32 v52, vcc, v52, v58, vcc
	v_addc_co_u32_e32 v53, vcc, 0, v55, vcc
	v_mul_lo_u32 v51, v50, v51
	v_add_co_u32_e32 v51, vcc, v52, v51
	v_addc_co_u32_e32 v52, vcc, 0, v53, vcc
	v_add_co_u32_e32 v3, vcc, v3, v51
	v_addc_co_u32_e32 v50, vcc, v50, v52, vcc
	v_mul_lo_u32 v51, s0, v50
	v_mul_hi_u32 v52, s0, v3
	v_add_u32_e32 v51, v52, v51
	v_mul_lo_u32 v52, s1, v3
	v_add_u32_e32 v51, v51, v52
	v_mul_lo_u32 v53, s0, v3
	v_mul_hi_u32 v54, v50, v53
	v_mul_lo_u32 v55, v50, v53
	v_mul_lo_u32 v59, v3, v51
	v_mul_hi_u32 v53, v3, v53
	v_mul_hi_u32 v58, v3, v51
	v_add_co_u32_e32 v53, vcc, v53, v59
	v_addc_co_u32_e32 v58, vcc, 0, v58, vcc
	v_add_co_u32_e32 v53, vcc, v53, v55
	v_mul_hi_u32 v52, v50, v51
	v_addc_co_u32_e32 v53, vcc, v58, v54, vcc
	v_addc_co_u32_e32 v52, vcc, 0, v52, vcc
	v_mul_lo_u32 v51, v50, v51
	v_add_co_u32_e32 v51, vcc, v53, v51
	v_addc_co_u32_e32 v52, vcc, 0, v52, vcc
	v_add_co_u32_e32 v3, vcc, v3, v51
	v_addc_co_u32_e32 v52, vcc, v50, v52, vcc
	v_ashrrev_i32_e32 v54, 31, v1
	v_add_co_u32_e32 v50, vcc, v0, v54
	v_addc_co_u32_e32 v51, vcc, v1, v54, vcc
	v_xor_b32_e32 v58, v50, v54
	v_xor_b32_e32 v55, v51, v54
	v_mad_u64_u32 v[50:51], s[0:1], v58, v52, 0
	v_mul_hi_u32 v53, v58, v3
	v_add_co_u32_e32 v59, vcc, v53, v50
	v_addc_co_u32_e32 v60, vcc, 0, v51, vcc
	v_mad_u64_u32 v[50:51], s[0:1], v55, v52, 0
	v_mad_u64_u32 v[52:53], s[0:1], v55, v3, 0
	v_add_co_u32_e32 v3, vcc, v59, v52
	v_addc_co_u32_e32 v3, vcc, v60, v53, vcc
	v_addc_co_u32_e32 v51, vcc, 0, v51, vcc
	v_add_co_u32_e32 v3, vcc, v3, v50
	v_addc_co_u32_e32 v52, vcc, 0, v51, vcc
	v_mul_lo_u32 v53, s89, v3
	v_mul_lo_u32 v59, s88, v52
	v_mad_u64_u32 v[50:51], s[0:1], s88, v3, 0
	v_add3_u32 v51, v51, v59, v53
	v_sub_u32_e32 v53, v55, v51
	v_mov_b32_e32 v59, s89
	v_sub_co_u32_e32 v50, vcc, v58, v50
	v_subb_co_u32_e64 v53, s[0:1], v53, v59, vcc
	v_subrev_co_u32_e64 v58, s[0:1], s88, v50
	v_subbrev_co_u32_e64 v53, s[0:1], 0, v53, s[0:1]
	v_cmp_le_u32_e64 s[0:1], s89, v53
	v_cndmask_b32_e64 v59, 0, -1, s[0:1]
	v_cmp_le_u32_e64 s[0:1], s88, v58
	v_cndmask_b32_e64 v58, 0, -1, s[0:1]
	v_cmp_eq_u32_e64 s[0:1], s89, v53
	v_cndmask_b32_e64 v53, v59, v58, s[0:1]
	v_add_co_u32_e64 v58, s[0:1], 2, v3
	v_subb_co_u32_e32 v51, vcc, v55, v51, vcc
	v_addc_co_u32_e64 v59, s[0:1], 0, v52, s[0:1]
	v_cmp_le_u32_e32 vcc, s89, v51
	v_add_co_u32_e64 v60, s[0:1], 1, v3
	v_cndmask_b32_e64 v55, 0, -1, vcc
	v_cmp_le_u32_e32 vcc, s88, v50
	v_addc_co_u32_e64 v61, s[0:1], 0, v52, s[0:1]
	v_cndmask_b32_e64 v50, 0, -1, vcc
	v_cmp_eq_u32_e32 vcc, s89, v51
	v_cmp_ne_u32_e64 s[0:1], 0, v53
	v_cndmask_b32_e32 v50, v55, v50, vcc
	v_cmp_ne_u32_e32 vcc, 0, v50
	v_cndmask_b32_e64 v51, v60, v58, s[0:1]
	v_cndmask_b32_e64 v53, v61, v59, s[0:1]
	v_cndmask_b32_e32 v3, v3, v51, vcc
	v_xor_b32_e32 v51, s86, v54
	v_cndmask_b32_e32 v50, v52, v53, vcc
	v_xor_b32_e32 v3, v3, v51
	v_xor_b32_e32 v50, v50, v51
	v_sub_co_u32_e32 v52, vcc, v3, v51
	v_subb_co_u32_e32 v53, vcc, v50, v51, vcc
	s_andn2_saveexec_b64 s[0:1], s[84:85]
	s_cbranch_execz .LBB19_50
.LBB19_61:                              ;   in Loop: Header=BB19_4 Depth=1
	v_cvt_f32_u32_e32 v3, s62
	s_sub_i32 s84, 0, s62
	v_mov_b32_e32 v53, v2
	v_rcp_iflag_f32_e32 v3, v3
	v_mul_f32_e32 v3, 0x4f7ffffe, v3
	v_cvt_u32_f32_e32 v3, v3
	v_mul_lo_u32 v50, s84, v3
	v_mul_hi_u32 v50, v3, v50
	v_add_u32_e32 v3, v3, v50
	v_mul_hi_u32 v3, v0, v3
	v_mul_lo_u32 v50, v3, s62
	v_sub_u32_e32 v50, v0, v50
	v_add_u32_e32 v51, 1, v3
	v_subrev_u32_e32 v52, s62, v50
	v_cmp_le_u32_e32 vcc, s62, v50
	v_cndmask_b32_e32 v50, v50, v52, vcc
	v_cndmask_b32_e32 v3, v3, v51, vcc
	v_add_u32_e32 v51, 1, v3
	v_cmp_le_u32_e32 vcc, s62, v50
	v_cndmask_b32_e32 v52, v3, v51, vcc
	s_or_b64 exec, exec, s[0:1]
	s_andn2_b64 vcc, exec, s[64:65]
	s_cbranch_vccz .LBB19_51
.LBB19_62:                              ;   in Loop: Header=BB19_4 Depth=1
	v_pk_mov_b32 v[50:51], 0, 0
	s_andn2_b64 vcc, exec, s[66:67]
	s_cbranch_vccz .LBB19_56
.LBB19_63:                              ;   in Loop: Header=BB19_4 Depth=1
	v_pk_mov_b32 v[54:55], 0, 0
	s_branch .LBB19_3
.LBB19_64:
	s_endpgm
	.section	.rodata,"a",@progbits
	.p2align	6, 0x0
	.amdhsa_kernel _ZN2at6native12_GLOBAL__N_16kernel18lstm_cell_backwardIddlLi2EEEvNS_4cuda6detail10TensorInfoIT_T1_EES9_S9_S9_S9_S9_S9_S8_S8_
		.amdhsa_group_segment_fixed_size 0
		.amdhsa_private_segment_fixed_size 0
		.amdhsa_kernarg_size 3184
		.amdhsa_user_sgpr_count 6
		.amdhsa_user_sgpr_private_segment_buffer 1
		.amdhsa_user_sgpr_dispatch_ptr 0
		.amdhsa_user_sgpr_queue_ptr 0
		.amdhsa_user_sgpr_kernarg_segment_ptr 1
		.amdhsa_user_sgpr_dispatch_id 0
		.amdhsa_user_sgpr_flat_scratch_init 0
		.amdhsa_user_sgpr_kernarg_preload_length 0
		.amdhsa_user_sgpr_kernarg_preload_offset 0
		.amdhsa_user_sgpr_private_segment_size 0
		.amdhsa_uses_dynamic_stack 0
		.amdhsa_system_sgpr_private_segment_wavefront_offset 0
		.amdhsa_system_sgpr_workgroup_id_x 1
		.amdhsa_system_sgpr_workgroup_id_y 0
		.amdhsa_system_sgpr_workgroup_id_z 0
		.amdhsa_system_sgpr_workgroup_info 0
		.amdhsa_system_vgpr_workitem_id 0
		.amdhsa_next_free_vgpr 71
		.amdhsa_next_free_sgpr 96
		.amdhsa_accum_offset 72
		.amdhsa_reserve_vcc 1
		.amdhsa_reserve_flat_scratch 0
		.amdhsa_float_round_mode_32 0
		.amdhsa_float_round_mode_16_64 0
		.amdhsa_float_denorm_mode_32 3
		.amdhsa_float_denorm_mode_16_64 3
		.amdhsa_dx10_clamp 1
		.amdhsa_ieee_mode 1
		.amdhsa_fp16_overflow 0
		.amdhsa_tg_split 0
		.amdhsa_exception_fp_ieee_invalid_op 0
		.amdhsa_exception_fp_denorm_src 0
		.amdhsa_exception_fp_ieee_div_zero 0
		.amdhsa_exception_fp_ieee_overflow 0
		.amdhsa_exception_fp_ieee_underflow 0
		.amdhsa_exception_fp_ieee_inexact 0
		.amdhsa_exception_int_div_zero 0
	.end_amdhsa_kernel
	.section	.text._ZN2at6native12_GLOBAL__N_16kernel18lstm_cell_backwardIddlLi2EEEvNS_4cuda6detail10TensorInfoIT_T1_EES9_S9_S9_S9_S9_S9_S8_S8_,"axG",@progbits,_ZN2at6native12_GLOBAL__N_16kernel18lstm_cell_backwardIddlLi2EEEvNS_4cuda6detail10TensorInfoIT_T1_EES9_S9_S9_S9_S9_S9_S8_S8_,comdat
.Lfunc_end19:
	.size	_ZN2at6native12_GLOBAL__N_16kernel18lstm_cell_backwardIddlLi2EEEvNS_4cuda6detail10TensorInfoIT_T1_EES9_S9_S9_S9_S9_S9_S8_S8_, .Lfunc_end19-_ZN2at6native12_GLOBAL__N_16kernel18lstm_cell_backwardIddlLi2EEEvNS_4cuda6detail10TensorInfoIT_T1_EES9_S9_S9_S9_S9_S9_S8_S8_
                                        ; -- End function
	.section	.AMDGPU.csdata,"",@progbits
; Kernel info:
; codeLenInByte = 15340
; NumSgprs: 100
; NumVgprs: 71
; NumAgprs: 0
; TotalNumVgprs: 71
; ScratchSize: 0
; MemoryBound: 0
; FloatMode: 240
; IeeeMode: 1
; LDSByteSize: 0 bytes/workgroup (compile time only)
; SGPRBlocks: 12
; VGPRBlocks: 8
; NumSGPRsForWavesPerEU: 100
; NumVGPRsForWavesPerEU: 71
; AccumOffset: 72
; Occupancy: 7
; WaveLimiterHint : 1
; COMPUTE_PGM_RSRC2:SCRATCH_EN: 0
; COMPUTE_PGM_RSRC2:USER_SGPR: 6
; COMPUTE_PGM_RSRC2:TRAP_HANDLER: 0
; COMPUTE_PGM_RSRC2:TGID_X_EN: 1
; COMPUTE_PGM_RSRC2:TGID_Y_EN: 0
; COMPUTE_PGM_RSRC2:TGID_Z_EN: 0
; COMPUTE_PGM_RSRC2:TIDIG_COMP_CNT: 0
; COMPUTE_PGM_RSRC3_GFX90A:ACCUM_OFFSET: 17
; COMPUTE_PGM_RSRC3_GFX90A:TG_SPLIT: 0
	.section	.text._ZN2at6native12_GLOBAL__N_16kernel18lstm_cell_backwardIffiLi1EEEvNS_4cuda6detail10TensorInfoIT_T1_EES9_S9_S9_S9_S9_S9_S8_S8_,"axG",@progbits,_ZN2at6native12_GLOBAL__N_16kernel18lstm_cell_backwardIffiLi1EEEvNS_4cuda6detail10TensorInfoIT_T1_EES9_S9_S9_S9_S9_S9_S8_S8_,comdat
	.globl	_ZN2at6native12_GLOBAL__N_16kernel18lstm_cell_backwardIffiLi1EEEvNS_4cuda6detail10TensorInfoIT_T1_EES9_S9_S9_S9_S9_S9_S8_S8_ ; -- Begin function _ZN2at6native12_GLOBAL__N_16kernel18lstm_cell_backwardIffiLi1EEEvNS_4cuda6detail10TensorInfoIT_T1_EES9_S9_S9_S9_S9_S9_S8_S8_
	.p2align	8
	.type	_ZN2at6native12_GLOBAL__N_16kernel18lstm_cell_backwardIffiLi1EEEvNS_4cuda6detail10TensorInfoIT_T1_EES9_S9_S9_S9_S9_S9_S8_S8_,@function
_ZN2at6native12_GLOBAL__N_16kernel18lstm_cell_backwardIffiLi1EEEvNS_4cuda6detail10TensorInfoIT_T1_EES9_S9_S9_S9_S9_S9_S8_S8_: ; @_ZN2at6native12_GLOBAL__N_16kernel18lstm_cell_backwardIffiLi1EEEvNS_4cuda6detail10TensorInfoIT_T1_EES9_S9_S9_S9_S9_S9_S8_S8_
; %bb.0:
	s_load_dword s7, s[4:5], 0x5fc
	s_load_dwordx2 s[2:3], s[4:5], 0x5e8
	s_add_u32 s0, s4, 0x5f0
	s_addc_u32 s1, s5, 0
	s_waitcnt lgkmcnt(0)
	s_and_b32 s22, s7, 0xffff
	s_mul_i32 s6, s6, s22
	v_add_u32_e32 v0, s6, v0
	v_cmp_gt_i32_e32 vcc, s3, v0
	s_and_saveexec_b64 s[6:7], vcc
	s_cbranch_execz .LBB20_11
; %bb.1:
	s_load_dwordx2 s[6:7], s[4:5], 0x360
	s_load_dword s23, s[4:5], 0x3cc
	s_load_dwordx2 s[8:9], s[4:5], 0x438
	s_load_dwordx2 s[10:11], s[4:5], 0x0
	s_load_dword s24, s[4:5], 0x6c
	s_load_dwordx2 s[12:13], s[4:5], 0xd8
	s_load_dword s25, s[4:5], 0x144
	s_load_dword s35, s[4:5], 0x4a4
	s_waitcnt lgkmcnt(0)
	s_cmp_lg_u64 s[6:7], 0
	s_cselect_b64 s[36:37], -1, 0
	s_cmp_lg_u64 s[8:9], 0
	s_cselect_b64 s[14:15], -1, 0
	s_abs_i32 s26, s2
	v_cvt_f32_u32_e32 v1, s26
	s_load_dwordx2 s[16:17], s[4:5], 0x1b0
	s_load_dword s30, s[4:5], 0x21c
	s_load_dwordx2 s[18:19], s[4:5], 0x288
	s_load_dword s31, s[4:5], 0x2f4
	s_load_dword s27, s[0:1], 0x0
	s_load_dwordx2 s[20:21], s[4:5], 0x510
	s_nop 0
	s_load_dword s0, s[4:5], 0x57c
	s_sub_i32 s1, 0, s26
	v_rcp_iflag_f32_e32 v1, v1
	v_cndmask_b32_e64 v3, 0, 1, s[36:37]
	s_waitcnt lgkmcnt(0)
	s_mul_i32 s27, s27, s22
	s_mov_b64 s[4:5], 0
	v_mul_f32_e32 v1, 0x4f7ffffe, v1
	v_cvt_u32_f32_e32 v1, v1
	s_ashr_i32 s28, s2, 31
	s_mul_i32 s29, s2, 3
	v_mul_lo_u32 v4, v0, s31
	v_mul_lo_u32 v2, s1, v1
	v_mul_hi_u32 v2, v1, v2
	v_add_u32_e32 v1, v1, v2
	v_mul_lo_u32 v2, v0, s30
	s_mul_i32 s30, s27, s30
	s_mul_i32 s31, s27, s31
	v_mul_lo_u32 v6, v0, s0
	s_mul_i32 s33, s27, s0
	v_mul_lo_u32 v8, v0, s23
	;; [unrolled: 2-line block ×3, first 2 shown]
	s_mul_i32 s35, s27, s35
	v_mov_b32_e32 v18, s11
	v_mov_b32_e32 v19, s17
	;; [unrolled: 1-line block ×3, first 2 shown]
	v_cmp_ne_u32_e64 s[0:1], 1, v3
	s_mov_b32 s11, 0x3f200000
	s_mov_b32 s17, 0x3fb8aa3b
	;; [unrolled: 1-line block ×4, first 2 shown]
	v_mov_b32_e32 v21, 0xbd5c1c4e
	v_mov_b32_e32 v22, 0x3e088382
	;; [unrolled: 1-line block ×3, first 2 shown]
	s_brev_b32 s37, -2
	v_mov_b32_e32 v24, 0x7f800000
	s_branch .LBB20_3
.LBB20_2:                               ;   in Loop: Header=BB20_3 Depth=1
	s_or_b64 exec, exec, s[22:23]
	v_mul_lo_u32 v28, v12, s25
	v_ashrrev_i32_e32 v29, 31, v28
	v_lshlrev_b64 v[28:29], 2, v[28:29]
	v_mul_lo_u32 v30, v7, s25
	v_mov_b32_e32 v12, s13
	v_add_co_u32_e32 v28, vcc, s12, v28
	v_ashrrev_i32_e32 v31, 31, v30
	v_addc_co_u32_e32 v29, vcc, v12, v29, vcc
	v_lshlrev_b64 v[30:31], 2, v[30:31]
	v_mul_lo_u32 v32, v14, s25
	v_add_co_u32_e32 v30, vcc, s12, v30
	v_ashrrev_i32_e32 v33, 31, v32
	v_addc_co_u32_e32 v31, vcc, v12, v31, vcc
	v_lshlrev_b64 v[32:33], 2, v[32:33]
	v_mul_lo_u32 v34, v16, s25
	v_add_co_u32_e32 v32, vcc, s12, v32
	v_ashrrev_i32_e32 v35, 31, v34
	v_addc_co_u32_e32 v33, vcc, v12, v33, vcc
	v_lshlrev_b64 v[34:35], 2, v[34:35]
	v_add_co_u32_e32 v34, vcc, s12, v34
	v_ashrrev_i32_e32 v7, 31, v6
	v_addc_co_u32_e32 v35, vcc, v12, v35, vcc
	v_lshlrev_b64 v[36:37], 2, v[6:7]
	v_mov_b32_e32 v7, s21
	v_add_co_u32_e32 v36, vcc, s20, v36
	v_bfi_b32 v5, s37, v26, v5
	v_addc_co_u32_e32 v37, vcc, v7, v37, vcc
	v_mul_f32_e32 v7, v9, v5
	v_mul_f32_e32 v9, v13, v9
	v_fma_f32 v5, -v5, v5, 1.0
	s_waitcnt vmcnt(0)
	v_fmac_f32_e32 v11, v9, v5
	v_mul_f32_e32 v5, v17, v11
	v_sub_f32_e32 v12, 1.0, v25
	v_mul_f32_e32 v3, v3, v11
	v_mul_f32_e32 v5, v12, v5
	v_sub_f32_e32 v12, 1.0, v15
	v_mul_f32_e32 v9, v25, v11
	v_mul_f32_e32 v3, v12, v3
	v_fma_f32 v12, -v17, v17, 1.0
	v_add_u32_e32 v0, s27, v0
	v_mul_f32_e32 v9, v12, v9
	v_sub_f32_e32 v12, 1.0, v13
	v_cmp_le_i32_e32 vcc, s3, v0
	v_mul_f32_e32 v5, v25, v5
	v_mul_f32_e32 v7, v12, v7
	v_add_u32_e32 v2, s30, v2
	v_add_u32_e32 v4, s31, v4
	;; [unrolled: 1-line block ×4, first 2 shown]
	s_or_b64 s[4:5], vcc, s[4:5]
	v_add_u32_e32 v10, s35, v10
	v_mul_f32_e32 v11, v15, v11
	v_mul_f32_e32 v3, v15, v3
	;; [unrolled: 1-line block ×3, first 2 shown]
	global_store_dword v[28:29], v5, off
	global_store_dword v[30:31], v3, off
	;; [unrolled: 1-line block ×5, first 2 shown]
	s_andn2_b64 exec, exec, s[4:5]
	s_cbranch_execz .LBB20_11
.LBB20_3:                               ; =>This Inner Loop Header: Depth=1
	v_sub_u32_e32 v5, 0, v0
	v_max_i32_e32 v5, v0, v5
	v_mul_hi_u32 v7, v5, v1
	v_mul_lo_u32 v9, v7, s26
	v_sub_u32_e32 v5, v5, v9
	v_add_u32_e32 v9, 1, v7
	v_cmp_le_u32_e32 vcc, s26, v5
	v_cndmask_b32_e32 v7, v7, v9, vcc
	v_subrev_u32_e32 v9, s26, v5
	v_cndmask_b32_e32 v5, v5, v9, vcc
	v_ashrrev_i32_e32 v3, 31, v0
	v_add_u32_e32 v9, 1, v7
	v_cmp_le_u32_e32 vcc, s26, v5
	v_xor_b32_e32 v3, s28, v3
	v_cndmask_b32_e32 v5, v7, v9, vcc
	v_xor_b32_e32 v5, v5, v3
	v_sub_u32_e32 v7, v5, v3
	v_mad_u64_u32 v[12:13], s[22:23], s29, v7, v[0:1]
	v_lshl_add_u32 v5, v5, 1, v5
	v_mul_i32_i24_e32 v3, 3, v3
	v_mul_lo_u32 v14, v12, s24
	v_sub_u32_e32 v3, v5, v3
	v_ashrrev_i32_e32 v15, 31, v14
	v_mul_lo_u32 v5, s2, v3
	v_lshlrev_b64 v[14:15], 2, v[14:15]
	v_add3_u32 v7, v5, s2, v0
	v_add_co_u32_e32 v26, vcc, s10, v14
	v_mul_lo_u32 v14, v7, s24
	v_addc_co_u32_e32 v27, vcc, v18, v15, vcc
	v_ashrrev_i32_e32 v15, 31, v14
	v_lshlrev_b64 v[14:15], 2, v[14:15]
	v_add_co_u32_e32 v28, vcc, s10, v14
	v_add_u32_e32 v5, 2, v3
	v_addc_co_u32_e32 v29, vcc, v18, v15, vcc
	v_mad_u64_u32 v[14:15], s[22:23], s2, v5, v[0:1]
	v_mul_lo_u32 v16, v14, s24
	v_ashrrev_i32_e32 v17, 31, v16
	v_lshlrev_b64 v[16:17], 2, v[16:17]
	v_add_co_u32_e32 v30, vcc, s10, v16
	v_add_u32_e32 v3, 3, v3
	v_addc_co_u32_e32 v31, vcc, v18, v17, vcc
	v_mad_u64_u32 v[16:17], s[22:23], s2, v3, v[0:1]
	v_mul_lo_u32 v32, v16, s24
	v_ashrrev_i32_e32 v33, 31, v32
	v_lshlrev_b64 v[32:33], 2, v[32:33]
	v_add_co_u32_e32 v32, vcc, s10, v32
	v_ashrrev_i32_e32 v3, 31, v2
	v_addc_co_u32_e32 v33, vcc, v18, v33, vcc
	global_load_dword v25, v[26:27], off
	global_load_dword v15, v[28:29], off
	;; [unrolled: 1-line block ×4, first 2 shown]
	v_lshlrev_b64 v[26:27], 2, v[2:3]
	v_add_co_u32_e32 v26, vcc, s16, v26
	v_addc_co_u32_e32 v27, vcc, v19, v27, vcc
	v_ashrrev_i32_e32 v5, 31, v4
	global_load_dword v3, v[26:27], off
	v_lshlrev_b64 v[26:27], 2, v[4:5]
	v_add_co_u32_e32 v26, vcc, s18, v26
	v_addc_co_u32_e32 v27, vcc, v20, v27, vcc
	global_load_dword v5, v[26:27], off
	s_and_b64 vcc, exec, s[0:1]
	v_mov_b32_e32 v9, 0
	s_cbranch_vccnz .LBB20_5
; %bb.4:                                ;   in Loop: Header=BB20_3 Depth=1
	v_ashrrev_i32_e32 v9, 31, v8
	v_lshlrev_b64 v[26:27], 2, v[8:9]
	v_mov_b32_e32 v9, s7
	v_add_co_u32_e32 v26, vcc, s6, v26
	v_addc_co_u32_e32 v27, vcc, v9, v27, vcc
	global_load_dword v9, v[26:27], off
.LBB20_5:                               ;   in Loop: Header=BB20_3 Depth=1
	s_andn2_b64 vcc, exec, s[14:15]
	s_cbranch_vccnz .LBB20_10
; %bb.6:                                ;   in Loop: Header=BB20_3 Depth=1
	v_ashrrev_i32_e32 v11, 31, v10
	v_lshlrev_b64 v[26:27], 2, v[10:11]
	v_mov_b32_e32 v11, s9
	v_add_co_u32_e32 v26, vcc, s8, v26
	v_addc_co_u32_e32 v27, vcc, v11, v27, vcc
	global_load_dword v11, v[26:27], off
	s_waitcnt vmcnt(1)
	v_cmp_nlt_f32_e64 s[22:23], |v5|, s11
                                        ; implicit-def: $vgpr26
	s_and_saveexec_b64 s[38:39], s[22:23]
	s_xor_b64 s[22:23], exec, s[38:39]
	s_cbranch_execz .LBB20_8
.LBB20_7:                               ;   in Loop: Header=BB20_3 Depth=1
	v_add_f32_e64 v26, |v5|, |v5|
	v_mul_f32_e32 v27, 0x3fb8aa3b, v26
	v_rndne_f32_e32 v28, v27
	v_sub_f32_e32 v29, v27, v28
	v_fma_f32 v27, v26, s17, -v27
	v_fmac_f32_e32 v27, 0x32a5705f, v26
	v_add_f32_e32 v27, v29, v27
	v_cvt_i32_f32_e32 v28, v28
	v_exp_f32_e32 v27, v27
	v_cmp_ngt_f32_e32 vcc, s19, v26
	v_ldexp_f32 v27, v27, v28
	v_cndmask_b32_e32 v27, 0, v27, vcc
	v_cmp_nlt_f32_e32 vcc, s36, v26
	v_cndmask_b32_e32 v26, v24, v27, vcc
	v_add_f32_e32 v26, 1.0, v26
	v_rcp_f32_e32 v26, v26
	v_fma_f32 v26, v26, -2.0, 1.0
.LBB20_8:                               ;   in Loop: Header=BB20_3 Depth=1
	s_andn2_saveexec_b64 s[22:23], s[22:23]
	s_cbranch_execz .LBB20_2
; %bb.9:                                ;   in Loop: Header=BB20_3 Depth=1
	v_mul_f32_e32 v26, v5, v5
	v_mov_b32_e32 v27, 0x3ca908c9
	v_fmac_f32_e32 v27, 0xbbbac73d, v26
	v_fma_f32 v27, v26, v27, v21
	v_fma_f32 v27, v26, v27, v22
	;; [unrolled: 1-line block ×3, first 2 shown]
	v_mul_f32_e64 v27, |v5|, v27
	v_fma_f32 v26, v26, v27, |v5|
	s_branch .LBB20_2
.LBB20_10:                              ;   in Loop: Header=BB20_3 Depth=1
	v_mov_b32_e32 v11, 0
	s_waitcnt vmcnt(0)
	v_cmp_nlt_f32_e64 s[22:23], |v5|, s11
                                        ; implicit-def: $vgpr26
	s_and_saveexec_b64 s[38:39], s[22:23]
	s_xor_b64 s[22:23], exec, s[38:39]
	s_cbranch_execz .LBB20_8
	s_branch .LBB20_7
.LBB20_11:
	s_endpgm
	.section	.rodata,"a",@progbits
	.p2align	6, 0x0
	.amdhsa_kernel _ZN2at6native12_GLOBAL__N_16kernel18lstm_cell_backwardIffiLi1EEEvNS_4cuda6detail10TensorInfoIT_T1_EES9_S9_S9_S9_S9_S9_S8_S8_
		.amdhsa_group_segment_fixed_size 0
		.amdhsa_private_segment_fixed_size 0
		.amdhsa_kernarg_size 1776
		.amdhsa_user_sgpr_count 6
		.amdhsa_user_sgpr_private_segment_buffer 1
		.amdhsa_user_sgpr_dispatch_ptr 0
		.amdhsa_user_sgpr_queue_ptr 0
		.amdhsa_user_sgpr_kernarg_segment_ptr 1
		.amdhsa_user_sgpr_dispatch_id 0
		.amdhsa_user_sgpr_flat_scratch_init 0
		.amdhsa_user_sgpr_kernarg_preload_length 0
		.amdhsa_user_sgpr_kernarg_preload_offset 0
		.amdhsa_user_sgpr_private_segment_size 0
		.amdhsa_uses_dynamic_stack 0
		.amdhsa_system_sgpr_private_segment_wavefront_offset 0
		.amdhsa_system_sgpr_workgroup_id_x 1
		.amdhsa_system_sgpr_workgroup_id_y 0
		.amdhsa_system_sgpr_workgroup_id_z 0
		.amdhsa_system_sgpr_workgroup_info 0
		.amdhsa_system_vgpr_workitem_id 0
		.amdhsa_next_free_vgpr 38
		.amdhsa_next_free_sgpr 40
		.amdhsa_accum_offset 40
		.amdhsa_reserve_vcc 1
		.amdhsa_reserve_flat_scratch 0
		.amdhsa_float_round_mode_32 0
		.amdhsa_float_round_mode_16_64 0
		.amdhsa_float_denorm_mode_32 3
		.amdhsa_float_denorm_mode_16_64 3
		.amdhsa_dx10_clamp 1
		.amdhsa_ieee_mode 1
		.amdhsa_fp16_overflow 0
		.amdhsa_tg_split 0
		.amdhsa_exception_fp_ieee_invalid_op 0
		.amdhsa_exception_fp_denorm_src 0
		.amdhsa_exception_fp_ieee_div_zero 0
		.amdhsa_exception_fp_ieee_overflow 0
		.amdhsa_exception_fp_ieee_underflow 0
		.amdhsa_exception_fp_ieee_inexact 0
		.amdhsa_exception_int_div_zero 0
	.end_amdhsa_kernel
	.section	.text._ZN2at6native12_GLOBAL__N_16kernel18lstm_cell_backwardIffiLi1EEEvNS_4cuda6detail10TensorInfoIT_T1_EES9_S9_S9_S9_S9_S9_S8_S8_,"axG",@progbits,_ZN2at6native12_GLOBAL__N_16kernel18lstm_cell_backwardIffiLi1EEEvNS_4cuda6detail10TensorInfoIT_T1_EES9_S9_S9_S9_S9_S9_S8_S8_,comdat
.Lfunc_end20:
	.size	_ZN2at6native12_GLOBAL__N_16kernel18lstm_cell_backwardIffiLi1EEEvNS_4cuda6detail10TensorInfoIT_T1_EES9_S9_S9_S9_S9_S9_S8_S8_, .Lfunc_end20-_ZN2at6native12_GLOBAL__N_16kernel18lstm_cell_backwardIffiLi1EEEvNS_4cuda6detail10TensorInfoIT_T1_EES9_S9_S9_S9_S9_S9_S8_S8_
                                        ; -- End function
	.section	.AMDGPU.csdata,"",@progbits
; Kernel info:
; codeLenInByte = 1400
; NumSgprs: 44
; NumVgprs: 38
; NumAgprs: 0
; TotalNumVgprs: 38
; ScratchSize: 0
; MemoryBound: 0
; FloatMode: 240
; IeeeMode: 1
; LDSByteSize: 0 bytes/workgroup (compile time only)
; SGPRBlocks: 5
; VGPRBlocks: 4
; NumSGPRsForWavesPerEU: 44
; NumVGPRsForWavesPerEU: 38
; AccumOffset: 40
; Occupancy: 8
; WaveLimiterHint : 1
; COMPUTE_PGM_RSRC2:SCRATCH_EN: 0
; COMPUTE_PGM_RSRC2:USER_SGPR: 6
; COMPUTE_PGM_RSRC2:TRAP_HANDLER: 0
; COMPUTE_PGM_RSRC2:TGID_X_EN: 1
; COMPUTE_PGM_RSRC2:TGID_Y_EN: 0
; COMPUTE_PGM_RSRC2:TGID_Z_EN: 0
; COMPUTE_PGM_RSRC2:TIDIG_COMP_CNT: 0
; COMPUTE_PGM_RSRC3_GFX90A:ACCUM_OFFSET: 9
; COMPUTE_PGM_RSRC3_GFX90A:TG_SPLIT: 0
	.section	.text._ZN2at6native12_GLOBAL__N_16kernel18lstm_cell_backwardIffiLi2EEEvNS_4cuda6detail10TensorInfoIT_T1_EES9_S9_S9_S9_S9_S9_S8_S8_,"axG",@progbits,_ZN2at6native12_GLOBAL__N_16kernel18lstm_cell_backwardIffiLi2EEEvNS_4cuda6detail10TensorInfoIT_T1_EES9_S9_S9_S9_S9_S9_S8_S8_,comdat
	.globl	_ZN2at6native12_GLOBAL__N_16kernel18lstm_cell_backwardIffiLi2EEEvNS_4cuda6detail10TensorInfoIT_T1_EES9_S9_S9_S9_S9_S9_S8_S8_ ; -- Begin function _ZN2at6native12_GLOBAL__N_16kernel18lstm_cell_backwardIffiLi2EEEvNS_4cuda6detail10TensorInfoIT_T1_EES9_S9_S9_S9_S9_S9_S8_S8_
	.p2align	8
	.type	_ZN2at6native12_GLOBAL__N_16kernel18lstm_cell_backwardIffiLi2EEEvNS_4cuda6detail10TensorInfoIT_T1_EES9_S9_S9_S9_S9_S9_S8_S8_,@function
_ZN2at6native12_GLOBAL__N_16kernel18lstm_cell_backwardIffiLi2EEEvNS_4cuda6detail10TensorInfoIT_T1_EES9_S9_S9_S9_S9_S9_S8_S8_: ; @_ZN2at6native12_GLOBAL__N_16kernel18lstm_cell_backwardIffiLi2EEEvNS_4cuda6detail10TensorInfoIT_T1_EES9_S9_S9_S9_S9_S9_S8_S8_
; %bb.0:
	s_load_dword s2, s[4:5], 0x5fc
	s_load_dwordx2 s[0:1], s[4:5], 0x5e8
	s_add_u32 s30, s4, 0x5f0
	s_addc_u32 s31, s5, 0
	s_waitcnt lgkmcnt(0)
	s_and_b32 s38, s2, 0xffff
	s_mul_i32 s6, s6, s38
	v_add_u32_e32 v0, s6, v0
	v_cmp_gt_i32_e32 vcc, s1, v0
	s_and_saveexec_b64 s[2:3], vcc
	s_cbranch_execz .LBB21_11
; %bb.1:
	s_load_dwordx2 s[2:3], s[4:5], 0x0
	s_load_dword s33, s[4:5], 0xc
	s_load_dwordx2 s[6:7], s[4:5], 0x6c
	s_load_dwordx2 s[8:9], s[4:5], 0xd8
	s_load_dword s40, s[4:5], 0xe4
	s_load_dwordx2 s[10:11], s[4:5], 0x144
	;; [unrolled: 3-line block ×3, first 2 shown]
	s_load_dword s62, s[4:5], 0x36c
	s_load_dwordx2 s[16:17], s[4:5], 0x3cc
	s_load_dwordx2 s[18:19], s[4:5], 0x438
	;; [unrolled: 1-line block ×4, first 2 shown]
	s_load_dword s60, s[4:5], 0x294
	s_load_dwordx2 s[24:25], s[4:5], 0x2f4
	s_waitcnt lgkmcnt(0)
	s_cmp_lg_u64 s[14:15], 0
	s_cselect_b64 s[26:27], -1, 0
	s_cmp_lg_u64 s[18:19], 0
	s_cselect_b64 s[28:29], -1, 0
	s_abs_i32 s41, s0
	v_cvt_f32_u32_e32 v1, s41
	s_load_dword s42, s[30:31], 0x0
	s_abs_i32 s43, s33
	v_cvt_f32_u32_e32 v2, s43
	v_rcp_iflag_f32_e32 v1, v1
	s_abs_i32 s45, s40
	s_waitcnt lgkmcnt(0)
	s_mul_i32 s42, s42, s38
	s_sub_i32 s38, 0, s41
	v_mul_f32_e32 v1, 0x4f7ffffe, v1
	v_cvt_u32_f32_e32 v1, v1
	v_rcp_iflag_f32_e32 v2, v2
	s_abs_i32 s47, s39
	s_abs_i32 s49, s60
	v_mul_lo_u32 v3, s38, v1
	v_mul_hi_u32 v3, v1, v3
	v_add_u32_e32 v1, v1, v3
	v_cvt_f32_u32_e32 v3, s45
	v_mul_f32_e32 v2, 0x4f7ffffe, v2
	v_cvt_u32_f32_e32 v2, v2
	s_sub_i32 s38, 0, s43
	v_rcp_iflag_f32_e32 v3, v3
	s_load_dword s63, s[4:5], 0x444
	s_load_dwordx2 s[30:31], s[4:5], 0x4a4
	s_load_dwordx2 s[34:35], s[4:5], 0x510
	s_load_dword s61, s[4:5], 0x51c
	v_mul_lo_u32 v4, s38, v2
	v_mul_hi_u32 v4, v2, v4
	v_add_u32_e32 v4, v2, v4
	v_mul_f32_e32 v2, 0x4f7ffffe, v3
	v_cvt_f32_u32_e32 v3, s47
	v_cvt_u32_f32_e32 v2, v2
	s_sub_i32 s38, 0, s45
	s_waitcnt lgkmcnt(0)
	s_abs_i32 s51, s61
	v_rcp_iflag_f32_e32 v3, v3
	v_mul_lo_u32 v5, s38, v2
	v_mul_hi_u32 v5, v2, v5
	v_add_u32_e32 v5, v2, v5
	v_mul_f32_e32 v2, 0x4f7ffffe, v3
	v_cvt_f32_u32_e32 v3, s49
	v_cvt_u32_f32_e32 v2, v2
	s_sub_i32 s38, 0, s47
	s_abs_i32 s54, s62
	v_rcp_iflag_f32_e32 v3, v3
	v_mul_lo_u32 v6, s38, v2
	v_mul_hi_u32 v6, v2, v6
	v_add_u32_e32 v6, v2, v6
	v_mul_f32_e32 v2, 0x4f7ffffe, v3
	v_cvt_f32_u32_e32 v3, s51
	v_cvt_u32_f32_e32 v2, v2
	s_sub_i32 s38, 0, s49
	s_abs_i32 s55, s63
	v_rcp_iflag_f32_e32 v3, v3
	v_mul_lo_u32 v7, s38, v2
	v_mul_hi_u32 v7, v2, v7
	v_add_u32_e32 v7, v2, v7
	v_mul_f32_e32 v2, 0x4f7ffffe, v3
	v_cvt_u32_f32_e32 v2, v2
	s_sub_i32 s38, 0, s51
	v_cvt_f32_u32_e32 v3, s54
	s_load_dwordx2 s[4:5], s[4:5], 0x57c
	v_mul_lo_u32 v8, s38, v2
	v_mul_hi_u32 v8, v2, v8
	v_add_u32_e32 v8, v2, v8
	v_cvt_f32_u32_e32 v2, s55
	v_rcp_iflag_f32_e32 v3, v3
	s_sub_i32 s38, 0, s54
	s_mov_b64 s[36:37], 0
	v_rcp_iflag_f32_e32 v2, v2
	v_mul_f32_e32 v3, 0x4f7ffffe, v3
	v_cvt_u32_f32_e32 v3, v3
	s_ashr_i32 s44, s0, 31
	v_mul_f32_e32 v2, 0x4f7ffffe, v2
	v_cvt_u32_f32_e32 v2, v2
	v_mul_lo_u32 v9, s38, v3
	v_mul_hi_u32 v9, v3, v9
	s_sub_i32 s38, 0, s55
	v_add_u32_e32 v9, v3, v9
	v_mul_lo_u32 v3, s38, v2
	v_mul_hi_u32 v3, v2, v3
	s_ashr_i32 s46, s33, 31
	s_ashr_i32 s48, s40, 31
	;; [unrolled: 1-line block ×7, first 2 shown]
	v_add_u32_e32 v10, v2, v3
	s_mul_i32 s58, s0, 3
	s_sub_i32 s59, 0, s39
	s_sub_i32 s60, 0, s60
	;; [unrolled: 1-line block ×5, first 2 shown]
	v_mov_b32_e32 v11, s3
	v_mov_b32_e32 v12, s13
	;; [unrolled: 1-line block ×3, first 2 shown]
	s_mov_b32 s3, 0x3f200000
	s_mov_b32 s13, 0x3fb8aa3b
	;; [unrolled: 1-line block ×4, first 2 shown]
	v_mov_b32_e32 v14, 0xbd5c1c4e
	v_mov_b32_e32 v15, 0x3e088382
	;; [unrolled: 1-line block ×3, first 2 shown]
	s_brev_b32 s65, -2
	v_mov_b32_e32 v17, 0x7f800000
	s_branch .LBB21_3
.LBB21_2:                               ;   in Loop: Header=BB21_3 Depth=1
	s_or_b64 exec, exec, s[38:39]
	v_mul_hi_u32 v39, v26, v5
	v_mul_lo_u32 v40, v39, s45
	v_sub_u32_e32 v26, v26, v40
	v_add_u32_e32 v40, 1, v39
	v_cmp_le_u32_e32 vcc, s45, v26
	v_cndmask_b32_e32 v39, v39, v40, vcc
	v_subrev_u32_e32 v40, s45, v26
	v_cndmask_b32_e32 v26, v26, v40, vcc
	v_add_u32_e32 v40, 1, v39
	v_cmp_le_u32_e32 vcc, s45, v26
	v_xor_b32_e32 v3, s48, v3
	v_cndmask_b32_e32 v26, v39, v40, vcc
	v_xor_b32_e32 v26, v26, v3
	v_sub_u32_e32 v3, v26, v3
	v_mul_lo_u32 v26, v3, s40
	v_sub_u32_e32 v2, v2, v26
	v_add_u32_e32 v2, v0, v2
	v_mul_lo_u32 v2, v2, s11
	v_mad_u64_u32 v[2:3], s[38:39], v3, s10, v[2:3]
	v_ashrrev_i32_e32 v3, 31, v2
	v_lshlrev_b64 v[2:3], 2, v[2:3]
	v_xor_b32_e32 v26, s48, v28
	v_mul_hi_u32 v28, v29, v5
	v_mov_b32_e32 v39, s9
	v_add_co_u32_e32 v2, vcc, s8, v2
	v_mul_lo_u32 v40, v28, s45
	v_addc_co_u32_e32 v3, vcc, v39, v3, vcc
	v_sub_u32_e32 v29, v29, v40
	v_add_u32_e32 v40, 1, v28
	v_cmp_le_u32_e32 vcc, s45, v29
	v_cndmask_b32_e32 v28, v28, v40, vcc
	v_subrev_u32_e32 v40, s45, v29
	v_cndmask_b32_e32 v29, v29, v40, vcc
	v_add_u32_e32 v40, 1, v28
	v_cmp_le_u32_e32 vcc, s45, v29
	v_cndmask_b32_e32 v28, v28, v40, vcc
	v_xor_b32_e32 v28, v28, v26
	v_sub_u32_e32 v26, v28, v26
	v_mul_lo_u32 v28, v26, s40
	v_sub_u32_e32 v24, v24, v28
	v_add_u32_e32 v24, v0, v24
	v_mul_lo_u32 v24, v24, s11
	v_mad_u64_u32 v[28:29], s[38:39], v26, s10, v[24:25]
	v_ashrrev_i32_e32 v29, 31, v28
	v_lshlrev_b64 v[28:29], 2, v[28:29]
	v_mul_hi_u32 v26, v31, v5
	v_add_co_u32_e32 v28, vcc, s8, v28
	v_xor_b32_e32 v24, s48, v30
	v_mul_lo_u32 v30, v26, s45
	v_addc_co_u32_e32 v29, vcc, v39, v29, vcc
	v_sub_u32_e32 v30, v31, v30
	v_add_u32_e32 v31, 1, v26
	v_cmp_le_u32_e32 vcc, s45, v30
	v_cndmask_b32_e32 v26, v26, v31, vcc
	v_subrev_u32_e32 v31, s45, v30
	v_cndmask_b32_e32 v30, v30, v31, vcc
	v_add_u32_e32 v31, 1, v26
	v_cmp_le_u32_e32 vcc, s45, v30
	v_cndmask_b32_e32 v26, v26, v31, vcc
	v_xor_b32_e32 v26, v26, v24
	v_sub_u32_e32 v26, v26, v24
	v_mul_lo_u32 v24, v26, s40
	v_sub_u32_e32 v24, v25, v24
	v_add_u32_e32 v24, v0, v24
	v_mul_lo_u32 v24, v24, s11
	v_mad_u64_u32 v[24:25], s[38:39], v26, s10, v[24:25]
	v_ashrrev_i32_e32 v25, 31, v24
	v_lshlrev_b64 v[24:25], 2, v[24:25]
	v_mul_hi_u32 v30, v34, v5
	v_add_co_u32_e32 v24, vcc, s8, v24
	v_mul_lo_u32 v31, v30, s45
	v_addc_co_u32_e32 v25, vcc, v39, v25, vcc
	v_sub_u32_e32 v31, v34, v31
	v_xor_b32_e32 v26, s48, v33
	v_add_u32_e32 v33, 1, v30
	v_cmp_le_u32_e32 vcc, s45, v31
	v_cndmask_b32_e32 v30, v30, v33, vcc
	v_subrev_u32_e32 v33, s45, v31
	v_cndmask_b32_e32 v31, v31, v33, vcc
	v_add_u32_e32 v33, 1, v30
	v_cmp_le_u32_e32 vcc, s45, v31
	v_cndmask_b32_e32 v30, v30, v33, vcc
	v_xor_b32_e32 v30, v30, v26
	v_sub_u32_e32 v30, v30, v26
	v_mul_lo_u32 v26, v30, s40
	v_sub_u32_e32 v26, v27, v26
	v_add_u32_e32 v26, v0, v26
	v_mul_lo_u32 v26, v26, s11
	v_mad_u64_u32 v[26:27], s[38:39], v30, s10, v[26:27]
	v_ashrrev_i32_e32 v27, 31, v26
	v_lshlrev_b64 v[26:27], 2, v[26:27]
	v_mul_hi_u32 v30, v19, v8
	v_add_co_u32_e32 v26, vcc, s8, v26
	v_mul_lo_u32 v31, v30, s51
	v_addc_co_u32_e32 v27, vcc, v39, v27, vcc
	v_sub_u32_e32 v19, v19, v31
	v_add_u32_e32 v31, 1, v30
	v_cmp_le_u32_e32 vcc, s51, v19
	v_cndmask_b32_e32 v30, v30, v31, vcc
	v_subrev_u32_e32 v31, s51, v19
	v_cndmask_b32_e32 v19, v19, v31, vcc
	v_add_u32_e32 v31, 1, v30
	v_cmp_le_u32_e32 vcc, s51, v19
	v_xor_b32_e32 v18, s53, v18
	v_cndmask_b32_e32 v19, v30, v31, vcc
	v_xor_b32_e32 v19, v19, v18
	v_sub_u32_e32 v30, v19, v18
	v_mad_u64_u32 v[18:19], s[38:39], s61, v30, v[0:1]
	s_waitcnt lgkmcnt(0)
	v_mul_lo_u32 v18, v18, s5
	v_mad_u64_u32 v[18:19], s[38:39], v30, s4, v[18:19]
	v_ashrrev_i32_e32 v19, 31, v18
	v_lshlrev_b64 v[18:19], 2, v[18:19]
	v_mov_b32_e32 v30, s35
	v_add_co_u32_e32 v18, vcc, s34, v18
	v_addc_co_u32_e32 v19, vcc, v30, v19, vcc
	v_bfi_b32 v30, s65, v38, v35
	v_mul_f32_e32 v31, v37, v30
	v_mul_f32_e32 v33, v20, v37
	v_fma_f32 v30, -v30, v30, 1.0
	v_fmac_f32_e32 v36, v33, v30
	v_mul_f32_e32 v30, v22, v36
	v_sub_f32_e32 v35, 1.0, v23
	v_mul_f32_e32 v30, v35, v30
	v_mul_f32_e32 v32, v32, v36
	;; [unrolled: 1-line block ×4, first 2 shown]
	v_sub_f32_e32 v30, 1.0, v21
	v_mul_f32_e32 v30, v30, v32
	v_add_u32_e32 v0, s42, v0
	v_mul_f32_e32 v34, v21, v36
	v_mul_f32_e32 v21, v21, v30
	v_sub_f32_e32 v30, 1.0, v20
	v_cmp_le_i32_e32 vcc, s1, v0
	v_fma_f32 v22, -v22, v22, 1.0
	v_mul_f32_e32 v30, v30, v31
	s_or_b64 s[36:37], vcc, s[36:37]
	v_mul_f32_e32 v22, v22, v33
	v_mul_f32_e32 v20, v20, v30
	global_store_dword v[2:3], v23, off
	global_store_dword v[28:29], v21, off
	;; [unrolled: 1-line block ×5, first 2 shown]
	s_andn2_b64 exec, exec, s[36:37]
	s_cbranch_execz .LBB21_11
.LBB21_3:                               ; =>This Inner Loop Header: Depth=1
	v_sub_u32_e32 v2, 0, v0
	v_max_i32_e32 v19, v0, v2
	v_mul_hi_u32 v2, v19, v1
	v_mul_lo_u32 v3, v2, s41
	v_sub_u32_e32 v3, v19, v3
	v_add_u32_e32 v20, 1, v2
	v_cmp_le_u32_e32 vcc, s41, v3
	v_cndmask_b32_e32 v2, v2, v20, vcc
	v_subrev_u32_e32 v20, s41, v3
	v_cndmask_b32_e32 v3, v3, v20, vcc
	v_ashrrev_i32_e32 v18, 31, v0
	v_add_u32_e32 v20, 1, v2
	v_cmp_le_u32_e32 vcc, s41, v3
	v_xor_b32_e32 v22, s44, v18
	v_cndmask_b32_e32 v2, v2, v20, vcc
	v_xor_b32_e32 v23, v2, v22
	v_sub_u32_e32 v2, v23, v22
	v_mul_lo_u32 v2, s58, v2
	v_add_u32_e32 v3, v0, v2
	v_ashrrev_i32_e32 v3, 31, v3
	v_add3_u32 v21, v3, v2, v0
	v_xor_b32_e32 v26, v21, v3
	v_mul_hi_u32 v21, v26, v4
	v_mul_lo_u32 v24, v21, s43
	v_sub_u32_e32 v24, v26, v24
	v_add_u32_e32 v25, 1, v21
	v_cmp_le_u32_e32 vcc, s43, v24
	v_cndmask_b32_e32 v21, v21, v25, vcc
	v_subrev_u32_e32 v25, s43, v24
	v_cndmask_b32_e32 v24, v24, v25, vcc
	v_add_u32_e32 v25, 1, v21
	v_cmp_le_u32_e32 vcc, s43, v24
	v_xor_b32_e32 v20, s46, v3
	v_cndmask_b32_e32 v21, v21, v25, vcc
	v_xor_b32_e32 v21, v21, v20
	v_lshl_add_u32 v23, v23, 1, v23
	v_mul_i32_i24_e32 v22, 3, v22
	v_sub_u32_e32 v21, v21, v20
	v_sub_u32_e32 v27, v23, v22
	v_mul_lo_u32 v20, v21, s33
	v_mul_lo_u32 v22, s0, v27
	v_sub_u32_e32 v20, v2, v20
	v_add_u32_e32 v24, s0, v22
	v_add_u32_e32 v20, v0, v20
	;; [unrolled: 1-line block ×3, first 2 shown]
	v_mul_lo_u32 v20, v20, s7
	v_ashrrev_i32_e32 v28, 31, v22
	v_mad_u64_u32 v[20:21], s[38:39], v21, s6, v[20:21]
	v_add3_u32 v23, v28, v24, v0
	v_ashrrev_i32_e32 v21, 31, v20
	v_xor_b32_e32 v29, v23, v28
	v_lshlrev_b64 v[20:21], 2, v[20:21]
	v_mul_hi_u32 v23, v29, v4
	v_add_co_u32_e32 v20, vcc, s2, v20
	v_mul_lo_u32 v25, v23, s43
	v_addc_co_u32_e32 v21, vcc, v11, v21, vcc
	v_sub_u32_e32 v25, v29, v25
	v_add_u32_e32 v30, 1, v23
	v_cmp_le_u32_e32 vcc, s43, v25
	v_cndmask_b32_e32 v23, v23, v30, vcc
	v_subrev_u32_e32 v30, s43, v25
	v_cndmask_b32_e32 v25, v25, v30, vcc
	v_add_u32_e32 v30, 1, v23
	v_cmp_le_u32_e32 vcc, s43, v25
	v_xor_b32_e32 v22, s46, v28
	v_cndmask_b32_e32 v23, v23, v30, vcc
	v_xor_b32_e32 v23, v23, v22
	v_sub_u32_e32 v23, v23, v22
	v_mul_lo_u32 v22, v23, s33
	v_sub_u32_e32 v22, v24, v22
	v_add_u32_e32 v22, v0, v22
	v_mul_lo_u32 v22, v22, s7
	v_mad_u64_u32 v[22:23], s[38:39], v23, s6, v[22:23]
	v_ashrrev_i32_e32 v23, 31, v22
	v_lshlrev_b64 v[22:23], 2, v[22:23]
	v_add_co_u32_e32 v36, vcc, s2, v22
	v_add_u32_e32 v22, 2, v27
	v_mul_lo_u32 v25, s0, v22
	v_add_u32_e32 v22, v0, v25
	v_ashrrev_i32_e32 v30, 31, v22
	v_addc_co_u32_e32 v37, vcc, v11, v23, vcc
	v_add3_u32 v23, v30, v25, v0
	v_xor_b32_e32 v31, v23, v30
	v_mul_hi_u32 v23, v31, v4
	v_mul_lo_u32 v32, v23, s43
	v_sub_u32_e32 v32, v31, v32
	v_add_u32_e32 v33, 1, v23
	v_cmp_le_u32_e32 vcc, s43, v32
	v_cndmask_b32_e32 v23, v23, v33, vcc
	v_subrev_u32_e32 v33, s43, v32
	v_cndmask_b32_e32 v32, v32, v33, vcc
	v_add_u32_e32 v33, 1, v23
	v_cmp_le_u32_e32 vcc, s43, v32
	v_xor_b32_e32 v22, s46, v30
	v_cndmask_b32_e32 v23, v23, v33, vcc
	v_xor_b32_e32 v23, v23, v22
	v_sub_u32_e32 v23, v23, v22
	v_mul_lo_u32 v22, v23, s33
	v_sub_u32_e32 v22, v25, v22
	v_add_u32_e32 v22, v0, v22
	v_mul_lo_u32 v22, v22, s7
	v_mad_u64_u32 v[22:23], s[38:39], v23, s6, v[22:23]
	v_ashrrev_i32_e32 v23, 31, v22
	v_lshlrev_b64 v[22:23], 2, v[22:23]
	v_add_co_u32_e32 v38, vcc, s2, v22
	v_add_u32_e32 v22, 3, v27
	v_mul_lo_u32 v27, s0, v22
	v_add_u32_e32 v22, v0, v27
	v_ashrrev_i32_e32 v33, 31, v22
	v_addc_co_u32_e32 v39, vcc, v11, v23, vcc
	v_add3_u32 v23, v33, v27, v0
	v_xor_b32_e32 v34, v23, v33
	v_mul_hi_u32 v23, v34, v4
	v_mul_lo_u32 v32, v23, s43
	v_sub_u32_e32 v32, v34, v32
	v_add_u32_e32 v35, 1, v23
	v_cmp_le_u32_e32 vcc, s43, v32
	v_cndmask_b32_e32 v23, v23, v35, vcc
	v_subrev_u32_e32 v35, s43, v32
	v_cndmask_b32_e32 v32, v32, v35, vcc
	v_add_u32_e32 v35, 1, v23
	v_cmp_le_u32_e32 vcc, s43, v32
	v_xor_b32_e32 v22, s46, v33
	v_cndmask_b32_e32 v23, v23, v35, vcc
	v_xor_b32_e32 v23, v23, v22
	v_sub_u32_e32 v23, v23, v22
	v_mul_lo_u32 v22, v23, s33
	v_sub_u32_e32 v22, v27, v22
	v_add_u32_e32 v22, v0, v22
	v_mul_lo_u32 v22, v22, s7
	v_mad_u64_u32 v[22:23], s[38:39], v23, s6, v[22:23]
	v_ashrrev_i32_e32 v23, 31, v22
	v_lshlrev_b64 v[22:23], 2, v[22:23]
	v_add_co_u32_e32 v40, vcc, s2, v22
	v_mul_hi_u32 v35, v19, v6
	v_addc_co_u32_e32 v41, vcc, v11, v23, vcc
	global_load_dword v23, v[20:21], off
	s_nop 0
	global_load_dword v21, v[36:37], off
	global_load_dword v22, v[38:39], off
	;; [unrolled: 1-line block ×3, first 2 shown]
	v_mul_lo_u32 v36, v35, s47
	v_sub_u32_e32 v36, v19, v36
	v_add_u32_e32 v37, 1, v35
	v_cmp_le_u32_e32 vcc, s47, v36
	v_cndmask_b32_e32 v35, v35, v37, vcc
	v_subrev_u32_e32 v37, s47, v36
	v_cndmask_b32_e32 v36, v36, v37, vcc
	v_add_u32_e32 v37, 1, v35
	v_cmp_le_u32_e32 vcc, s47, v36
	v_xor_b32_e32 v32, s50, v18
	v_cndmask_b32_e32 v35, v35, v37, vcc
	v_xor_b32_e32 v35, v35, v32
	v_sub_u32_e32 v35, v35, v32
	v_mad_u64_u32 v[36:37], s[38:39], s59, v35, v[0:1]
	v_mul_lo_u32 v32, v36, s21
	v_mad_u64_u32 v[36:37], s[38:39], v35, s20, v[32:33]
	v_ashrrev_i32_e32 v37, 31, v36
	v_lshlrev_b64 v[36:37], 2, v[36:37]
	v_add_co_u32_e32 v36, vcc, s12, v36
	v_addc_co_u32_e32 v37, vcc, v12, v37, vcc
	global_load_dword v32, v[36:37], off
	v_mul_hi_u32 v36, v19, v7
	v_mul_lo_u32 v37, v36, s49
	v_sub_u32_e32 v37, v19, v37
	v_add_u32_e32 v38, 1, v36
	v_cmp_le_u32_e32 vcc, s49, v37
	v_cndmask_b32_e32 v36, v36, v38, vcc
	v_subrev_u32_e32 v38, s49, v37
	v_cndmask_b32_e32 v37, v37, v38, vcc
	v_add_u32_e32 v38, 1, v36
	v_cmp_le_u32_e32 vcc, s49, v37
	v_xor_b32_e32 v35, s52, v18
	v_cndmask_b32_e32 v36, v36, v38, vcc
	v_xor_b32_e32 v36, v36, v35
	v_sub_u32_e32 v35, v36, v35
	v_mad_u64_u32 v[36:37], s[38:39], s60, v35, v[0:1]
	v_mul_lo_u32 v36, v36, s25
	v_mad_u64_u32 v[36:37], s[38:39], v35, s24, v[36:37]
	v_ashrrev_i32_e32 v37, 31, v36
	v_lshlrev_b64 v[36:37], 2, v[36:37]
	v_add_co_u32_e32 v36, vcc, s22, v36
	v_addc_co_u32_e32 v37, vcc, v13, v37, vcc
	global_load_dword v35, v[36:37], off
	s_andn2_b64 vcc, exec, s[26:27]
	v_mov_b32_e32 v36, 0
	v_mov_b32_e32 v37, 0
	s_cbranch_vccnz .LBB21_5
; %bb.4:                                ;   in Loop: Header=BB21_3 Depth=1
	v_mul_hi_u32 v38, v19, v9
	v_mul_lo_u32 v39, v38, s54
	v_sub_u32_e32 v39, v19, v39
	v_add_u32_e32 v40, 1, v38
	v_cmp_le_u32_e32 vcc, s54, v39
	v_cndmask_b32_e32 v38, v38, v40, vcc
	v_subrev_u32_e32 v40, s54, v39
	v_cndmask_b32_e32 v39, v39, v40, vcc
	v_add_u32_e32 v40, 1, v38
	v_cmp_le_u32_e32 vcc, s54, v39
	v_xor_b32_e32 v37, s56, v18
	v_cndmask_b32_e32 v38, v38, v40, vcc
	v_xor_b32_e32 v38, v38, v37
	v_sub_u32_e32 v37, v38, v37
	v_mad_u64_u32 v[38:39], s[38:39], s62, v37, v[0:1]
	v_mul_lo_u32 v38, v38, s17
	v_mad_u64_u32 v[38:39], s[38:39], v37, s16, v[38:39]
	v_ashrrev_i32_e32 v39, 31, v38
	v_lshlrev_b64 v[38:39], 2, v[38:39]
	v_mov_b32_e32 v37, s15
	v_add_co_u32_e32 v38, vcc, s14, v38
	v_addc_co_u32_e32 v39, vcc, v37, v39, vcc
	global_load_dword v37, v[38:39], off
.LBB21_5:                               ;   in Loop: Header=BB21_3 Depth=1
	s_andn2_b64 vcc, exec, s[28:29]
	s_cbranch_vccnz .LBB21_7
; %bb.6:                                ;   in Loop: Header=BB21_3 Depth=1
	v_mul_hi_u32 v38, v19, v10
	v_mul_lo_u32 v39, v38, s55
	v_sub_u32_e32 v39, v19, v39
	v_add_u32_e32 v40, 1, v38
	v_cmp_le_u32_e32 vcc, s55, v39
	v_cndmask_b32_e32 v38, v38, v40, vcc
	v_subrev_u32_e32 v40, s55, v39
	v_cndmask_b32_e32 v39, v39, v40, vcc
	v_add_u32_e32 v40, 1, v38
	v_cmp_le_u32_e32 vcc, s55, v39
	v_xor_b32_e32 v36, s57, v18
	v_cndmask_b32_e32 v38, v38, v40, vcc
	v_xor_b32_e32 v38, v38, v36
	v_sub_u32_e32 v40, v38, v36
	v_mad_u64_u32 v[38:39], s[38:39], s63, v40, v[0:1]
	v_mul_lo_u32 v36, v38, s31
	s_waitcnt vmcnt(0)
	v_mad_u64_u32 v[38:39], s[38:39], v40, s30, v[36:37]
	v_ashrrev_i32_e32 v39, 31, v38
	v_lshlrev_b64 v[38:39], 2, v[38:39]
	v_mov_b32_e32 v36, s19
	v_add_co_u32_e32 v38, vcc, s18, v38
	v_addc_co_u32_e32 v39, vcc, v36, v39, vcc
	global_load_dword v36, v[38:39], off
.LBB21_7:                               ;   in Loop: Header=BB21_3 Depth=1
	s_waitcnt vmcnt(0)
	v_cmp_nlt_f32_e64 s[38:39], |v35|, s3
                                        ; implicit-def: $vgpr38
	s_and_saveexec_b64 s[66:67], s[38:39]
	s_xor_b64 s[38:39], exec, s[66:67]
	s_cbranch_execz .LBB21_9
; %bb.8:                                ;   in Loop: Header=BB21_3 Depth=1
	v_add_f32_e64 v38, |v35|, |v35|
	v_mul_f32_e32 v39, 0x3fb8aa3b, v38
	v_rndne_f32_e32 v40, v39
	v_sub_f32_e32 v41, v39, v40
	v_fma_f32 v39, v38, s13, -v39
	v_fmac_f32_e32 v39, 0x32a5705f, v38
	v_add_f32_e32 v39, v41, v39
	v_cvt_i32_f32_e32 v40, v40
	v_exp_f32_e32 v39, v39
	v_cmp_ngt_f32_e32 vcc, s23, v38
	v_ldexp_f32 v39, v39, v40
	v_cndmask_b32_e32 v39, 0, v39, vcc
	v_cmp_nlt_f32_e32 vcc, s64, v38
	v_cndmask_b32_e32 v38, v17, v39, vcc
	v_add_f32_e32 v38, 1.0, v38
	v_rcp_f32_e32 v38, v38
	v_fma_f32 v38, v38, -2.0, 1.0
.LBB21_9:                               ;   in Loop: Header=BB21_3 Depth=1
	s_andn2_saveexec_b64 s[38:39], s[38:39]
	s_cbranch_execz .LBB21_2
; %bb.10:                               ;   in Loop: Header=BB21_3 Depth=1
	v_mul_f32_e32 v38, v35, v35
	v_mov_b32_e32 v39, 0x3ca908c9
	v_fmac_f32_e32 v39, 0xbbbac73d, v38
	v_fma_f32 v39, v38, v39, v14
	v_fma_f32 v39, v38, v39, v15
	;; [unrolled: 1-line block ×3, first 2 shown]
	v_mul_f32_e64 v39, |v35|, v39
	v_fma_f32 v38, v38, v39, |v35|
	s_branch .LBB21_2
.LBB21_11:
	s_endpgm
	.section	.rodata,"a",@progbits
	.p2align	6, 0x0
	.amdhsa_kernel _ZN2at6native12_GLOBAL__N_16kernel18lstm_cell_backwardIffiLi2EEEvNS_4cuda6detail10TensorInfoIT_T1_EES9_S9_S9_S9_S9_S9_S8_S8_
		.amdhsa_group_segment_fixed_size 0
		.amdhsa_private_segment_fixed_size 0
		.amdhsa_kernarg_size 1776
		.amdhsa_user_sgpr_count 6
		.amdhsa_user_sgpr_private_segment_buffer 1
		.amdhsa_user_sgpr_dispatch_ptr 0
		.amdhsa_user_sgpr_queue_ptr 0
		.amdhsa_user_sgpr_kernarg_segment_ptr 1
		.amdhsa_user_sgpr_dispatch_id 0
		.amdhsa_user_sgpr_flat_scratch_init 0
		.amdhsa_user_sgpr_kernarg_preload_length 0
		.amdhsa_user_sgpr_kernarg_preload_offset 0
		.amdhsa_user_sgpr_private_segment_size 0
		.amdhsa_uses_dynamic_stack 0
		.amdhsa_system_sgpr_private_segment_wavefront_offset 0
		.amdhsa_system_sgpr_workgroup_id_x 1
		.amdhsa_system_sgpr_workgroup_id_y 0
		.amdhsa_system_sgpr_workgroup_id_z 0
		.amdhsa_system_sgpr_workgroup_info 0
		.amdhsa_system_vgpr_workitem_id 0
		.amdhsa_next_free_vgpr 42
		.amdhsa_next_free_sgpr 68
		.amdhsa_accum_offset 44
		.amdhsa_reserve_vcc 1
		.amdhsa_reserve_flat_scratch 0
		.amdhsa_float_round_mode_32 0
		.amdhsa_float_round_mode_16_64 0
		.amdhsa_float_denorm_mode_32 3
		.amdhsa_float_denorm_mode_16_64 3
		.amdhsa_dx10_clamp 1
		.amdhsa_ieee_mode 1
		.amdhsa_fp16_overflow 0
		.amdhsa_tg_split 0
		.amdhsa_exception_fp_ieee_invalid_op 0
		.amdhsa_exception_fp_denorm_src 0
		.amdhsa_exception_fp_ieee_div_zero 0
		.amdhsa_exception_fp_ieee_overflow 0
		.amdhsa_exception_fp_ieee_underflow 0
		.amdhsa_exception_fp_ieee_inexact 0
		.amdhsa_exception_int_div_zero 0
	.end_amdhsa_kernel
	.section	.text._ZN2at6native12_GLOBAL__N_16kernel18lstm_cell_backwardIffiLi2EEEvNS_4cuda6detail10TensorInfoIT_T1_EES9_S9_S9_S9_S9_S9_S8_S8_,"axG",@progbits,_ZN2at6native12_GLOBAL__N_16kernel18lstm_cell_backwardIffiLi2EEEvNS_4cuda6detail10TensorInfoIT_T1_EES9_S9_S9_S9_S9_S9_S8_S8_,comdat
.Lfunc_end21:
	.size	_ZN2at6native12_GLOBAL__N_16kernel18lstm_cell_backwardIffiLi2EEEvNS_4cuda6detail10TensorInfoIT_T1_EES9_S9_S9_S9_S9_S9_S8_S8_, .Lfunc_end21-_ZN2at6native12_GLOBAL__N_16kernel18lstm_cell_backwardIffiLi2EEEvNS_4cuda6detail10TensorInfoIT_T1_EES9_S9_S9_S9_S9_S9_S8_S8_
                                        ; -- End function
	.section	.AMDGPU.csdata,"",@progbits
; Kernel info:
; codeLenInByte = 2944
; NumSgprs: 72
; NumVgprs: 42
; NumAgprs: 0
; TotalNumVgprs: 42
; ScratchSize: 0
; MemoryBound: 0
; FloatMode: 240
; IeeeMode: 1
; LDSByteSize: 0 bytes/workgroup (compile time only)
; SGPRBlocks: 8
; VGPRBlocks: 5
; NumSGPRsForWavesPerEU: 72
; NumVGPRsForWavesPerEU: 42
; AccumOffset: 44
; Occupancy: 8
; WaveLimiterHint : 1
; COMPUTE_PGM_RSRC2:SCRATCH_EN: 0
; COMPUTE_PGM_RSRC2:USER_SGPR: 6
; COMPUTE_PGM_RSRC2:TRAP_HANDLER: 0
; COMPUTE_PGM_RSRC2:TGID_X_EN: 1
; COMPUTE_PGM_RSRC2:TGID_Y_EN: 0
; COMPUTE_PGM_RSRC2:TGID_Z_EN: 0
; COMPUTE_PGM_RSRC2:TIDIG_COMP_CNT: 0
; COMPUTE_PGM_RSRC3_GFX90A:ACCUM_OFFSET: 10
; COMPUTE_PGM_RSRC3_GFX90A:TG_SPLIT: 0
	.section	.text._ZN2at6native12_GLOBAL__N_16kernel18lstm_cell_backwardIfflLi1EEEvNS_4cuda6detail10TensorInfoIT_T1_EES9_S9_S9_S9_S9_S9_S8_S8_,"axG",@progbits,_ZN2at6native12_GLOBAL__N_16kernel18lstm_cell_backwardIfflLi1EEEvNS_4cuda6detail10TensorInfoIT_T1_EES9_S9_S9_S9_S9_S9_S8_S8_,comdat
	.globl	_ZN2at6native12_GLOBAL__N_16kernel18lstm_cell_backwardIfflLi1EEEvNS_4cuda6detail10TensorInfoIT_T1_EES9_S9_S9_S9_S9_S9_S8_S8_ ; -- Begin function _ZN2at6native12_GLOBAL__N_16kernel18lstm_cell_backwardIfflLi1EEEvNS_4cuda6detail10TensorInfoIT_T1_EES9_S9_S9_S9_S9_S9_S8_S8_
	.p2align	8
	.type	_ZN2at6native12_GLOBAL__N_16kernel18lstm_cell_backwardIfflLi1EEEvNS_4cuda6detail10TensorInfoIT_T1_EES9_S9_S9_S9_S9_S9_S8_S8_,@function
_ZN2at6native12_GLOBAL__N_16kernel18lstm_cell_backwardIfflLi1EEEvNS_4cuda6detail10TensorInfoIT_T1_EES9_S9_S9_S9_S9_S9_S8_S8_: ; @_ZN2at6native12_GLOBAL__N_16kernel18lstm_cell_backwardIfflLi1EEEvNS_4cuda6detail10TensorInfoIT_T1_EES9_S9_S9_S9_S9_S9_S8_S8_
; %bb.0:
	s_load_dword s0, s[4:5], 0xb7c
	s_load_dwordx4 s[8:11], s[4:5], 0xb60
	s_add_u32 s16, s4, 0xb70
	s_addc_u32 s17, s5, 0
	v_mov_b32_e32 v2, 0
	s_waitcnt lgkmcnt(0)
	s_and_b32 s20, s0, 0xffff
	s_mul_i32 s6, s6, s20
	v_add_u32_e32 v0, s6, v0
	v_mov_b32_e32 v1, v2
	v_cmp_gt_i64_e32 vcc, s[10:11], v[0:1]
	s_and_saveexec_b64 s[0:1], vcc
	s_cbranch_execz .LBB22_15
; %bb.1:
	s_load_dwordx2 s[2:3], s[4:5], 0x0
	s_load_dwordx2 s[6:7], s[4:5], 0xd0
	s_load_dwordx2 s[12:13], s[4:5], 0x1a0
	s_load_dwordx2 s[14:15], s[4:5], 0x270
	s_load_dwordx2 s[22:23], s[4:5], 0x340
	s_load_dwordx2 s[24:25], s[4:5], 0x410
	s_load_dwordx2 s[34:35], s[4:5], 0x4e0
	s_load_dwordx2 s[36:37], s[4:5], 0x5b0
	s_load_dwordx2 s[30:31], s[4:5], 0x680
	s_load_dwordx2 s[26:27], s[4:5], 0x750
	s_load_dwordx2 s[28:29], s[4:5], 0x820
	s_load_dwordx2 s[0:1], s[4:5], 0x8f0
	s_load_dwordx2 s[42:43], s[4:5], 0x9c0
	s_load_dwordx2 s[44:45], s[4:5], 0xa90
	s_load_dword s21, s[16:17], 0x0
	s_waitcnt lgkmcnt(0)
	s_cmp_lg_u64 s[30:31], 0
	s_cselect_b64 s[16:17], -1, 0
	s_cmp_lg_u64 s[28:29], 0
	s_cselect_b64 s[18:19], -1, 0
	s_mul_i32 s33, s21, s20
	s_mul_i32 s20, s9, 3
	s_mul_hi_u32 s21, s8, 3
	s_add_i32 s39, s21, s20
	v_mul_lo_u32 v3, 0, s24
	v_mul_lo_u32 v6, v0, s25
	v_mad_u64_u32 v[4:5], s[20:21], v0, s24, 0
	v_add3_u32 v5, v5, v6, v3
	v_lshlrev_b64 v[4:5], 2, v[4:5]
	v_mov_b32_e32 v3, s23
	v_add_co_u32_e32 v4, vcc, s22, v4
	v_addc_co_u32_e32 v5, vcc, v3, v5, vcc
	v_mul_lo_u32 v3, 0, s36
	v_mul_lo_u32 v8, v0, s37
	v_mad_u64_u32 v[6:7], s[22:23], v0, s36, 0
	v_add3_u32 v7, v7, v8, v3
	v_lshlrev_b64 v[6:7], 2, v[6:7]
	s_mul_i32 s20, s33, s25
	s_mul_hi_u32 s21, s33, s24
	v_mov_b32_e32 v3, s35
	v_add_co_u32_e32 v6, vcc, s34, v6
	s_add_i32 s21, s21, s20
	s_mul_i32 s20, s33, s24
	v_addc_co_u32_e32 v7, vcc, v3, v7, vcc
	v_mul_lo_u32 v3, 0, s44
	v_mul_lo_u32 v10, v0, s45
	v_mad_u64_u32 v[8:9], s[24:25], v0, s44, 0
	v_add3_u32 v9, v9, v10, v3
	v_lshlrev_b64 v[8:9], 2, v[8:9]
	v_mov_b32_e32 v3, s43
	v_add_co_u32_e32 v8, vcc, s42, v8
	v_addc_co_u32_e32 v9, vcc, v3, v9, vcc
	v_mul_lo_u32 v3, 0, s26
	v_mul_lo_u32 v12, v0, s27
	v_mad_u64_u32 v[10:11], s[34:35], v0, s26, 0
	v_add3_u32 v11, v11, v12, v3
	v_lshlrev_b64 v[10:11], 2, v[10:11]
	v_mov_b32_e32 v3, s31
	v_add_co_u32_e32 v10, vcc, s30, v10
	s_mul_i32 s27, s33, s27
	s_mul_hi_u32 s30, s33, s26
	v_addc_co_u32_e32 v11, vcc, v3, v11, vcc
	s_add_i32 s27, s30, s27
	v_mul_lo_u32 v3, 0, s0
	v_mul_lo_u32 v14, v0, s1
	v_mad_u64_u32 v[12:13], s[30:31], v0, s0, 0
	v_add3_u32 v13, v13, v14, v3
	v_lshlrev_b64 v[12:13], 2, v[12:13]
	s_mul_i32 s22, s33, s37
	s_mul_hi_u32 s23, s33, s36
	s_mul_i32 s24, s33, s45
	s_mul_hi_u32 s25, s33, s44
	v_add_co_u32_e32 v12, vcc, s28, v12
	s_mul_i32 s1, s33, s1
	s_mul_hi_u32 s28, s33, s0
	s_add_i32 s23, s23, s22
	s_mul_i32 s22, s33, s36
	s_add_i32 s25, s25, s24
	s_mul_i32 s24, s33, s44
	s_mul_i32 s26, s33, s26
	v_mov_b32_e32 v3, s29
	s_add_i32 s1, s28, s1
	s_mul_i32 s0, s33, s0
	s_mov_b64 s[4:5], 0
	s_mov_b32 s38, 0
	s_mul_i32 s40, s8, 3
	s_lshl_b64 s[20:21], s[20:21], 2
	s_lshl_b64 s[22:23], s[22:23], 2
	;; [unrolled: 1-line block ×4, first 2 shown]
	v_addc_co_u32_e32 v13, vcc, v3, v13, vcc
	s_lshl_b64 s[28:29], s[0:1], 2
	s_mov_b32 s41, 0x3f200000
	s_mov_b32 s42, 0x3fb8aa3b
	;; [unrolled: 1-line block ×4, first 2 shown]
	v_mov_b32_e32 v22, 0xbd5c1c4e
	v_mov_b32_e32 v23, 0x3e088382
	;; [unrolled: 1-line block ×3, first 2 shown]
	s_brev_b32 s45, -2
	v_mov_b32_e32 v25, 0x7f800000
	s_branch .LBB22_3
.LBB22_2:                               ;   in Loop: Header=BB22_3 Depth=1
	s_or_b64 exec, exec, s[0:1]
	v_mul_lo_u32 v3, v3, s14
	v_mul_lo_u32 v36, v14, s15
	v_mad_u64_u32 v[34:35], s[0:1], v14, s14, 0
	v_add3_u32 v35, v35, v36, v3
	v_lshlrev_b64 v[34:35], 2, v[34:35]
	v_mul_lo_u32 v14, v26, s14
	v_mul_lo_u32 v26, v16, s15
	v_mad_u64_u32 v[36:37], s[0:1], v16, s14, 0
	v_mov_b32_e32 v3, s13
	v_add_co_u32_e32 v34, vcc, s12, v34
	v_add3_u32 v37, v37, v26, v14
	v_addc_co_u32_e32 v35, vcc, v3, v35, vcc
	v_lshlrev_b64 v[36:37], 2, v[36:37]
	v_mul_lo_u32 v14, v27, s14
	v_mul_lo_u32 v16, v18, s15
	v_mad_u64_u32 v[26:27], s[0:1], v18, s14, 0
	v_add_co_u32_e32 v36, vcc, s12, v36
	v_add3_u32 v27, v27, v16, v14
	v_addc_co_u32_e32 v37, vcc, v3, v37, vcc
	v_lshlrev_b64 v[26:27], 2, v[26:27]
	v_mul_lo_u32 v14, v29, s14
	v_mul_lo_u32 v16, v20, s15
	v_mad_u64_u32 v[38:39], s[0:1], v20, s14, 0
	v_add_co_u32_e32 v26, vcc, s12, v26
	v_add3_u32 v39, v39, v16, v14
	v_addc_co_u32_e32 v27, vcc, v3, v27, vcc
	v_lshlrev_b64 v[38:39], 2, v[38:39]
	v_add_co_u32_e32 v38, vcc, s12, v38
	v_addc_co_u32_e32 v39, vcc, v3, v39, vcc
	v_bfi_b32 v3, s45, v33, v30
	v_mul_f32_e32 v14, v32, v3
	v_mul_f32_e32 v16, v15, v32
	v_fma_f32 v3, -v3, v3, 1.0
	v_fmac_f32_e32 v31, v16, v3
	v_mul_f32_e32 v3, v19, v31
	v_mul_f32_e32 v16, v28, v31
	v_sub_f32_e32 v28, 1.0, v21
	v_mul_f32_e32 v3, v28, v3
	v_mul_f32_e32 v18, v21, v31
	;; [unrolled: 1-line block ×3, first 2 shown]
	v_sub_f32_e32 v21, 1.0, v17
	v_mul_f32_e32 v16, v21, v16
	v_mul_f32_e32 v20, v17, v31
	;; [unrolled: 1-line block ×3, first 2 shown]
	v_fma_f32 v17, -v19, v19, 1.0
	v_mul_f32_e32 v17, v17, v18
	v_sub_f32_e32 v18, 1.0, v15
	v_mul_f32_e32 v14, v18, v14
	v_mul_f32_e32 v14, v15, v14
	global_store_dword v[34:35], v3, off
	global_store_dword v[36:37], v16, off
	;; [unrolled: 1-line block ×5, first 2 shown]
	v_mov_b32_e32 v3, s38
	v_add_co_u32_e32 v0, vcc, s33, v0
	v_addc_co_u32_e32 v1, vcc, v1, v3, vcc
	v_mov_b32_e32 v3, s21
	v_add_co_u32_e32 v4, vcc, s20, v4
	v_addc_co_u32_e32 v5, vcc, v5, v3, vcc
	v_mov_b32_e32 v3, s23
	v_add_co_u32_e32 v6, vcc, s22, v6
	v_addc_co_u32_e32 v7, vcc, v7, v3, vcc
	v_mov_b32_e32 v3, s25
	v_add_co_u32_e32 v8, vcc, s24, v8
	v_addc_co_u32_e32 v9, vcc, v9, v3, vcc
	v_mov_b32_e32 v3, s27
	v_add_co_u32_e32 v10, vcc, s26, v10
	v_addc_co_u32_e32 v11, vcc, v11, v3, vcc
	v_cmp_le_i64_e32 vcc, s[10:11], v[0:1]
	v_mov_b32_e32 v3, s29
	s_or_b64 s[4:5], vcc, s[4:5]
	v_add_co_u32_e32 v12, vcc, s28, v12
	v_addc_co_u32_e32 v13, vcc, v13, v3, vcc
	s_andn2_b64 exec, exec, s[4:5]
	s_cbranch_execz .LBB22_15
.LBB22_3:                               ; =>This Inner Loop Header: Depth=1
	v_or_b32_e32 v3, s9, v1
	v_cmp_ne_u64_e32 vcc, 0, v[2:3]
                                        ; implicit-def: $vgpr20_vgpr21
	s_and_saveexec_b64 s[0:1], vcc
	s_xor_b64 s[30:31], exec, s[0:1]
	s_cbranch_execz .LBB22_5
; %bb.4:                                ;   in Loop: Header=BB22_3 Depth=1
	s_ashr_i32 s34, s9, 31
	s_add_u32 s0, s8, s34
	s_mov_b32 s35, s34
	s_addc_u32 s1, s9, s34
	s_xor_b64 s[36:37], s[0:1], s[34:35]
	v_cvt_f32_u32_e32 v3, s36
	v_cvt_f32_u32_e32 v14, s37
	s_sub_u32 s0, 0, s36
	s_subb_u32 s1, 0, s37
	v_mac_f32_e32 v3, 0x4f800000, v14
	v_rcp_f32_e32 v3, v3
	v_mul_f32_e32 v3, 0x5f7ffffc, v3
	v_mul_f32_e32 v14, 0x2f800000, v3
	v_trunc_f32_e32 v14, v14
	v_mac_f32_e32 v3, 0xcf800000, v14
	v_cvt_u32_f32_e32 v14, v14
	v_cvt_u32_f32_e32 v3, v3
	v_mul_lo_u32 v15, s0, v14
	v_mul_hi_u32 v17, s0, v3
	v_mul_lo_u32 v16, s1, v3
	v_add_u32_e32 v15, v17, v15
	v_mul_lo_u32 v18, s0, v3
	v_add_u32_e32 v15, v15, v16
	v_mul_lo_u32 v17, v3, v15
	v_mul_hi_u32 v19, v3, v18
	v_mul_hi_u32 v16, v3, v15
	v_add_co_u32_e32 v17, vcc, v19, v17
	v_addc_co_u32_e32 v16, vcc, 0, v16, vcc
	v_mul_hi_u32 v20, v14, v18
	v_mul_lo_u32 v18, v14, v18
	v_add_co_u32_e32 v17, vcc, v17, v18
	v_mul_hi_u32 v19, v14, v15
	v_addc_co_u32_e32 v16, vcc, v16, v20, vcc
	v_addc_co_u32_e32 v17, vcc, 0, v19, vcc
	v_mul_lo_u32 v15, v14, v15
	v_add_co_u32_e32 v15, vcc, v16, v15
	v_addc_co_u32_e32 v16, vcc, 0, v17, vcc
	v_add_co_u32_e32 v3, vcc, v3, v15
	v_addc_co_u32_e32 v14, vcc, v14, v16, vcc
	v_mul_lo_u32 v15, s0, v14
	v_mul_hi_u32 v16, s0, v3
	v_add_u32_e32 v15, v16, v15
	v_mul_lo_u32 v16, s1, v3
	v_add_u32_e32 v15, v15, v16
	v_mul_lo_u32 v17, s0, v3
	v_mul_hi_u32 v18, v14, v17
	v_mul_lo_u32 v19, v14, v17
	v_mul_lo_u32 v21, v3, v15
	v_mul_hi_u32 v17, v3, v17
	v_mul_hi_u32 v20, v3, v15
	v_add_co_u32_e32 v17, vcc, v17, v21
	v_addc_co_u32_e32 v20, vcc, 0, v20, vcc
	v_add_co_u32_e32 v17, vcc, v17, v19
	v_mul_hi_u32 v16, v14, v15
	v_addc_co_u32_e32 v17, vcc, v20, v18, vcc
	v_addc_co_u32_e32 v16, vcc, 0, v16, vcc
	v_mul_lo_u32 v15, v14, v15
	v_add_co_u32_e32 v15, vcc, v17, v15
	v_addc_co_u32_e32 v16, vcc, 0, v16, vcc
	v_add_co_u32_e32 v3, vcc, v3, v15
	v_addc_co_u32_e32 v16, vcc, v14, v16, vcc
	v_ashrrev_i32_e32 v18, 31, v1
	v_add_co_u32_e32 v14, vcc, v0, v18
	v_addc_co_u32_e32 v15, vcc, v1, v18, vcc
	v_xor_b32_e32 v20, v14, v18
	v_xor_b32_e32 v19, v15, v18
	v_mad_u64_u32 v[14:15], s[0:1], v20, v16, 0
	v_mul_hi_u32 v17, v20, v3
	v_add_co_u32_e32 v21, vcc, v17, v14
	v_addc_co_u32_e32 v26, vcc, 0, v15, vcc
	v_mad_u64_u32 v[14:15], s[0:1], v19, v16, 0
	v_mad_u64_u32 v[16:17], s[0:1], v19, v3, 0
	v_add_co_u32_e32 v3, vcc, v21, v16
	v_addc_co_u32_e32 v3, vcc, v26, v17, vcc
	v_addc_co_u32_e32 v15, vcc, 0, v15, vcc
	v_add_co_u32_e32 v3, vcc, v3, v14
	v_addc_co_u32_e32 v16, vcc, 0, v15, vcc
	v_mul_lo_u32 v17, s37, v3
	v_mul_lo_u32 v21, s36, v16
	v_mad_u64_u32 v[14:15], s[0:1], s36, v3, 0
	v_add3_u32 v15, v15, v21, v17
	v_sub_u32_e32 v17, v19, v15
	v_mov_b32_e32 v21, s37
	v_sub_co_u32_e32 v14, vcc, v20, v14
	v_subb_co_u32_e64 v17, s[0:1], v17, v21, vcc
	v_subrev_co_u32_e64 v20, s[0:1], s36, v14
	v_subbrev_co_u32_e64 v17, s[0:1], 0, v17, s[0:1]
	v_cmp_le_u32_e64 s[0:1], s37, v17
	v_cndmask_b32_e64 v21, 0, -1, s[0:1]
	v_cmp_le_u32_e64 s[0:1], s36, v20
	v_cndmask_b32_e64 v20, 0, -1, s[0:1]
	v_cmp_eq_u32_e64 s[0:1], s37, v17
	v_cndmask_b32_e64 v17, v21, v20, s[0:1]
	v_add_co_u32_e64 v20, s[0:1], 2, v3
	v_subb_co_u32_e32 v15, vcc, v19, v15, vcc
	v_addc_co_u32_e64 v21, s[0:1], 0, v16, s[0:1]
	v_cmp_le_u32_e32 vcc, s37, v15
	v_add_co_u32_e64 v26, s[0:1], 1, v3
	v_cndmask_b32_e64 v19, 0, -1, vcc
	v_cmp_le_u32_e32 vcc, s36, v14
	v_addc_co_u32_e64 v27, s[0:1], 0, v16, s[0:1]
	v_cndmask_b32_e64 v14, 0, -1, vcc
	v_cmp_eq_u32_e32 vcc, s37, v15
	v_cmp_ne_u32_e64 s[0:1], 0, v17
	v_cndmask_b32_e32 v14, v19, v14, vcc
	v_cmp_ne_u32_e32 vcc, 0, v14
	v_cndmask_b32_e64 v15, v26, v20, s[0:1]
	v_cndmask_b32_e64 v17, v27, v21, s[0:1]
	v_cndmask_b32_e32 v3, v3, v15, vcc
	v_xor_b32_e32 v15, s34, v18
	v_cndmask_b32_e32 v14, v16, v17, vcc
	v_xor_b32_e32 v3, v3, v15
	v_xor_b32_e32 v14, v14, v15
	v_sub_co_u32_e32 v20, vcc, v3, v15
	v_subb_co_u32_e32 v21, vcc, v14, v15, vcc
.LBB22_5:                               ;   in Loop: Header=BB22_3 Depth=1
	s_andn2_saveexec_b64 s[0:1], s[30:31]
	s_cbranch_execz .LBB22_7
; %bb.6:                                ;   in Loop: Header=BB22_3 Depth=1
	v_cvt_f32_u32_e32 v3, s8
	s_sub_i32 s30, 0, s8
	v_mov_b32_e32 v21, v2
	v_rcp_iflag_f32_e32 v3, v3
	v_mul_f32_e32 v3, 0x4f7ffffe, v3
	v_cvt_u32_f32_e32 v3, v3
	v_mul_lo_u32 v14, s30, v3
	v_mul_hi_u32 v14, v3, v14
	v_add_u32_e32 v3, v3, v14
	v_mul_hi_u32 v3, v0, v3
	v_mul_lo_u32 v14, v3, s8
	v_sub_u32_e32 v14, v0, v14
	v_add_u32_e32 v15, 1, v3
	v_subrev_u32_e32 v16, s8, v14
	v_cmp_le_u32_e32 vcc, s8, v14
	v_cndmask_b32_e32 v14, v14, v16, vcc
	v_cndmask_b32_e32 v3, v3, v15, vcc
	v_add_u32_e32 v15, 1, v3
	v_cmp_le_u32_e32 vcc, s8, v14
	v_cndmask_b32_e32 v20, v3, v15, vcc
.LBB22_7:                               ;   in Loop: Header=BB22_3 Depth=1
	s_or_b64 exec, exec, s[0:1]
	v_mad_u64_u32 v[14:15], s[0:1], s40, v20, v[0:1]
	v_mul_lo_u32 v3, s40, v21
	v_mul_lo_u32 v16, s39, v20
	v_add3_u32 v3, v16, v15, v3
	v_mul_lo_u32 v15, v14, s7
	v_mul_lo_u32 v18, v3, s6
	v_mad_u64_u32 v[16:17], s[0:1], v14, s6, 0
	v_add3_u32 v17, v17, v15, v18
	v_lshlrev_b64 v[16:17], 2, v[16:17]
	v_mov_b32_e32 v15, s3
	v_add_co_u32_e32 v32, vcc, s2, v16
	v_addc_co_u32_e32 v33, vcc, v15, v17, vcc
	v_mad_u64_u32 v[16:17], s[0:1], v20, 3, 1
	v_lshl_add_u32 v30, v21, 1, v21
	v_add_u32_e32 v17, v30, v17
	v_mul_lo_u32 v18, s9, v16
	v_mul_lo_u32 v19, s8, v17
	v_mad_u64_u32 v[16:17], s[0:1], s8, v16, v[0:1]
	v_add3_u32 v26, v18, v17, v19
	v_mul_lo_u32 v17, v26, s6
	v_mul_lo_u32 v21, v16, s7
	v_mad_u64_u32 v[18:19], s[0:1], v16, s6, 0
	v_add3_u32 v19, v19, v21, v17
	v_lshlrev_b64 v[18:19], 2, v[18:19]
	v_add_co_u32_e32 v34, vcc, s2, v18
	v_addc_co_u32_e32 v35, vcc, v15, v19, vcc
	v_mad_u64_u32 v[18:19], s[0:1], v20, 3, 2
	v_add_u32_e32 v17, v30, v19
	v_mul_lo_u32 v21, s9, v18
	v_mul_lo_u32 v17, s8, v17
	v_mad_u64_u32 v[18:19], s[0:1], s8, v18, v[0:1]
	v_add3_u32 v27, v21, v19, v17
	v_mul_lo_u32 v17, v27, s6
	v_mul_lo_u32 v19, v18, s7
	v_mad_u64_u32 v[28:29], s[0:1], v18, s6, 0
	v_add3_u32 v29, v29, v19, v17
	v_mad_u64_u32 v[20:21], s[0:1], v20, 3, 3
	v_lshlrev_b64 v[28:29], 2, v[28:29]
	v_add_u32_e32 v17, v30, v21
	v_add_co_u32_e32 v36, vcc, s2, v28
	v_mul_lo_u32 v19, s9, v20
	v_mul_lo_u32 v17, s8, v17
	v_mad_u64_u32 v[20:21], s[0:1], s8, v20, v[0:1]
	v_addc_co_u32_e32 v37, vcc, v15, v29, vcc
	v_add3_u32 v29, v19, v21, v17
	v_mul_lo_u32 v17, v29, s6
	v_mul_lo_u32 v19, v20, s7
	v_mad_u64_u32 v[30:31], s[0:1], v20, s6, 0
	v_add3_u32 v31, v31, v19, v17
	v_lshlrev_b64 v[30:31], 2, v[30:31]
	v_add_co_u32_e32 v38, vcc, s2, v30
	v_addc_co_u32_e32 v39, vcc, v15, v31, vcc
	global_load_dword v21, v[32:33], off
	global_load_dword v17, v[34:35], off
	;; [unrolled: 1-line block ×6, first 2 shown]
	s_andn2_b64 vcc, exec, s[16:17]
	v_mov_b32_e32 v31, 0
	v_mov_b32_e32 v32, 0
	s_cbranch_vccnz .LBB22_9
; %bb.8:                                ;   in Loop: Header=BB22_3 Depth=1
	global_load_dword v32, v[10:11], off
.LBB22_9:                               ;   in Loop: Header=BB22_3 Depth=1
	s_andn2_b64 vcc, exec, s[18:19]
	s_cbranch_vccnz .LBB22_11
; %bb.10:                               ;   in Loop: Header=BB22_3 Depth=1
	global_load_dword v31, v[12:13], off
.LBB22_11:                              ;   in Loop: Header=BB22_3 Depth=1
	s_waitcnt vmcnt(0)
	v_cmp_nlt_f32_e64 s[0:1], |v30|, s41
                                        ; implicit-def: $vgpr33
	s_and_saveexec_b64 s[30:31], s[0:1]
	s_xor_b64 s[0:1], exec, s[30:31]
	s_cbranch_execz .LBB22_13
; %bb.12:                               ;   in Loop: Header=BB22_3 Depth=1
	v_add_f32_e64 v33, |v30|, |v30|
	v_mul_f32_e32 v34, 0x3fb8aa3b, v33
	v_rndne_f32_e32 v35, v34
	v_sub_f32_e32 v36, v34, v35
	v_fma_f32 v34, v33, s42, -v34
	v_fmac_f32_e32 v34, 0x32a5705f, v33
	v_add_f32_e32 v34, v36, v34
	v_cvt_i32_f32_e32 v35, v35
	v_exp_f32_e32 v34, v34
	v_cmp_ngt_f32_e32 vcc, s43, v33
	v_ldexp_f32 v34, v34, v35
	v_cndmask_b32_e32 v34, 0, v34, vcc
	v_cmp_nlt_f32_e32 vcc, s44, v33
	v_cndmask_b32_e32 v33, v25, v34, vcc
	v_add_f32_e32 v33, 1.0, v33
	v_rcp_f32_e32 v33, v33
	v_fma_f32 v33, v33, -2.0, 1.0
.LBB22_13:                              ;   in Loop: Header=BB22_3 Depth=1
	s_andn2_saveexec_b64 s[0:1], s[0:1]
	s_cbranch_execz .LBB22_2
; %bb.14:                               ;   in Loop: Header=BB22_3 Depth=1
	v_mul_f32_e32 v33, v30, v30
	v_mov_b32_e32 v34, 0x3ca908c9
	v_fmac_f32_e32 v34, 0xbbbac73d, v33
	v_fma_f32 v34, v33, v34, v22
	v_fma_f32 v34, v33, v34, v23
	;; [unrolled: 1-line block ×3, first 2 shown]
	v_mul_f32_e64 v34, |v30|, v34
	v_fma_f32 v33, v33, v34, |v30|
	s_branch .LBB22_2
.LBB22_15:
	s_endpgm
	.section	.rodata,"a",@progbits
	.p2align	6, 0x0
	.amdhsa_kernel _ZN2at6native12_GLOBAL__N_16kernel18lstm_cell_backwardIfflLi1EEEvNS_4cuda6detail10TensorInfoIT_T1_EES9_S9_S9_S9_S9_S9_S8_S8_
		.amdhsa_group_segment_fixed_size 0
		.amdhsa_private_segment_fixed_size 0
		.amdhsa_kernarg_size 3184
		.amdhsa_user_sgpr_count 6
		.amdhsa_user_sgpr_private_segment_buffer 1
		.amdhsa_user_sgpr_dispatch_ptr 0
		.amdhsa_user_sgpr_queue_ptr 0
		.amdhsa_user_sgpr_kernarg_segment_ptr 1
		.amdhsa_user_sgpr_dispatch_id 0
		.amdhsa_user_sgpr_flat_scratch_init 0
		.amdhsa_user_sgpr_kernarg_preload_length 0
		.amdhsa_user_sgpr_kernarg_preload_offset 0
		.amdhsa_user_sgpr_private_segment_size 0
		.amdhsa_uses_dynamic_stack 0
		.amdhsa_system_sgpr_private_segment_wavefront_offset 0
		.amdhsa_system_sgpr_workgroup_id_x 1
		.amdhsa_system_sgpr_workgroup_id_y 0
		.amdhsa_system_sgpr_workgroup_id_z 0
		.amdhsa_system_sgpr_workgroup_info 0
		.amdhsa_system_vgpr_workitem_id 0
		.amdhsa_next_free_vgpr 40
		.amdhsa_next_free_sgpr 46
		.amdhsa_accum_offset 40
		.amdhsa_reserve_vcc 1
		.amdhsa_reserve_flat_scratch 0
		.amdhsa_float_round_mode_32 0
		.amdhsa_float_round_mode_16_64 0
		.amdhsa_float_denorm_mode_32 3
		.amdhsa_float_denorm_mode_16_64 3
		.amdhsa_dx10_clamp 1
		.amdhsa_ieee_mode 1
		.amdhsa_fp16_overflow 0
		.amdhsa_tg_split 0
		.amdhsa_exception_fp_ieee_invalid_op 0
		.amdhsa_exception_fp_denorm_src 0
		.amdhsa_exception_fp_ieee_div_zero 0
		.amdhsa_exception_fp_ieee_overflow 0
		.amdhsa_exception_fp_ieee_underflow 0
		.amdhsa_exception_fp_ieee_inexact 0
		.amdhsa_exception_int_div_zero 0
	.end_amdhsa_kernel
	.section	.text._ZN2at6native12_GLOBAL__N_16kernel18lstm_cell_backwardIfflLi1EEEvNS_4cuda6detail10TensorInfoIT_T1_EES9_S9_S9_S9_S9_S9_S8_S8_,"axG",@progbits,_ZN2at6native12_GLOBAL__N_16kernel18lstm_cell_backwardIfflLi1EEEvNS_4cuda6detail10TensorInfoIT_T1_EES9_S9_S9_S9_S9_S9_S8_S8_,comdat
.Lfunc_end22:
	.size	_ZN2at6native12_GLOBAL__N_16kernel18lstm_cell_backwardIfflLi1EEEvNS_4cuda6detail10TensorInfoIT_T1_EES9_S9_S9_S9_S9_S9_S8_S8_, .Lfunc_end22-_ZN2at6native12_GLOBAL__N_16kernel18lstm_cell_backwardIfflLi1EEEvNS_4cuda6detail10TensorInfoIT_T1_EES9_S9_S9_S9_S9_S9_S8_S8_
                                        ; -- End function
	.section	.AMDGPU.csdata,"",@progbits
; Kernel info:
; codeLenInByte = 2536
; NumSgprs: 50
; NumVgprs: 40
; NumAgprs: 0
; TotalNumVgprs: 40
; ScratchSize: 0
; MemoryBound: 0
; FloatMode: 240
; IeeeMode: 1
; LDSByteSize: 0 bytes/workgroup (compile time only)
; SGPRBlocks: 6
; VGPRBlocks: 4
; NumSGPRsForWavesPerEU: 50
; NumVGPRsForWavesPerEU: 40
; AccumOffset: 40
; Occupancy: 8
; WaveLimiterHint : 1
; COMPUTE_PGM_RSRC2:SCRATCH_EN: 0
; COMPUTE_PGM_RSRC2:USER_SGPR: 6
; COMPUTE_PGM_RSRC2:TRAP_HANDLER: 0
; COMPUTE_PGM_RSRC2:TGID_X_EN: 1
; COMPUTE_PGM_RSRC2:TGID_Y_EN: 0
; COMPUTE_PGM_RSRC2:TGID_Z_EN: 0
; COMPUTE_PGM_RSRC2:TIDIG_COMP_CNT: 0
; COMPUTE_PGM_RSRC3_GFX90A:ACCUM_OFFSET: 9
; COMPUTE_PGM_RSRC3_GFX90A:TG_SPLIT: 0
	.section	.text._ZN2at6native12_GLOBAL__N_16kernel18lstm_cell_backwardIfflLi2EEEvNS_4cuda6detail10TensorInfoIT_T1_EES9_S9_S9_S9_S9_S9_S8_S8_,"axG",@progbits,_ZN2at6native12_GLOBAL__N_16kernel18lstm_cell_backwardIfflLi2EEEvNS_4cuda6detail10TensorInfoIT_T1_EES9_S9_S9_S9_S9_S9_S8_S8_,comdat
	.globl	_ZN2at6native12_GLOBAL__N_16kernel18lstm_cell_backwardIfflLi2EEEvNS_4cuda6detail10TensorInfoIT_T1_EES9_S9_S9_S9_S9_S9_S8_S8_ ; -- Begin function _ZN2at6native12_GLOBAL__N_16kernel18lstm_cell_backwardIfflLi2EEEvNS_4cuda6detail10TensorInfoIT_T1_EES9_S9_S9_S9_S9_S9_S8_S8_
	.p2align	8
	.type	_ZN2at6native12_GLOBAL__N_16kernel18lstm_cell_backwardIfflLi2EEEvNS_4cuda6detail10TensorInfoIT_T1_EES9_S9_S9_S9_S9_S9_S8_S8_,@function
_ZN2at6native12_GLOBAL__N_16kernel18lstm_cell_backwardIfflLi2EEEvNS_4cuda6detail10TensorInfoIT_T1_EES9_S9_S9_S9_S9_S9_S8_S8_: ; @_ZN2at6native12_GLOBAL__N_16kernel18lstm_cell_backwardIfflLi2EEEvNS_4cuda6detail10TensorInfoIT_T1_EES9_S9_S9_S9_S9_S9_S8_S8_
; %bb.0:
	s_load_dword s2, s[4:5], 0xb7c
	s_load_dwordx4 s[8:11], s[4:5], 0xb60
	s_add_u32 s0, s4, 0xb70
	s_addc_u32 s1, s5, 0
	v_mov_b32_e32 v2, 0
	s_waitcnt lgkmcnt(0)
	s_and_b32 s7, s2, 0xffff
	s_mul_i32 s6, s6, s7
	v_add_u32_e32 v0, s6, v0
	v_mov_b32_e32 v1, v2
	v_cmp_gt_i64_e32 vcc, s[10:11], v[0:1]
	s_and_saveexec_b64 s[2:3], vcc
	s_cbranch_execz .LBB23_67
; %bb.1:
	s_load_dwordx2 s[2:3], s[4:5], 0x0
	s_load_dwordx2 s[34:35], s[4:5], 0x10
	s_load_dwordx4 s[12:15], s[4:5], 0xd0
	s_load_dwordx2 s[40:41], s[4:5], 0x1a0
	s_load_dwordx2 s[42:43], s[4:5], 0x340
	;; [unrolled: 1-line block ×3, first 2 shown]
	s_load_dwordx4 s[16:19], s[4:5], 0x410
	s_load_dwordx2 s[46:47], s[4:5], 0x4e0
	s_load_dwordx2 s[48:49], s[4:5], 0x4f0
	s_load_dwordx4 s[20:23], s[4:5], 0x5b0
	s_load_dwordx2 s[50:51], s[4:5], 0x680
	s_load_dwordx2 s[52:53], s[4:5], 0x690
	;; [unrolled: 3-line block ×4, first 2 shown]
	s_nop 0
	s_load_dword s0, s[0:1], 0x0
	s_waitcnt lgkmcnt(0)
	s_cmp_lg_u64 s[50:51], 0
	v_cvt_f32_u32_e32 v3, s8
	s_cselect_b64 s[62:63], -1, 0
	s_cmp_lg_u64 s[54:55], 0
	s_mul_i32 s33, s0, s7
	s_mul_i32 s0, s9, 3
	s_mul_hi_u32 s1, s8, 3
	s_cselect_b64 s[64:65], -1, 0
	s_add_i32 s77, s1, s0
	s_sub_u32 s79, 0, s44
	s_subb_u32 s80, 0, s45
	v_rcp_iflag_f32_e32 v3, v3
	s_sub_u32 s81, 0, s48
	s_subb_u32 s82, 0, s49
	s_sub_u32 s83, 0, s60
	s_load_dwordx2 s[66:67], s[4:5], 0x1b0
	s_load_dwordx4 s[36:39], s[4:5], 0x270
	s_nop 0
	s_load_dwordx4 s[4:7], s[4:5], 0xa90
	s_subb_u32 s84, 0, s61
	v_mul_f32_e32 v3, 0x4f7ffffe, v3
	s_sub_u32 s85, 0, s52
	v_cvt_u32_f32_e32 v27, v3
	s_subb_u32 s86, 0, s53
	s_sub_u32 s87, 0, s56
	s_mov_b32 s76, 0
	s_mul_i32 s78, s8, 3
	s_subb_u32 s88, 0, s57
	s_mov_b32 s89, 0x3f200000
	s_mov_b32 s90, 0x3fb8aa3b
	;; [unrolled: 1-line block ×4, first 2 shown]
	v_mov_b32_e32 v24, 0xbd5c1c4e
	v_mov_b32_e32 v25, 0x3e088382
	;; [unrolled: 1-line block ×3, first 2 shown]
	s_brev_b32 s93, -2
	v_mov_b32_e32 v28, 0x7f800000
	s_mov_b64 s[68:69], 0
	s_branch .LBB23_3
.LBB23_2:                               ;   in Loop: Header=BB23_3 Depth=1
	s_or_b64 exec, exec, s[0:1]
	v_mad_u64_u32 v[36:37], s[0:1], s83, v20, v[0:1]
	v_mul_lo_u32 v23, s83, v21
	v_mul_lo_u32 v38, s84, v20
	v_add3_u32 v23, v38, v37, v23
	v_mul_lo_u32 v38, v36, s7
	v_mul_lo_u32 v23, v23, s6
	v_mad_u64_u32 v[36:37], s[0:1], v36, s6, 0
	v_add3_u32 v37, v37, v38, v23
	v_mul_lo_u32 v23, v21, s4
	v_mul_lo_u32 v38, v20, s5
	v_mad_u64_u32 v[20:21], s[0:1], v20, s4, 0
	v_add3_u32 v21, v21, v38, v23
	v_lshlrev_b64 v[20:21], 2, v[20:21]
	v_mov_b32_e32 v23, s59
	v_add_co_u32_e32 v38, vcc, s58, v20
	v_addc_co_u32_e32 v23, vcc, v23, v21, vcc
	v_lshlrev_b64 v[20:21], 2, v[36:37]
	v_add_co_u32_e32 v20, vcc, v38, v20
	v_addc_co_u32_e32 v21, vcc, v23, v21, vcc
	v_mul_lo_u32 v23, v19, s66
	v_mul_lo_u32 v38, v18, s67
	v_mad_u64_u32 v[36:37], s[0:1], v18, s66, 0
	v_add3_u32 v23, v37, v38, v23
	v_sub_co_u32_e32 v10, vcc, v10, v36
	v_subb_co_u32_e32 v23, vcc, v32, v23, vcc
	v_add_co_u32_e32 v10, vcc, v0, v10
	v_addc_co_u32_e32 v23, vcc, v1, v23, vcc
	v_mul_lo_u32 v23, v23, s38
	v_mul_lo_u32 v32, v10, s39
	v_mad_u64_u32 v[36:37], s[0:1], v10, s38, 0
	v_add3_u32 v37, v37, v32, v23
	v_mul_lo_u32 v10, v19, s36
	v_mul_lo_u32 v23, v18, s37
	v_mad_u64_u32 v[18:19], s[0:1], v18, s36, 0
	v_add3_u32 v19, v19, v23, v10
	v_lshlrev_b64 v[18:19], 2, v[18:19]
	v_mov_b32_e32 v10, s41
	v_add_co_u32_e32 v23, vcc, s40, v18
	v_addc_co_u32_e32 v32, vcc, v10, v19, vcc
	v_lshlrev_b64 v[18:19], 2, v[36:37]
	v_add_co_u32_e32 v18, vcc, v23, v18
	v_addc_co_u32_e32 v19, vcc, v32, v19, vcc
	v_mul_lo_u32 v23, v17, s66
	v_mul_lo_u32 v32, v16, s67
	v_mad_u64_u32 v[36:37], s[0:1], v16, s66, 0
	v_add3_u32 v23, v37, v32, v23
	v_sub_co_u32_e32 v8, vcc, v8, v36
	v_subb_co_u32_e32 v23, vcc, v31, v23, vcc
	v_add_co_u32_e32 v8, vcc, v0, v8
	v_addc_co_u32_e32 v23, vcc, v1, v23, vcc
	v_mul_lo_u32 v23, v23, s38
	v_mul_lo_u32 v31, v8, s39
	v_mad_u64_u32 v[36:37], s[0:1], v8, s38, 0
	v_add3_u32 v37, v37, v31, v23
	v_mul_lo_u32 v8, v17, s36
	v_mul_lo_u32 v23, v16, s37
	v_mad_u64_u32 v[16:17], s[0:1], v16, s36, 0
	v_add3_u32 v17, v17, v23, v8
	v_lshlrev_b64 v[16:17], 2, v[16:17]
	v_add_co_u32_e32 v8, vcc, s40, v16
	v_addc_co_u32_e32 v23, vcc, v10, v17, vcc
	v_lshlrev_b64 v[16:17], 2, v[36:37]
	v_add_co_u32_e32 v16, vcc, v8, v16
	v_addc_co_u32_e32 v17, vcc, v23, v17, vcc
	v_mul_lo_u32 v8, v15, s66
	v_mul_lo_u32 v23, v14, s67
	v_mad_u64_u32 v[36:37], s[0:1], v14, s66, 0
	v_add3_u32 v8, v37, v23, v8
	v_sub_co_u32_e32 v6, vcc, v6, v36
	v_subb_co_u32_e32 v8, vcc, v30, v8, vcc
	v_add_co_u32_e32 v6, vcc, v0, v6
	v_addc_co_u32_e32 v8, vcc, v1, v8, vcc
	v_mul_lo_u32 v8, v8, s38
	v_mul_lo_u32 v23, v6, s39
	v_mad_u64_u32 v[30:31], s[0:1], v6, s38, 0
	v_add3_u32 v31, v31, v23, v8
	v_mul_lo_u32 v6, v15, s36
	v_mul_lo_u32 v8, v14, s37
	v_mad_u64_u32 v[14:15], s[0:1], v14, s36, 0
	v_add3_u32 v15, v15, v8, v6
	v_lshlrev_b64 v[14:15], 2, v[14:15]
	;; [unrolled: 22-line block ×3, first 2 shown]
	v_add_co_u32_e32 v4, vcc, s40, v12
	v_addc_co_u32_e32 v6, vcc, v10, v13, vcc
	v_lshlrev_b64 v[12:13], 2, v[30:31]
	v_add_co_u32_e32 v12, vcc, v4, v12
	v_bfi_b32 v4, s93, v22, v34
	v_addc_co_u32_e32 v13, vcc, v6, v13, vcc
	v_mul_f32_e32 v6, v35, v4
	v_mul_f32_e32 v8, v11, v35
	v_fma_f32 v4, -v4, v4, 1.0
	s_waitcnt vmcnt(0)
	v_fmac_f32_e32 v3, v8, v4
	v_mul_f32_e32 v4, v9, v3
	v_sub_f32_e32 v22, 1.0, v5
	v_mul_f32_e32 v4, v22, v4
	v_mul_f32_e32 v8, v33, v3
	;; [unrolled: 1-line block ×4, first 2 shown]
	v_sub_f32_e32 v5, 1.0, v7
	v_mul_f32_e32 v5, v5, v8
	v_sub_f32_e32 v8, 1.0, v11
	v_mul_f32_e32 v3, v7, v3
	v_mul_f32_e32 v5, v7, v5
	v_fma_f32 v7, -v9, v9, 1.0
	v_mul_f32_e32 v6, v8, v6
	v_mul_f32_e32 v7, v7, v10
	;; [unrolled: 1-line block ×3, first 2 shown]
	global_store_dword v[12:13], v4, off
	global_store_dword v[14:15], v5, off
	;; [unrolled: 1-line block ×4, first 2 shown]
	v_mov_b32_e32 v4, s76
	v_add_co_u32_e32 v0, vcc, s33, v0
	v_addc_co_u32_e32 v1, vcc, v1, v4, vcc
	v_cmp_le_i64_e32 vcc, s[10:11], v[0:1]
	s_or_b64 s[68:69], vcc, s[68:69]
	global_store_dword v[20:21], v3, off
	s_andn2_b64 exec, exec, s[68:69]
	s_cbranch_execz .LBB23_67
.LBB23_3:                               ; =>This Inner Loop Header: Depth=1
	v_or_b32_e32 v3, s9, v1
	v_cmp_ne_u64_e32 vcc, 0, v[2:3]
                                        ; implicit-def: $vgpr8_vgpr9
	s_and_saveexec_b64 s[0:1], vcc
	s_xor_b64 s[70:71], exec, s[0:1]
	s_cbranch_execz .LBB23_5
; %bb.4:                                ;   in Loop: Header=BB23_3 Depth=1
	s_ashr_i32 s72, s9, 31
	s_add_u32 s0, s8, s72
	s_mov_b32 s73, s72
	s_addc_u32 s1, s9, s72
	s_xor_b64 s[74:75], s[0:1], s[72:73]
	v_cvt_f32_u32_e32 v3, s74
	v_cvt_f32_u32_e32 v4, s75
	s_sub_u32 s0, 0, s74
	s_subb_u32 s1, 0, s75
	v_mac_f32_e32 v3, 0x4f800000, v4
	v_rcp_f32_e32 v3, v3
	v_mul_f32_e32 v3, 0x5f7ffffc, v3
	v_mul_f32_e32 v4, 0x2f800000, v3
	v_trunc_f32_e32 v4, v4
	v_mac_f32_e32 v3, 0xcf800000, v4
	v_cvt_u32_f32_e32 v4, v4
	v_cvt_u32_f32_e32 v3, v3
	v_mul_lo_u32 v5, s0, v4
	v_mul_hi_u32 v7, s0, v3
	v_mul_lo_u32 v6, s1, v3
	v_add_u32_e32 v5, v7, v5
	v_mul_lo_u32 v8, s0, v3
	v_add_u32_e32 v5, v5, v6
	v_mul_lo_u32 v7, v3, v5
	v_mul_hi_u32 v9, v3, v8
	v_mul_hi_u32 v6, v3, v5
	v_add_co_u32_e32 v7, vcc, v9, v7
	v_addc_co_u32_e32 v6, vcc, 0, v6, vcc
	v_mul_hi_u32 v10, v4, v8
	v_mul_lo_u32 v8, v4, v8
	v_add_co_u32_e32 v7, vcc, v7, v8
	v_mul_hi_u32 v9, v4, v5
	v_addc_co_u32_e32 v6, vcc, v6, v10, vcc
	v_addc_co_u32_e32 v7, vcc, 0, v9, vcc
	v_mul_lo_u32 v5, v4, v5
	v_add_co_u32_e32 v5, vcc, v6, v5
	v_addc_co_u32_e32 v6, vcc, 0, v7, vcc
	v_add_co_u32_e32 v3, vcc, v3, v5
	v_addc_co_u32_e32 v4, vcc, v4, v6, vcc
	v_mul_lo_u32 v5, s0, v4
	v_mul_hi_u32 v6, s0, v3
	v_add_u32_e32 v5, v6, v5
	v_mul_lo_u32 v6, s1, v3
	v_add_u32_e32 v5, v5, v6
	v_mul_lo_u32 v7, s0, v3
	v_mul_hi_u32 v8, v4, v7
	v_mul_lo_u32 v9, v4, v7
	v_mul_lo_u32 v11, v3, v5
	v_mul_hi_u32 v7, v3, v7
	v_mul_hi_u32 v10, v3, v5
	v_add_co_u32_e32 v7, vcc, v7, v11
	v_addc_co_u32_e32 v10, vcc, 0, v10, vcc
	v_add_co_u32_e32 v7, vcc, v7, v9
	v_mul_hi_u32 v6, v4, v5
	v_addc_co_u32_e32 v7, vcc, v10, v8, vcc
	v_addc_co_u32_e32 v6, vcc, 0, v6, vcc
	v_mul_lo_u32 v5, v4, v5
	v_add_co_u32_e32 v5, vcc, v7, v5
	v_addc_co_u32_e32 v6, vcc, 0, v6, vcc
	v_add_co_u32_e32 v3, vcc, v3, v5
	v_addc_co_u32_e32 v6, vcc, v4, v6, vcc
	v_ashrrev_i32_e32 v8, 31, v1
	v_add_co_u32_e32 v4, vcc, v0, v8
	v_addc_co_u32_e32 v5, vcc, v1, v8, vcc
	v_xor_b32_e32 v10, v4, v8
	v_xor_b32_e32 v9, v5, v8
	v_mad_u64_u32 v[4:5], s[0:1], v10, v6, 0
	v_mul_hi_u32 v7, v10, v3
	v_add_co_u32_e32 v11, vcc, v7, v4
	v_addc_co_u32_e32 v12, vcc, 0, v5, vcc
	v_mad_u64_u32 v[4:5], s[0:1], v9, v6, 0
	v_mad_u64_u32 v[6:7], s[0:1], v9, v3, 0
	v_add_co_u32_e32 v3, vcc, v11, v6
	v_addc_co_u32_e32 v3, vcc, v12, v7, vcc
	v_addc_co_u32_e32 v5, vcc, 0, v5, vcc
	v_add_co_u32_e32 v3, vcc, v3, v4
	v_addc_co_u32_e32 v6, vcc, 0, v5, vcc
	v_mul_lo_u32 v7, s75, v3
	v_mul_lo_u32 v11, s74, v6
	v_mad_u64_u32 v[4:5], s[0:1], s74, v3, 0
	v_add3_u32 v5, v5, v11, v7
	v_sub_u32_e32 v7, v9, v5
	v_mov_b32_e32 v11, s75
	v_sub_co_u32_e32 v4, vcc, v10, v4
	v_subb_co_u32_e64 v7, s[0:1], v7, v11, vcc
	v_subrev_co_u32_e64 v10, s[0:1], s74, v4
	v_subbrev_co_u32_e64 v7, s[0:1], 0, v7, s[0:1]
	v_cmp_le_u32_e64 s[0:1], s75, v7
	v_cndmask_b32_e64 v11, 0, -1, s[0:1]
	v_cmp_le_u32_e64 s[0:1], s74, v10
	v_cndmask_b32_e64 v10, 0, -1, s[0:1]
	v_cmp_eq_u32_e64 s[0:1], s75, v7
	v_cndmask_b32_e64 v7, v11, v10, s[0:1]
	v_add_co_u32_e64 v10, s[0:1], 2, v3
	v_subb_co_u32_e32 v5, vcc, v9, v5, vcc
	v_addc_co_u32_e64 v11, s[0:1], 0, v6, s[0:1]
	v_cmp_le_u32_e32 vcc, s75, v5
	v_add_co_u32_e64 v12, s[0:1], 1, v3
	v_cndmask_b32_e64 v9, 0, -1, vcc
	v_cmp_le_u32_e32 vcc, s74, v4
	v_addc_co_u32_e64 v13, s[0:1], 0, v6, s[0:1]
	v_cndmask_b32_e64 v4, 0, -1, vcc
	v_cmp_eq_u32_e32 vcc, s75, v5
	v_cmp_ne_u32_e64 s[0:1], 0, v7
	v_cndmask_b32_e32 v4, v9, v4, vcc
	v_cmp_ne_u32_e32 vcc, 0, v4
	v_cndmask_b32_e64 v5, v12, v10, s[0:1]
	v_cndmask_b32_e64 v7, v13, v11, s[0:1]
	v_cndmask_b32_e32 v3, v3, v5, vcc
	v_xor_b32_e32 v5, s72, v8
	v_cndmask_b32_e32 v4, v6, v7, vcc
	v_xor_b32_e32 v3, v3, v5
	v_xor_b32_e32 v4, v4, v5
	v_sub_co_u32_e32 v8, vcc, v3, v5
	v_subb_co_u32_e32 v9, vcc, v4, v5, vcc
.LBB23_5:                               ;   in Loop: Header=BB23_3 Depth=1
	s_andn2_saveexec_b64 s[0:1], s[70:71]
	s_cbranch_execz .LBB23_7
; %bb.6:                                ;   in Loop: Header=BB23_3 Depth=1
	s_sub_i32 s70, 0, s8
	v_mul_lo_u32 v3, s70, v27
	v_mul_hi_u32 v3, v27, v3
	v_add_u32_e32 v3, v27, v3
	v_mul_hi_u32 v3, v0, v3
	v_mul_lo_u32 v4, v3, s8
	v_sub_u32_e32 v4, v0, v4
	v_subrev_u32_e32 v5, s8, v4
	v_cmp_le_u32_e32 vcc, s8, v4
	v_cndmask_b32_e32 v4, v4, v5, vcc
	v_add_u32_e32 v5, 1, v3
	v_cndmask_b32_e32 v3, v3, v5, vcc
	v_add_u32_e32 v5, 1, v3
	v_cmp_le_u32_e32 vcc, s8, v4
	v_cndmask_b32_e32 v8, v3, v5, vcc
	v_mov_b32_e32 v9, v2
.LBB23_7:                               ;   in Loop: Header=BB23_3 Depth=1
	s_or_b64 exec, exec, s[0:1]
	v_mul_lo_u32 v10, s77, v8
	v_mul_lo_u32 v11, s78, v9
	v_mad_u64_u32 v[14:15], s[0:1], s78, v8, v[0:1]
	v_add3_u32 v15, v10, v15, v11
	v_or_b32_e32 v3, s35, v15
	v_cmp_ne_u64_e32 vcc, 0, v[2:3]
	v_ashrrev_i32_e32 v22, 31, v15
                                        ; implicit-def: $vgpr6_vgpr7
	s_and_saveexec_b64 s[0:1], vcc
	s_xor_b64 s[70:71], exec, s[0:1]
	s_cbranch_execz .LBB23_9
; %bb.8:                                ;   in Loop: Header=BB23_3 Depth=1
	s_ashr_i32 s72, s35, 31
	s_add_u32 s0, s34, s72
	s_mov_b32 s73, s72
	s_addc_u32 s1, s35, s72
	s_xor_b64 s[74:75], s[0:1], s[72:73]
	v_cvt_f32_u32_e32 v3, s74
	v_cvt_f32_u32_e32 v4, s75
	s_sub_u32 s0, 0, s74
	s_subb_u32 s1, 0, s75
	v_mac_f32_e32 v3, 0x4f800000, v4
	v_rcp_f32_e32 v3, v3
	v_mul_f32_e32 v3, 0x5f7ffffc, v3
	v_mul_f32_e32 v4, 0x2f800000, v3
	v_trunc_f32_e32 v4, v4
	v_mac_f32_e32 v3, 0xcf800000, v4
	v_cvt_u32_f32_e32 v4, v4
	v_cvt_u32_f32_e32 v3, v3
	v_mul_lo_u32 v5, s0, v4
	v_mul_hi_u32 v7, s0, v3
	v_mul_lo_u32 v6, s1, v3
	v_add_u32_e32 v5, v7, v5
	v_mul_lo_u32 v12, s0, v3
	v_add_u32_e32 v5, v5, v6
	v_mul_lo_u32 v7, v3, v5
	v_mul_hi_u32 v13, v3, v12
	v_mul_hi_u32 v6, v3, v5
	v_add_co_u32_e32 v7, vcc, v13, v7
	v_addc_co_u32_e32 v6, vcc, 0, v6, vcc
	v_mul_hi_u32 v16, v4, v12
	v_mul_lo_u32 v12, v4, v12
	v_add_co_u32_e32 v7, vcc, v7, v12
	v_mul_hi_u32 v13, v4, v5
	v_addc_co_u32_e32 v6, vcc, v6, v16, vcc
	v_addc_co_u32_e32 v7, vcc, 0, v13, vcc
	v_mul_lo_u32 v5, v4, v5
	v_add_co_u32_e32 v5, vcc, v6, v5
	v_addc_co_u32_e32 v6, vcc, 0, v7, vcc
	v_add_co_u32_e32 v3, vcc, v3, v5
	v_addc_co_u32_e32 v4, vcc, v4, v6, vcc
	v_mul_lo_u32 v5, s0, v4
	v_mul_hi_u32 v6, s0, v3
	v_add_u32_e32 v5, v6, v5
	v_mul_lo_u32 v6, s1, v3
	v_add_u32_e32 v5, v5, v6
	v_mul_lo_u32 v7, s0, v3
	v_mul_hi_u32 v12, v4, v7
	v_mul_lo_u32 v13, v4, v7
	v_mul_lo_u32 v17, v3, v5
	v_mul_hi_u32 v7, v3, v7
	v_mul_hi_u32 v16, v3, v5
	v_add_co_u32_e32 v7, vcc, v7, v17
	v_addc_co_u32_e32 v16, vcc, 0, v16, vcc
	v_add_co_u32_e32 v7, vcc, v7, v13
	v_mul_hi_u32 v6, v4, v5
	v_addc_co_u32_e32 v7, vcc, v16, v12, vcc
	v_addc_co_u32_e32 v6, vcc, 0, v6, vcc
	v_mul_lo_u32 v5, v4, v5
	v_add_co_u32_e32 v5, vcc, v7, v5
	v_addc_co_u32_e32 v6, vcc, 0, v6, vcc
	v_add_co_u32_e32 v3, vcc, v3, v5
	v_addc_co_u32_e32 v6, vcc, v4, v6, vcc
	;; [unrolled: 2-line block ×3, first 2 shown]
	v_xor_b32_e32 v13, v4, v22
	v_xor_b32_e32 v12, v5, v22
	v_mad_u64_u32 v[4:5], s[0:1], v13, v6, 0
	v_mul_hi_u32 v7, v13, v3
	v_add_co_u32_e32 v16, vcc, v7, v4
	v_addc_co_u32_e32 v17, vcc, 0, v5, vcc
	v_mad_u64_u32 v[4:5], s[0:1], v12, v6, 0
	v_mad_u64_u32 v[6:7], s[0:1], v12, v3, 0
	v_add_co_u32_e32 v3, vcc, v16, v6
	v_addc_co_u32_e32 v3, vcc, v17, v7, vcc
	v_addc_co_u32_e32 v5, vcc, 0, v5, vcc
	v_add_co_u32_e32 v3, vcc, v3, v4
	v_addc_co_u32_e32 v6, vcc, 0, v5, vcc
	v_mul_lo_u32 v7, s75, v3
	v_mul_lo_u32 v16, s74, v6
	v_mad_u64_u32 v[4:5], s[0:1], s74, v3, 0
	v_add3_u32 v5, v5, v16, v7
	v_sub_u32_e32 v7, v12, v5
	v_mov_b32_e32 v16, s75
	v_sub_co_u32_e32 v4, vcc, v13, v4
	v_subb_co_u32_e64 v7, s[0:1], v7, v16, vcc
	v_subrev_co_u32_e64 v13, s[0:1], s74, v4
	v_subbrev_co_u32_e64 v7, s[0:1], 0, v7, s[0:1]
	v_cmp_le_u32_e64 s[0:1], s75, v7
	v_cndmask_b32_e64 v16, 0, -1, s[0:1]
	v_cmp_le_u32_e64 s[0:1], s74, v13
	v_cndmask_b32_e64 v13, 0, -1, s[0:1]
	v_cmp_eq_u32_e64 s[0:1], s75, v7
	v_cndmask_b32_e64 v7, v16, v13, s[0:1]
	v_add_co_u32_e64 v13, s[0:1], 2, v3
	v_subb_co_u32_e32 v5, vcc, v12, v5, vcc
	v_addc_co_u32_e64 v16, s[0:1], 0, v6, s[0:1]
	v_cmp_le_u32_e32 vcc, s75, v5
	v_add_co_u32_e64 v17, s[0:1], 1, v3
	v_cndmask_b32_e64 v12, 0, -1, vcc
	v_cmp_le_u32_e32 vcc, s74, v4
	v_addc_co_u32_e64 v18, s[0:1], 0, v6, s[0:1]
	v_cndmask_b32_e64 v4, 0, -1, vcc
	v_cmp_eq_u32_e32 vcc, s75, v5
	v_cmp_ne_u32_e64 s[0:1], 0, v7
	v_cndmask_b32_e32 v4, v12, v4, vcc
	v_cmp_ne_u32_e32 vcc, 0, v4
	v_cndmask_b32_e64 v5, v17, v13, s[0:1]
	v_cndmask_b32_e64 v7, v18, v16, s[0:1]
	v_cndmask_b32_e32 v3, v3, v5, vcc
	v_xor_b32_e32 v5, s72, v22
	v_cndmask_b32_e32 v4, v6, v7, vcc
	v_xor_b32_e32 v3, v3, v5
	v_xor_b32_e32 v4, v4, v5
	v_sub_co_u32_e32 v6, vcc, v3, v5
	v_subb_co_u32_e32 v7, vcc, v4, v5, vcc
.LBB23_9:                               ;   in Loop: Header=BB23_3 Depth=1
	s_or_saveexec_b64 s[0:1], s[70:71]
	v_cvt_f32_u32_e32 v32, s34
	s_xor_b64 exec, exec, s[0:1]
	s_cbranch_execz .LBB23_11
; %bb.10:                               ;   in Loop: Header=BB23_3 Depth=1
	v_rcp_iflag_f32_e32 v3, v32
	s_sub_i32 s70, 0, s34
	v_mov_b32_e32 v7, v2
	v_mul_f32_e32 v3, 0x4f7ffffe, v3
	v_cvt_u32_f32_e32 v3, v3
	v_mul_lo_u32 v4, s70, v3
	v_mul_hi_u32 v4, v3, v4
	v_add_u32_e32 v3, v3, v4
	v_mul_hi_u32 v3, v14, v3
	v_mul_lo_u32 v4, v3, s34
	v_sub_u32_e32 v4, v14, v4
	v_add_u32_e32 v5, 1, v3
	v_subrev_u32_e32 v6, s34, v4
	v_cmp_le_u32_e32 vcc, s34, v4
	v_cndmask_b32_e32 v4, v4, v6, vcc
	v_cndmask_b32_e32 v3, v3, v5, vcc
	v_add_u32_e32 v5, 1, v3
	v_cmp_le_u32_e32 vcc, s34, v4
	v_cndmask_b32_e32 v6, v3, v5, vcc
.LBB23_11:                              ;   in Loop: Header=BB23_3 Depth=1
	s_or_b64 exec, exec, s[0:1]
	v_mad_u64_u32 v[4:5], s[0:1], s78, v8, 0
	v_add3_u32 v29, v5, v11, v10
	v_mul_lo_u32 v3, v7, s34
	v_mul_lo_u32 v5, v6, s35
	v_mad_u64_u32 v[10:11], s[0:1], v6, s34, 0
	v_add3_u32 v3, v11, v5, v3
	v_sub_co_u32_e32 v5, vcc, v4, v10
	v_subb_co_u32_e32 v3, vcc, v29, v3, vcc
	v_add_co_u32_e32 v5, vcc, v0, v5
	v_addc_co_u32_e32 v3, vcc, v1, v3, vcc
	v_mul_lo_u32 v3, v3, s14
	v_mul_lo_u32 v12, v5, s15
	v_mad_u64_u32 v[10:11], s[0:1], v5, s14, 0
	v_add3_u32 v11, v11, v12, v3
	v_mul_lo_u32 v3, v7, s12
	v_mul_lo_u32 v5, v6, s13
	v_mad_u64_u32 v[6:7], s[0:1], v6, s12, 0
	v_add3_u32 v7, v7, v5, v3
	v_lshlrev_b64 v[6:7], 2, v[6:7]
	v_mov_b32_e32 v3, s3
	v_add_co_u32_e32 v5, vcc, s2, v6
	v_addc_co_u32_e32 v3, vcc, v3, v7, vcc
	v_lshlrev_b64 v[6:7], 2, v[10:11]
	v_add_co_u32_e32 v6, vcc, v5, v6
	v_addc_co_u32_e32 v7, vcc, v3, v7, vcc
	global_load_dword v5, v[6:7], off
	v_lshl_add_u32 v9, v9, 1, v9
	v_mad_u64_u32 v[6:7], s[0:1], v8, 3, 1
	v_add_u32_e32 v3, v9, v7
	v_mul_lo_u32 v12, s9, v6
	v_mul_lo_u32 v13, s8, v3
	v_mad_u64_u32 v[16:17], s[0:1], s8, v6, v[0:1]
	v_add3_u32 v17, v12, v17, v13
	v_or_b32_e32 v3, s35, v17
	v_cmp_ne_u64_e32 vcc, 0, v[2:3]
	v_ashrrev_i32_e32 v23, 31, v17
                                        ; implicit-def: $vgpr10_vgpr11
	s_and_saveexec_b64 s[0:1], vcc
	s_xor_b64 s[70:71], exec, s[0:1]
	s_cbranch_execz .LBB23_13
; %bb.12:                               ;   in Loop: Header=BB23_3 Depth=1
	s_ashr_i32 s72, s35, 31
	s_add_u32 s0, s34, s72
	s_mov_b32 s73, s72
	s_addc_u32 s1, s35, s72
	s_xor_b64 s[74:75], s[0:1], s[72:73]
	v_cvt_f32_u32_e32 v3, s74
	v_cvt_f32_u32_e32 v7, s75
	s_sub_u32 s0, 0, s74
	s_subb_u32 s1, 0, s75
	v_mac_f32_e32 v3, 0x4f800000, v7
	v_rcp_f32_e32 v3, v3
	v_mul_f32_e32 v3, 0x5f7ffffc, v3
	v_mul_f32_e32 v7, 0x2f800000, v3
	v_trunc_f32_e32 v7, v7
	v_mac_f32_e32 v3, 0xcf800000, v7
	v_cvt_u32_f32_e32 v7, v7
	v_cvt_u32_f32_e32 v3, v3
	v_mul_lo_u32 v10, s0, v7
	v_mul_hi_u32 v18, s0, v3
	v_mul_lo_u32 v11, s1, v3
	v_add_u32_e32 v10, v18, v10
	v_mul_lo_u32 v19, s0, v3
	v_add_u32_e32 v10, v10, v11
	v_mul_lo_u32 v18, v3, v10
	v_mul_hi_u32 v20, v3, v19
	v_mul_hi_u32 v11, v3, v10
	v_add_co_u32_e32 v18, vcc, v20, v18
	v_addc_co_u32_e32 v11, vcc, 0, v11, vcc
	v_mul_hi_u32 v21, v7, v19
	v_mul_lo_u32 v19, v7, v19
	v_add_co_u32_e32 v18, vcc, v18, v19
	v_mul_hi_u32 v20, v7, v10
	v_addc_co_u32_e32 v11, vcc, v11, v21, vcc
	v_addc_co_u32_e32 v18, vcc, 0, v20, vcc
	v_mul_lo_u32 v10, v7, v10
	v_add_co_u32_e32 v10, vcc, v11, v10
	v_addc_co_u32_e32 v11, vcc, 0, v18, vcc
	v_add_co_u32_e32 v3, vcc, v3, v10
	v_addc_co_u32_e32 v7, vcc, v7, v11, vcc
	v_mul_lo_u32 v10, s0, v7
	v_mul_hi_u32 v11, s0, v3
	v_add_u32_e32 v10, v11, v10
	v_mul_lo_u32 v11, s1, v3
	v_add_u32_e32 v10, v10, v11
	v_mul_lo_u32 v18, s0, v3
	v_mul_hi_u32 v19, v7, v18
	v_mul_lo_u32 v20, v7, v18
	v_mul_lo_u32 v30, v3, v10
	v_mul_hi_u32 v18, v3, v18
	v_mul_hi_u32 v21, v3, v10
	v_add_co_u32_e32 v18, vcc, v18, v30
	v_addc_co_u32_e32 v21, vcc, 0, v21, vcc
	v_add_co_u32_e32 v18, vcc, v18, v20
	v_mul_hi_u32 v11, v7, v10
	v_addc_co_u32_e32 v18, vcc, v21, v19, vcc
	v_addc_co_u32_e32 v11, vcc, 0, v11, vcc
	v_mul_lo_u32 v10, v7, v10
	v_add_co_u32_e32 v10, vcc, v18, v10
	v_addc_co_u32_e32 v11, vcc, 0, v11, vcc
	v_add_co_u32_e32 v3, vcc, v3, v10
	v_addc_co_u32_e32 v7, vcc, v7, v11, vcc
	;; [unrolled: 2-line block ×3, first 2 shown]
	v_xor_b32_e32 v21, v10, v23
	v_xor_b32_e32 v20, v11, v23
	v_mad_u64_u32 v[10:11], s[0:1], v21, v7, 0
	v_mul_hi_u32 v18, v21, v3
	v_add_co_u32_e32 v30, vcc, v18, v10
	v_addc_co_u32_e32 v31, vcc, 0, v11, vcc
	v_mad_u64_u32 v[18:19], s[0:1], v20, v3, 0
	v_add_co_u32_e32 v3, vcc, v30, v18
	v_mad_u64_u32 v[10:11], s[0:1], v20, v7, 0
	v_addc_co_u32_e32 v3, vcc, v31, v19, vcc
	v_addc_co_u32_e32 v7, vcc, 0, v11, vcc
	v_add_co_u32_e32 v3, vcc, v3, v10
	v_addc_co_u32_e32 v7, vcc, 0, v7, vcc
	v_mul_lo_u32 v18, s75, v3
	v_mul_lo_u32 v19, s74, v7
	v_mad_u64_u32 v[10:11], s[0:1], s74, v3, 0
	v_add3_u32 v11, v11, v19, v18
	v_sub_u32_e32 v18, v20, v11
	v_mov_b32_e32 v19, s75
	v_sub_co_u32_e32 v10, vcc, v21, v10
	v_subb_co_u32_e64 v18, s[0:1], v18, v19, vcc
	v_subrev_co_u32_e64 v19, s[0:1], s74, v10
	v_subbrev_co_u32_e64 v18, s[0:1], 0, v18, s[0:1]
	v_cmp_le_u32_e64 s[0:1], s75, v18
	v_cndmask_b32_e64 v21, 0, -1, s[0:1]
	v_cmp_le_u32_e64 s[0:1], s74, v19
	v_cndmask_b32_e64 v19, 0, -1, s[0:1]
	v_cmp_eq_u32_e64 s[0:1], s75, v18
	v_cndmask_b32_e64 v18, v21, v19, s[0:1]
	v_add_co_u32_e64 v19, s[0:1], 2, v3
	v_subb_co_u32_e32 v11, vcc, v20, v11, vcc
	v_addc_co_u32_e64 v21, s[0:1], 0, v7, s[0:1]
	v_cmp_le_u32_e32 vcc, s75, v11
	v_add_co_u32_e64 v30, s[0:1], 1, v3
	v_cndmask_b32_e64 v20, 0, -1, vcc
	v_cmp_le_u32_e32 vcc, s74, v10
	v_addc_co_u32_e64 v31, s[0:1], 0, v7, s[0:1]
	v_cndmask_b32_e64 v10, 0, -1, vcc
	v_cmp_eq_u32_e32 vcc, s75, v11
	v_cmp_ne_u32_e64 s[0:1], 0, v18
	v_cndmask_b32_e32 v10, v20, v10, vcc
	v_cmp_ne_u32_e32 vcc, 0, v10
	v_cndmask_b32_e64 v10, v30, v19, s[0:1]
	v_cndmask_b32_e64 v18, v31, v21, s[0:1]
	v_cndmask_b32_e32 v3, v3, v10, vcc
	v_xor_b32_e32 v11, s72, v23
	v_cndmask_b32_e32 v7, v7, v18, vcc
	v_xor_b32_e32 v3, v3, v11
	v_xor_b32_e32 v7, v7, v11
	v_sub_co_u32_e32 v10, vcc, v3, v11
	v_subb_co_u32_e32 v11, vcc, v7, v11, vcc
.LBB23_13:                              ;   in Loop: Header=BB23_3 Depth=1
	s_andn2_saveexec_b64 s[0:1], s[70:71]
	s_cbranch_execz .LBB23_15
; %bb.14:                               ;   in Loop: Header=BB23_3 Depth=1
	v_rcp_iflag_f32_e32 v3, v32
	s_sub_i32 s70, 0, s34
	v_mul_f32_e32 v3, 0x4f7ffffe, v3
	v_cvt_u32_f32_e32 v3, v3
	v_mul_lo_u32 v7, s70, v3
	v_mul_hi_u32 v7, v3, v7
	v_add_u32_e32 v3, v3, v7
	v_mul_hi_u32 v3, v16, v3
	v_mul_lo_u32 v7, v3, s34
	v_sub_u32_e32 v7, v16, v7
	v_add_u32_e32 v10, 1, v3
	v_subrev_u32_e32 v11, s34, v7
	v_cmp_le_u32_e32 vcc, s34, v7
	v_cndmask_b32_e32 v7, v7, v11, vcc
	v_cndmask_b32_e32 v3, v3, v10, vcc
	v_add_u32_e32 v10, 1, v3
	v_cmp_le_u32_e32 vcc, s34, v7
	v_cndmask_b32_e32 v10, v3, v10, vcc
	v_mov_b32_e32 v11, v2
.LBB23_15:                              ;   in Loop: Header=BB23_3 Depth=1
	s_or_b64 exec, exec, s[0:1]
	v_mad_u64_u32 v[6:7], s[0:1], s8, v6, 0
	v_add3_u32 v30, v7, v13, v12
	v_mul_lo_u32 v3, v11, s34
	v_mul_lo_u32 v7, v10, s35
	v_mad_u64_u32 v[12:13], s[0:1], v10, s34, 0
	v_add3_u32 v3, v13, v7, v3
	v_sub_co_u32_e32 v7, vcc, v6, v12
	v_subb_co_u32_e32 v3, vcc, v30, v3, vcc
	v_add_co_u32_e32 v7, vcc, v0, v7
	v_addc_co_u32_e32 v3, vcc, v1, v3, vcc
	v_mul_lo_u32 v3, v3, s14
	v_mul_lo_u32 v18, v7, s15
	v_mad_u64_u32 v[12:13], s[0:1], v7, s14, 0
	v_add3_u32 v13, v13, v18, v3
	v_mul_lo_u32 v3, v11, s12
	v_mul_lo_u32 v7, v10, s13
	v_mad_u64_u32 v[10:11], s[0:1], v10, s12, 0
	v_add3_u32 v11, v11, v7, v3
	v_lshlrev_b64 v[10:11], 2, v[10:11]
	v_mov_b32_e32 v3, s3
	v_add_co_u32_e32 v7, vcc, s2, v10
	v_addc_co_u32_e32 v3, vcc, v3, v11, vcc
	v_lshlrev_b64 v[10:11], 2, v[12:13]
	v_add_co_u32_e32 v10, vcc, v7, v10
	v_addc_co_u32_e32 v11, vcc, v3, v11, vcc
	global_load_dword v7, v[10:11], off
	v_mad_u64_u32 v[10:11], s[0:1], v8, 3, 0
	v_add_u32_e32 v11, v11, v9
	v_add_co_u32_e32 v8, vcc, 2, v10
	v_addc_co_u32_e32 v3, vcc, 0, v11, vcc
	v_mul_lo_u32 v20, s9, v8
	v_mul_lo_u32 v21, s8, v3
	v_mad_u64_u32 v[18:19], s[0:1], s8, v8, v[0:1]
	v_add3_u32 v19, v20, v19, v21
	v_or_b32_e32 v3, s35, v19
	v_cmp_ne_u64_e32 vcc, 0, v[2:3]
	v_ashrrev_i32_e32 v33, 31, v19
                                        ; implicit-def: $vgpr12_vgpr13
	s_and_saveexec_b64 s[0:1], vcc
	s_xor_b64 s[70:71], exec, s[0:1]
	s_cbranch_execz .LBB23_17
; %bb.16:                               ;   in Loop: Header=BB23_3 Depth=1
	s_ashr_i32 s72, s35, 31
	s_add_u32 s0, s34, s72
	s_mov_b32 s73, s72
	s_addc_u32 s1, s35, s72
	s_xor_b64 s[74:75], s[0:1], s[72:73]
	v_cvt_f32_u32_e32 v3, s74
	v_cvt_f32_u32_e32 v9, s75
	s_sub_u32 s0, 0, s74
	s_subb_u32 s1, 0, s75
	v_mac_f32_e32 v3, 0x4f800000, v9
	v_rcp_f32_e32 v3, v3
	v_mul_f32_e32 v3, 0x5f7ffffc, v3
	v_mul_f32_e32 v9, 0x2f800000, v3
	v_trunc_f32_e32 v9, v9
	v_mac_f32_e32 v3, 0xcf800000, v9
	v_cvt_u32_f32_e32 v9, v9
	v_cvt_u32_f32_e32 v3, v3
	v_mul_lo_u32 v12, s0, v9
	v_mul_hi_u32 v31, s0, v3
	v_mul_lo_u32 v13, s1, v3
	v_add_u32_e32 v12, v31, v12
	v_mul_lo_u32 v34, s0, v3
	v_add_u32_e32 v12, v12, v13
	v_mul_lo_u32 v31, v3, v12
	v_mul_hi_u32 v35, v3, v34
	v_mul_hi_u32 v13, v3, v12
	v_add_co_u32_e32 v31, vcc, v35, v31
	v_addc_co_u32_e32 v13, vcc, 0, v13, vcc
	v_mul_hi_u32 v36, v9, v34
	v_mul_lo_u32 v34, v9, v34
	v_add_co_u32_e32 v31, vcc, v31, v34
	v_mul_hi_u32 v35, v9, v12
	v_addc_co_u32_e32 v13, vcc, v13, v36, vcc
	v_addc_co_u32_e32 v31, vcc, 0, v35, vcc
	v_mul_lo_u32 v12, v9, v12
	v_add_co_u32_e32 v12, vcc, v13, v12
	v_addc_co_u32_e32 v13, vcc, 0, v31, vcc
	v_add_co_u32_e32 v3, vcc, v3, v12
	v_addc_co_u32_e32 v9, vcc, v9, v13, vcc
	v_mul_lo_u32 v12, s0, v9
	v_mul_hi_u32 v13, s0, v3
	v_add_u32_e32 v12, v13, v12
	v_mul_lo_u32 v13, s1, v3
	v_add_u32_e32 v12, v12, v13
	v_mul_lo_u32 v31, s0, v3
	v_mul_hi_u32 v34, v9, v31
	v_mul_lo_u32 v35, v9, v31
	v_mul_lo_u32 v37, v3, v12
	v_mul_hi_u32 v31, v3, v31
	v_mul_hi_u32 v36, v3, v12
	v_add_co_u32_e32 v31, vcc, v31, v37
	v_addc_co_u32_e32 v36, vcc, 0, v36, vcc
	v_add_co_u32_e32 v31, vcc, v31, v35
	v_mul_hi_u32 v13, v9, v12
	v_addc_co_u32_e32 v31, vcc, v36, v34, vcc
	v_addc_co_u32_e32 v13, vcc, 0, v13, vcc
	v_mul_lo_u32 v12, v9, v12
	v_add_co_u32_e32 v12, vcc, v31, v12
	v_addc_co_u32_e32 v13, vcc, 0, v13, vcc
	v_add_co_u32_e32 v3, vcc, v3, v12
	v_addc_co_u32_e32 v9, vcc, v9, v13, vcc
	;; [unrolled: 2-line block ×3, first 2 shown]
	v_xor_b32_e32 v36, v12, v33
	v_xor_b32_e32 v31, v13, v33
	v_mad_u64_u32 v[12:13], s[0:1], v36, v9, 0
	v_mul_hi_u32 v34, v36, v3
	v_add_co_u32_e32 v37, vcc, v34, v12
	v_addc_co_u32_e32 v38, vcc, 0, v13, vcc
	v_mad_u64_u32 v[34:35], s[0:1], v31, v3, 0
	v_add_co_u32_e32 v3, vcc, v37, v34
	v_mad_u64_u32 v[12:13], s[0:1], v31, v9, 0
	v_addc_co_u32_e32 v3, vcc, v38, v35, vcc
	v_addc_co_u32_e32 v9, vcc, 0, v13, vcc
	v_add_co_u32_e32 v3, vcc, v3, v12
	v_addc_co_u32_e32 v9, vcc, 0, v9, vcc
	v_mul_lo_u32 v34, s75, v3
	v_mul_lo_u32 v35, s74, v9
	v_mad_u64_u32 v[12:13], s[0:1], s74, v3, 0
	v_add3_u32 v13, v13, v35, v34
	v_sub_u32_e32 v34, v31, v13
	v_mov_b32_e32 v35, s75
	v_sub_co_u32_e32 v12, vcc, v36, v12
	v_subb_co_u32_e64 v34, s[0:1], v34, v35, vcc
	v_subrev_co_u32_e64 v35, s[0:1], s74, v12
	v_subbrev_co_u32_e64 v34, s[0:1], 0, v34, s[0:1]
	v_cmp_le_u32_e64 s[0:1], s75, v34
	v_cndmask_b32_e64 v36, 0, -1, s[0:1]
	v_cmp_le_u32_e64 s[0:1], s74, v35
	v_cndmask_b32_e64 v35, 0, -1, s[0:1]
	v_cmp_eq_u32_e64 s[0:1], s75, v34
	v_cndmask_b32_e64 v34, v36, v35, s[0:1]
	v_add_co_u32_e64 v35, s[0:1], 2, v3
	v_subb_co_u32_e32 v13, vcc, v31, v13, vcc
	v_addc_co_u32_e64 v36, s[0:1], 0, v9, s[0:1]
	v_cmp_le_u32_e32 vcc, s75, v13
	v_add_co_u32_e64 v37, s[0:1], 1, v3
	v_cndmask_b32_e64 v31, 0, -1, vcc
	v_cmp_le_u32_e32 vcc, s74, v12
	v_addc_co_u32_e64 v38, s[0:1], 0, v9, s[0:1]
	v_cndmask_b32_e64 v12, 0, -1, vcc
	v_cmp_eq_u32_e32 vcc, s75, v13
	v_cmp_ne_u32_e64 s[0:1], 0, v34
	v_cndmask_b32_e32 v12, v31, v12, vcc
	v_cmp_ne_u32_e32 vcc, 0, v12
	v_cndmask_b32_e64 v12, v37, v35, s[0:1]
	v_cndmask_b32_e64 v34, v38, v36, s[0:1]
	v_cndmask_b32_e32 v3, v3, v12, vcc
	v_xor_b32_e32 v13, s72, v33
	v_cndmask_b32_e32 v9, v9, v34, vcc
	v_xor_b32_e32 v3, v3, v13
	v_xor_b32_e32 v9, v9, v13
	v_sub_co_u32_e32 v12, vcc, v3, v13
	v_subb_co_u32_e32 v13, vcc, v9, v13, vcc
.LBB23_17:                              ;   in Loop: Header=BB23_3 Depth=1
	s_andn2_saveexec_b64 s[0:1], s[70:71]
	s_cbranch_execz .LBB23_19
; %bb.18:                               ;   in Loop: Header=BB23_3 Depth=1
	v_rcp_iflag_f32_e32 v3, v32
	s_sub_i32 s70, 0, s34
	v_mul_f32_e32 v3, 0x4f7ffffe, v3
	v_cvt_u32_f32_e32 v3, v3
	v_mul_lo_u32 v9, s70, v3
	v_mul_hi_u32 v9, v3, v9
	v_add_u32_e32 v3, v3, v9
	v_mul_hi_u32 v3, v18, v3
	v_mul_lo_u32 v9, v3, s34
	v_sub_u32_e32 v9, v18, v9
	v_add_u32_e32 v12, 1, v3
	v_subrev_u32_e32 v13, s34, v9
	v_cmp_le_u32_e32 vcc, s34, v9
	v_cndmask_b32_e32 v9, v9, v13, vcc
	v_cndmask_b32_e32 v3, v3, v12, vcc
	v_add_u32_e32 v12, 1, v3
	v_cmp_le_u32_e32 vcc, s34, v9
	v_cndmask_b32_e32 v12, v3, v12, vcc
	v_mov_b32_e32 v13, v2
.LBB23_19:                              ;   in Loop: Header=BB23_3 Depth=1
	s_or_b64 exec, exec, s[0:1]
	v_mad_u64_u32 v[8:9], s[0:1], s8, v8, 0
	v_add3_u32 v31, v9, v21, v20
	v_mul_lo_u32 v3, v13, s34
	v_mul_lo_u32 v9, v12, s35
	v_mad_u64_u32 v[20:21], s[0:1], v12, s34, 0
	v_add3_u32 v3, v21, v9, v3
	v_sub_co_u32_e32 v9, vcc, v8, v20
	v_subb_co_u32_e32 v3, vcc, v31, v3, vcc
	v_add_co_u32_e32 v9, vcc, v0, v9
	v_addc_co_u32_e32 v3, vcc, v1, v3, vcc
	v_mul_lo_u32 v3, v3, s14
	v_mul_lo_u32 v34, v9, s15
	v_mad_u64_u32 v[20:21], s[0:1], v9, s14, 0
	v_add3_u32 v21, v21, v34, v3
	v_mul_lo_u32 v3, v13, s12
	v_mul_lo_u32 v9, v12, s13
	v_mad_u64_u32 v[12:13], s[0:1], v12, s12, 0
	v_add3_u32 v13, v13, v9, v3
	v_lshlrev_b64 v[12:13], 2, v[12:13]
	v_mov_b32_e32 v3, s3
	v_add_co_u32_e32 v9, vcc, s2, v12
	v_addc_co_u32_e32 v3, vcc, v3, v13, vcc
	v_lshlrev_b64 v[12:13], 2, v[20:21]
	v_add_co_u32_e32 v12, vcc, v9, v12
	v_addc_co_u32_e32 v13, vcc, v3, v13, vcc
	global_load_dword v9, v[12:13], off
	v_add_co_u32_e32 v10, vcc, 3, v10
	v_addc_co_u32_e32 v3, vcc, 0, v11, vcc
	v_mul_lo_u32 v35, s9, v10
	v_mul_lo_u32 v36, s8, v3
	v_mad_u64_u32 v[20:21], s[0:1], s8, v10, v[0:1]
	v_add3_u32 v21, v35, v21, v36
	v_or_b32_e32 v3, s35, v21
	v_cmp_ne_u64_e32 vcc, 0, v[2:3]
	v_ashrrev_i32_e32 v34, 31, v21
                                        ; implicit-def: $vgpr12_vgpr13
	s_and_saveexec_b64 s[0:1], vcc
	s_xor_b64 s[70:71], exec, s[0:1]
	s_cbranch_execz .LBB23_21
; %bb.20:                               ;   in Loop: Header=BB23_3 Depth=1
	s_ashr_i32 s72, s35, 31
	s_add_u32 s0, s34, s72
	s_mov_b32 s73, s72
	s_addc_u32 s1, s35, s72
	s_xor_b64 s[74:75], s[0:1], s[72:73]
	v_cvt_f32_u32_e32 v3, s74
	v_cvt_f32_u32_e32 v11, s75
	s_sub_u32 s0, 0, s74
	s_subb_u32 s1, 0, s75
	v_mac_f32_e32 v3, 0x4f800000, v11
	v_rcp_f32_e32 v3, v3
	v_mul_f32_e32 v3, 0x5f7ffffc, v3
	v_mul_f32_e32 v11, 0x2f800000, v3
	v_trunc_f32_e32 v11, v11
	v_mac_f32_e32 v3, 0xcf800000, v11
	v_cvt_u32_f32_e32 v11, v11
	v_cvt_u32_f32_e32 v3, v3
	v_mul_lo_u32 v12, s0, v11
	v_mul_hi_u32 v32, s0, v3
	v_mul_lo_u32 v13, s1, v3
	v_add_u32_e32 v12, v32, v12
	v_mul_lo_u32 v37, s0, v3
	v_add_u32_e32 v12, v12, v13
	v_mul_lo_u32 v32, v3, v12
	v_mul_hi_u32 v38, v3, v37
	v_mul_hi_u32 v13, v3, v12
	v_add_co_u32_e32 v32, vcc, v38, v32
	v_addc_co_u32_e32 v13, vcc, 0, v13, vcc
	v_mul_hi_u32 v39, v11, v37
	v_mul_lo_u32 v37, v11, v37
	v_add_co_u32_e32 v32, vcc, v32, v37
	v_mul_hi_u32 v38, v11, v12
	v_addc_co_u32_e32 v13, vcc, v13, v39, vcc
	v_addc_co_u32_e32 v32, vcc, 0, v38, vcc
	v_mul_lo_u32 v12, v11, v12
	v_add_co_u32_e32 v12, vcc, v13, v12
	v_addc_co_u32_e32 v13, vcc, 0, v32, vcc
	v_add_co_u32_e32 v3, vcc, v3, v12
	v_addc_co_u32_e32 v11, vcc, v11, v13, vcc
	v_mul_lo_u32 v12, s0, v11
	v_mul_hi_u32 v13, s0, v3
	v_add_u32_e32 v12, v13, v12
	v_mul_lo_u32 v13, s1, v3
	v_add_u32_e32 v12, v12, v13
	v_mul_lo_u32 v32, s0, v3
	v_mul_hi_u32 v37, v11, v32
	v_mul_lo_u32 v38, v11, v32
	v_mul_lo_u32 v40, v3, v12
	v_mul_hi_u32 v32, v3, v32
	v_mul_hi_u32 v39, v3, v12
	v_add_co_u32_e32 v32, vcc, v32, v40
	v_addc_co_u32_e32 v39, vcc, 0, v39, vcc
	v_add_co_u32_e32 v32, vcc, v32, v38
	v_mul_hi_u32 v13, v11, v12
	v_addc_co_u32_e32 v32, vcc, v39, v37, vcc
	v_addc_co_u32_e32 v13, vcc, 0, v13, vcc
	v_mul_lo_u32 v12, v11, v12
	v_add_co_u32_e32 v12, vcc, v32, v12
	v_addc_co_u32_e32 v13, vcc, 0, v13, vcc
	v_add_co_u32_e32 v3, vcc, v3, v12
	v_addc_co_u32_e32 v11, vcc, v11, v13, vcc
	;; [unrolled: 2-line block ×3, first 2 shown]
	v_xor_b32_e32 v37, v12, v34
	v_xor_b32_e32 v32, v13, v34
	v_mad_u64_u32 v[12:13], s[0:1], v37, v11, 0
	v_mul_hi_u32 v38, v37, v3
	v_add_co_u32_e32 v40, vcc, v38, v12
	v_addc_co_u32_e32 v41, vcc, 0, v13, vcc
	v_mad_u64_u32 v[38:39], s[0:1], v32, v3, 0
	v_add_co_u32_e32 v3, vcc, v40, v38
	v_mad_u64_u32 v[12:13], s[0:1], v32, v11, 0
	v_addc_co_u32_e32 v3, vcc, v41, v39, vcc
	v_addc_co_u32_e32 v11, vcc, 0, v13, vcc
	v_add_co_u32_e32 v3, vcc, v3, v12
	v_addc_co_u32_e32 v11, vcc, 0, v11, vcc
	v_mul_lo_u32 v38, s75, v3
	v_mul_lo_u32 v39, s74, v11
	v_mad_u64_u32 v[12:13], s[0:1], s74, v3, 0
	v_add3_u32 v13, v13, v39, v38
	v_sub_u32_e32 v38, v32, v13
	v_mov_b32_e32 v39, s75
	v_sub_co_u32_e32 v12, vcc, v37, v12
	v_subb_co_u32_e64 v37, s[0:1], v38, v39, vcc
	v_subrev_co_u32_e64 v38, s[0:1], s74, v12
	v_subbrev_co_u32_e64 v37, s[0:1], 0, v37, s[0:1]
	v_cmp_le_u32_e64 s[0:1], s75, v37
	v_cndmask_b32_e64 v39, 0, -1, s[0:1]
	v_cmp_le_u32_e64 s[0:1], s74, v38
	v_cndmask_b32_e64 v38, 0, -1, s[0:1]
	v_cmp_eq_u32_e64 s[0:1], s75, v37
	v_cndmask_b32_e64 v37, v39, v38, s[0:1]
	v_add_co_u32_e64 v38, s[0:1], 2, v3
	v_subb_co_u32_e32 v13, vcc, v32, v13, vcc
	v_addc_co_u32_e64 v39, s[0:1], 0, v11, s[0:1]
	v_cmp_le_u32_e32 vcc, s75, v13
	v_add_co_u32_e64 v40, s[0:1], 1, v3
	v_cndmask_b32_e64 v32, 0, -1, vcc
	v_cmp_le_u32_e32 vcc, s74, v12
	v_addc_co_u32_e64 v41, s[0:1], 0, v11, s[0:1]
	v_cndmask_b32_e64 v12, 0, -1, vcc
	v_cmp_eq_u32_e32 vcc, s75, v13
	v_cmp_ne_u32_e64 s[0:1], 0, v37
	v_cndmask_b32_e32 v12, v32, v12, vcc
	v_cmp_ne_u32_e32 vcc, 0, v12
	v_cndmask_b32_e64 v12, v40, v38, s[0:1]
	v_cndmask_b32_e64 v37, v41, v39, s[0:1]
	v_cndmask_b32_e32 v3, v3, v12, vcc
	v_xor_b32_e32 v13, s72, v34
	v_cndmask_b32_e32 v11, v11, v37, vcc
	v_xor_b32_e32 v3, v3, v13
	v_xor_b32_e32 v11, v11, v13
	v_sub_co_u32_e32 v12, vcc, v3, v13
	v_subb_co_u32_e32 v13, vcc, v11, v13, vcc
                                        ; implicit-def: $vgpr32
.LBB23_21:                              ;   in Loop: Header=BB23_3 Depth=1
	s_andn2_saveexec_b64 s[0:1], s[70:71]
	s_cbranch_execz .LBB23_23
; %bb.22:                               ;   in Loop: Header=BB23_3 Depth=1
	v_rcp_iflag_f32_e32 v3, v32
	s_sub_i32 s70, 0, s34
	v_mul_f32_e32 v3, 0x4f7ffffe, v3
	v_cvt_u32_f32_e32 v3, v3
	v_mul_lo_u32 v11, s70, v3
	v_mul_hi_u32 v11, v3, v11
	v_add_u32_e32 v3, v3, v11
	v_mul_hi_u32 v3, v20, v3
	v_mul_lo_u32 v11, v3, s34
	v_sub_u32_e32 v11, v20, v11
	v_add_u32_e32 v12, 1, v3
	v_subrev_u32_e32 v13, s34, v11
	v_cmp_le_u32_e32 vcc, s34, v11
	v_cndmask_b32_e32 v11, v11, v13, vcc
	v_cndmask_b32_e32 v3, v3, v12, vcc
	v_add_u32_e32 v12, 1, v3
	v_cmp_le_u32_e32 vcc, s34, v11
	v_cndmask_b32_e32 v12, v3, v12, vcc
	v_mov_b32_e32 v13, v2
.LBB23_23:                              ;   in Loop: Header=BB23_3 Depth=1
	s_or_b64 exec, exec, s[0:1]
	v_mad_u64_u32 v[10:11], s[0:1], s8, v10, 0
	v_add3_u32 v32, v11, v36, v35
	v_mul_lo_u32 v3, v13, s34
	v_mul_lo_u32 v11, v12, s35
	v_mad_u64_u32 v[36:37], s[0:1], v12, s34, 0
	v_add3_u32 v3, v37, v11, v3
	v_sub_co_u32_e32 v11, vcc, v10, v36
	v_subb_co_u32_e32 v3, vcc, v32, v3, vcc
	v_add_co_u32_e32 v11, vcc, v0, v11
	v_addc_co_u32_e32 v3, vcc, v1, v3, vcc
	v_mul_lo_u32 v3, v3, s14
	v_mul_lo_u32 v35, v11, s15
	v_mad_u64_u32 v[36:37], s[0:1], v11, s14, 0
	v_add3_u32 v37, v37, v35, v3
	v_mul_lo_u32 v3, v13, s12
	v_mul_lo_u32 v11, v12, s13
	v_mad_u64_u32 v[12:13], s[0:1], v12, s12, 0
	v_add3_u32 v13, v13, v11, v3
	v_lshlrev_b64 v[12:13], 2, v[12:13]
	v_mov_b32_e32 v3, s3
	v_add_co_u32_e32 v11, vcc, s2, v12
	v_addc_co_u32_e32 v3, vcc, v3, v13, vcc
	v_lshlrev_b64 v[12:13], 2, v[36:37]
	v_add_co_u32_e32 v12, vcc, v11, v12
	v_addc_co_u32_e32 v13, vcc, v3, v13, vcc
	global_load_dword v11, v[12:13], off
	s_waitcnt lgkmcnt(0)
	v_or_b32_e32 v3, s67, v15
	v_cmp_ne_u64_e32 vcc, 0, v[2:3]
                                        ; implicit-def: $vgpr12_vgpr13
	s_and_saveexec_b64 s[0:1], vcc
	s_xor_b64 s[70:71], exec, s[0:1]
	s_cbranch_execz .LBB23_25
; %bb.24:                               ;   in Loop: Header=BB23_3 Depth=1
	s_ashr_i32 s72, s67, 31
	s_add_u32 s0, s66, s72
	s_mov_b32 s73, s72
	s_addc_u32 s1, s67, s72
	s_xor_b64 s[74:75], s[0:1], s[72:73]
	v_cvt_f32_u32_e32 v3, s74
	v_cvt_f32_u32_e32 v12, s75
	s_sub_u32 s0, 0, s74
	s_subb_u32 s1, 0, s75
	v_mac_f32_e32 v3, 0x4f800000, v12
	v_rcp_f32_e32 v3, v3
	v_mul_f32_e32 v3, 0x5f7ffffc, v3
	v_mul_f32_e32 v12, 0x2f800000, v3
	v_trunc_f32_e32 v12, v12
	v_mac_f32_e32 v3, 0xcf800000, v12
	v_cvt_u32_f32_e32 v12, v12
	v_cvt_u32_f32_e32 v3, v3
	v_mul_lo_u32 v13, s0, v12
	v_mul_hi_u32 v36, s0, v3
	v_mul_lo_u32 v35, s1, v3
	v_add_u32_e32 v13, v36, v13
	v_mul_lo_u32 v37, s0, v3
	v_add_u32_e32 v13, v13, v35
	v_mul_lo_u32 v36, v3, v13
	v_mul_hi_u32 v38, v3, v37
	v_mul_hi_u32 v35, v3, v13
	v_add_co_u32_e32 v36, vcc, v38, v36
	v_addc_co_u32_e32 v35, vcc, 0, v35, vcc
	v_mul_hi_u32 v39, v12, v37
	v_mul_lo_u32 v37, v12, v37
	v_add_co_u32_e32 v36, vcc, v36, v37
	v_mul_hi_u32 v38, v12, v13
	v_addc_co_u32_e32 v35, vcc, v35, v39, vcc
	v_addc_co_u32_e32 v36, vcc, 0, v38, vcc
	v_mul_lo_u32 v13, v12, v13
	v_add_co_u32_e32 v13, vcc, v35, v13
	v_addc_co_u32_e32 v35, vcc, 0, v36, vcc
	v_add_co_u32_e32 v3, vcc, v3, v13
	v_addc_co_u32_e32 v12, vcc, v12, v35, vcc
	v_mul_lo_u32 v13, s0, v12
	v_mul_hi_u32 v35, s0, v3
	v_add_u32_e32 v13, v35, v13
	v_mul_lo_u32 v35, s1, v3
	v_add_u32_e32 v13, v13, v35
	v_mul_lo_u32 v36, s0, v3
	v_mul_hi_u32 v37, v12, v36
	v_mul_lo_u32 v38, v12, v36
	v_mul_lo_u32 v40, v3, v13
	v_mul_hi_u32 v36, v3, v36
	v_mul_hi_u32 v39, v3, v13
	v_add_co_u32_e32 v36, vcc, v36, v40
	v_addc_co_u32_e32 v39, vcc, 0, v39, vcc
	v_add_co_u32_e32 v36, vcc, v36, v38
	v_mul_hi_u32 v35, v12, v13
	v_addc_co_u32_e32 v36, vcc, v39, v37, vcc
	v_addc_co_u32_e32 v35, vcc, 0, v35, vcc
	v_mul_lo_u32 v13, v12, v13
	v_add_co_u32_e32 v13, vcc, v36, v13
	v_addc_co_u32_e32 v35, vcc, 0, v35, vcc
	v_add_co_u32_e32 v3, vcc, v3, v13
	v_addc_co_u32_e32 v35, vcc, v12, v35, vcc
	;; [unrolled: 2-line block ×3, first 2 shown]
	v_xor_b32_e32 v37, v12, v22
	v_xor_b32_e32 v36, v13, v22
	v_mad_u64_u32 v[12:13], s[0:1], v37, v35, 0
	v_mul_hi_u32 v14, v37, v3
	v_add_co_u32_e32 v38, vcc, v14, v12
	v_addc_co_u32_e32 v39, vcc, 0, v13, vcc
	v_mad_u64_u32 v[14:15], s[0:1], v36, v3, 0
	v_add_co_u32_e32 v3, vcc, v38, v14
	v_mad_u64_u32 v[12:13], s[0:1], v36, v35, 0
	v_addc_co_u32_e32 v3, vcc, v39, v15, vcc
	v_addc_co_u32_e32 v13, vcc, 0, v13, vcc
	v_add_co_u32_e32 v3, vcc, v3, v12
	v_addc_co_u32_e32 v14, vcc, 0, v13, vcc
	v_mul_lo_u32 v15, s75, v3
	v_mul_lo_u32 v35, s74, v14
	v_mad_u64_u32 v[12:13], s[0:1], s74, v3, 0
	v_add3_u32 v13, v13, v35, v15
	v_sub_u32_e32 v15, v36, v13
	v_mov_b32_e32 v35, s75
	v_sub_co_u32_e32 v12, vcc, v37, v12
	v_subb_co_u32_e64 v15, s[0:1], v15, v35, vcc
	v_subrev_co_u32_e64 v35, s[0:1], s74, v12
	v_subbrev_co_u32_e64 v15, s[0:1], 0, v15, s[0:1]
	v_cmp_le_u32_e64 s[0:1], s75, v15
	v_cndmask_b32_e64 v37, 0, -1, s[0:1]
	v_cmp_le_u32_e64 s[0:1], s74, v35
	v_cndmask_b32_e64 v35, 0, -1, s[0:1]
	v_cmp_eq_u32_e64 s[0:1], s75, v15
	v_cndmask_b32_e64 v15, v37, v35, s[0:1]
	v_add_co_u32_e64 v35, s[0:1], 2, v3
	v_subb_co_u32_e32 v13, vcc, v36, v13, vcc
	v_addc_co_u32_e64 v37, s[0:1], 0, v14, s[0:1]
	v_cmp_le_u32_e32 vcc, s75, v13
	v_add_co_u32_e64 v38, s[0:1], 1, v3
	v_cndmask_b32_e64 v36, 0, -1, vcc
	v_cmp_le_u32_e32 vcc, s74, v12
	v_addc_co_u32_e64 v39, s[0:1], 0, v14, s[0:1]
	v_cndmask_b32_e64 v12, 0, -1, vcc
	v_cmp_eq_u32_e32 vcc, s75, v13
	v_cmp_ne_u32_e64 s[0:1], 0, v15
	v_cndmask_b32_e32 v12, v36, v12, vcc
	v_cmp_ne_u32_e32 vcc, 0, v12
	v_cndmask_b32_e64 v13, v38, v35, s[0:1]
	v_cndmask_b32_e64 v15, v39, v37, s[0:1]
	v_cndmask_b32_e32 v3, v3, v13, vcc
	v_xor_b32_e32 v13, s72, v22
	v_cndmask_b32_e32 v12, v14, v15, vcc
	v_xor_b32_e32 v3, v3, v13
	v_xor_b32_e32 v14, v12, v13
	v_sub_co_u32_e32 v12, vcc, v3, v13
	v_subb_co_u32_e32 v13, vcc, v14, v13, vcc
                                        ; implicit-def: $vgpr14_vgpr15
.LBB23_25:                              ;   in Loop: Header=BB23_3 Depth=1
	s_or_saveexec_b64 s[0:1], s[70:71]
	v_cvt_f32_u32_e32 v22, s66
	s_xor_b64 exec, exec, s[0:1]
	s_cbranch_execz .LBB23_27
; %bb.26:                               ;   in Loop: Header=BB23_3 Depth=1
	v_rcp_iflag_f32_e32 v3, v22
	s_sub_i32 s70, 0, s66
	v_mul_f32_e32 v3, 0x4f7ffffe, v3
	v_cvt_u32_f32_e32 v3, v3
	v_mul_lo_u32 v12, s70, v3
	v_mul_hi_u32 v12, v3, v12
	v_add_u32_e32 v3, v3, v12
	v_mul_hi_u32 v3, v14, v3
	v_mul_lo_u32 v12, v3, s66
	v_sub_u32_e32 v12, v14, v12
	v_add_u32_e32 v13, 1, v3
	v_subrev_u32_e32 v14, s66, v12
	v_cmp_le_u32_e32 vcc, s66, v12
	v_cndmask_b32_e32 v12, v12, v14, vcc
	v_cndmask_b32_e32 v3, v3, v13, vcc
	v_add_u32_e32 v13, 1, v3
	v_cmp_le_u32_e32 vcc, s66, v12
	v_cndmask_b32_e32 v12, v3, v13, vcc
	v_mov_b32_e32 v13, v2
.LBB23_27:                              ;   in Loop: Header=BB23_3 Depth=1
	s_or_b64 exec, exec, s[0:1]
	v_or_b32_e32 v3, s67, v17
	v_cmp_ne_u64_e32 vcc, 0, v[2:3]
                                        ; implicit-def: $vgpr14_vgpr15
	s_and_saveexec_b64 s[0:1], vcc
	s_xor_b64 s[70:71], exec, s[0:1]
	s_cbranch_execz .LBB23_29
; %bb.28:                               ;   in Loop: Header=BB23_3 Depth=1
	s_ashr_i32 s72, s67, 31
	s_add_u32 s0, s66, s72
	s_mov_b32 s73, s72
	s_addc_u32 s1, s67, s72
	s_xor_b64 s[74:75], s[0:1], s[72:73]
	v_cvt_f32_u32_e32 v3, s74
	v_cvt_f32_u32_e32 v14, s75
	s_sub_u32 s0, 0, s74
	s_subb_u32 s1, 0, s75
	v_mac_f32_e32 v3, 0x4f800000, v14
	v_rcp_f32_e32 v3, v3
	v_mul_f32_e32 v3, 0x5f7ffffc, v3
	v_mul_f32_e32 v14, 0x2f800000, v3
	v_trunc_f32_e32 v14, v14
	v_mac_f32_e32 v3, 0xcf800000, v14
	v_cvt_u32_f32_e32 v14, v14
	v_cvt_u32_f32_e32 v3, v3
	v_mul_lo_u32 v15, s0, v14
	v_mul_hi_u32 v36, s0, v3
	v_mul_lo_u32 v35, s1, v3
	v_add_u32_e32 v15, v36, v15
	v_mul_lo_u32 v37, s0, v3
	v_add_u32_e32 v15, v15, v35
	v_mul_lo_u32 v36, v3, v15
	v_mul_hi_u32 v38, v3, v37
	v_mul_hi_u32 v35, v3, v15
	v_add_co_u32_e32 v36, vcc, v38, v36
	v_addc_co_u32_e32 v35, vcc, 0, v35, vcc
	v_mul_hi_u32 v39, v14, v37
	v_mul_lo_u32 v37, v14, v37
	v_add_co_u32_e32 v36, vcc, v36, v37
	v_mul_hi_u32 v38, v14, v15
	v_addc_co_u32_e32 v35, vcc, v35, v39, vcc
	v_addc_co_u32_e32 v36, vcc, 0, v38, vcc
	v_mul_lo_u32 v15, v14, v15
	v_add_co_u32_e32 v15, vcc, v35, v15
	v_addc_co_u32_e32 v35, vcc, 0, v36, vcc
	v_add_co_u32_e32 v3, vcc, v3, v15
	v_addc_co_u32_e32 v14, vcc, v14, v35, vcc
	v_mul_lo_u32 v15, s0, v14
	v_mul_hi_u32 v35, s0, v3
	v_add_u32_e32 v15, v35, v15
	v_mul_lo_u32 v35, s1, v3
	v_add_u32_e32 v15, v15, v35
	v_mul_lo_u32 v36, s0, v3
	v_mul_hi_u32 v37, v14, v36
	v_mul_lo_u32 v38, v14, v36
	v_mul_lo_u32 v40, v3, v15
	v_mul_hi_u32 v36, v3, v36
	v_mul_hi_u32 v39, v3, v15
	v_add_co_u32_e32 v36, vcc, v36, v40
	v_addc_co_u32_e32 v39, vcc, 0, v39, vcc
	v_add_co_u32_e32 v36, vcc, v36, v38
	v_mul_hi_u32 v35, v14, v15
	v_addc_co_u32_e32 v36, vcc, v39, v37, vcc
	v_addc_co_u32_e32 v35, vcc, 0, v35, vcc
	v_mul_lo_u32 v15, v14, v15
	v_add_co_u32_e32 v15, vcc, v36, v15
	v_addc_co_u32_e32 v35, vcc, 0, v35, vcc
	v_add_co_u32_e32 v3, vcc, v3, v15
	v_addc_co_u32_e32 v35, vcc, v14, v35, vcc
	;; [unrolled: 2-line block ×3, first 2 shown]
	v_xor_b32_e32 v37, v14, v23
	v_xor_b32_e32 v36, v15, v23
	v_mad_u64_u32 v[14:15], s[0:1], v37, v35, 0
	v_mul_hi_u32 v16, v37, v3
	v_add_co_u32_e32 v38, vcc, v16, v14
	v_addc_co_u32_e32 v39, vcc, 0, v15, vcc
	v_mad_u64_u32 v[16:17], s[0:1], v36, v3, 0
	v_add_co_u32_e32 v3, vcc, v38, v16
	v_mad_u64_u32 v[14:15], s[0:1], v36, v35, 0
	v_addc_co_u32_e32 v3, vcc, v39, v17, vcc
	v_addc_co_u32_e32 v15, vcc, 0, v15, vcc
	v_add_co_u32_e32 v3, vcc, v3, v14
	v_addc_co_u32_e32 v16, vcc, 0, v15, vcc
	v_mul_lo_u32 v17, s75, v3
	v_mul_lo_u32 v35, s74, v16
	v_mad_u64_u32 v[14:15], s[0:1], s74, v3, 0
	v_add3_u32 v15, v15, v35, v17
	v_sub_u32_e32 v17, v36, v15
	v_mov_b32_e32 v35, s75
	v_sub_co_u32_e32 v14, vcc, v37, v14
	v_subb_co_u32_e64 v17, s[0:1], v17, v35, vcc
	v_subrev_co_u32_e64 v35, s[0:1], s74, v14
	v_subbrev_co_u32_e64 v17, s[0:1], 0, v17, s[0:1]
	v_cmp_le_u32_e64 s[0:1], s75, v17
	v_cndmask_b32_e64 v37, 0, -1, s[0:1]
	v_cmp_le_u32_e64 s[0:1], s74, v35
	v_cndmask_b32_e64 v35, 0, -1, s[0:1]
	v_cmp_eq_u32_e64 s[0:1], s75, v17
	v_cndmask_b32_e64 v17, v37, v35, s[0:1]
	v_add_co_u32_e64 v35, s[0:1], 2, v3
	v_subb_co_u32_e32 v15, vcc, v36, v15, vcc
	v_addc_co_u32_e64 v37, s[0:1], 0, v16, s[0:1]
	v_cmp_le_u32_e32 vcc, s75, v15
	v_add_co_u32_e64 v38, s[0:1], 1, v3
	v_cndmask_b32_e64 v36, 0, -1, vcc
	v_cmp_le_u32_e32 vcc, s74, v14
	v_addc_co_u32_e64 v39, s[0:1], 0, v16, s[0:1]
	v_cndmask_b32_e64 v14, 0, -1, vcc
	v_cmp_eq_u32_e32 vcc, s75, v15
	v_cmp_ne_u32_e64 s[0:1], 0, v17
	v_cndmask_b32_e32 v14, v36, v14, vcc
	v_cmp_ne_u32_e32 vcc, 0, v14
	v_cndmask_b32_e64 v15, v38, v35, s[0:1]
	v_cndmask_b32_e64 v17, v39, v37, s[0:1]
	v_cndmask_b32_e32 v3, v3, v15, vcc
	v_xor_b32_e32 v15, s72, v23
	v_cndmask_b32_e32 v14, v16, v17, vcc
	v_xor_b32_e32 v3, v3, v15
	v_xor_b32_e32 v16, v14, v15
	v_sub_co_u32_e32 v14, vcc, v3, v15
	v_subb_co_u32_e32 v15, vcc, v16, v15, vcc
                                        ; implicit-def: $vgpr16_vgpr17
.LBB23_29:                              ;   in Loop: Header=BB23_3 Depth=1
	s_andn2_saveexec_b64 s[0:1], s[70:71]
	s_cbranch_execz .LBB23_31
; %bb.30:                               ;   in Loop: Header=BB23_3 Depth=1
	v_rcp_iflag_f32_e32 v3, v22
	s_sub_i32 s70, 0, s66
	v_mul_f32_e32 v3, 0x4f7ffffe, v3
	v_cvt_u32_f32_e32 v3, v3
	v_mul_lo_u32 v14, s70, v3
	v_mul_hi_u32 v14, v3, v14
	v_add_u32_e32 v3, v3, v14
	v_mul_hi_u32 v3, v16, v3
	v_mul_lo_u32 v14, v3, s66
	v_sub_u32_e32 v14, v16, v14
	v_add_u32_e32 v15, 1, v3
	v_subrev_u32_e32 v16, s66, v14
	v_cmp_le_u32_e32 vcc, s66, v14
	v_cndmask_b32_e32 v14, v14, v16, vcc
	v_cndmask_b32_e32 v3, v3, v15, vcc
	v_add_u32_e32 v15, 1, v3
	v_cmp_le_u32_e32 vcc, s66, v14
	v_cndmask_b32_e32 v14, v3, v15, vcc
	v_mov_b32_e32 v15, v2
.LBB23_31:                              ;   in Loop: Header=BB23_3 Depth=1
	s_or_b64 exec, exec, s[0:1]
	v_or_b32_e32 v3, s67, v19
	v_cmp_ne_u64_e32 vcc, 0, v[2:3]
                                        ; implicit-def: $vgpr16_vgpr17
	s_and_saveexec_b64 s[0:1], vcc
	s_xor_b64 s[70:71], exec, s[0:1]
	s_cbranch_execz .LBB23_33
; %bb.32:                               ;   in Loop: Header=BB23_3 Depth=1
	s_ashr_i32 s72, s67, 31
	s_add_u32 s0, s66, s72
	s_mov_b32 s73, s72
	s_addc_u32 s1, s67, s72
	s_xor_b64 s[74:75], s[0:1], s[72:73]
	v_cvt_f32_u32_e32 v3, s74
	v_cvt_f32_u32_e32 v16, s75
	s_sub_u32 s0, 0, s74
	s_subb_u32 s1, 0, s75
	v_mac_f32_e32 v3, 0x4f800000, v16
	v_rcp_f32_e32 v3, v3
	v_mul_f32_e32 v3, 0x5f7ffffc, v3
	v_mul_f32_e32 v16, 0x2f800000, v3
	v_trunc_f32_e32 v16, v16
	v_mac_f32_e32 v3, 0xcf800000, v16
	v_cvt_u32_f32_e32 v16, v16
	v_cvt_u32_f32_e32 v3, v3
	v_mul_lo_u32 v17, s0, v16
	v_mul_hi_u32 v35, s0, v3
	v_mul_lo_u32 v23, s1, v3
	v_add_u32_e32 v17, v35, v17
	v_mul_lo_u32 v36, s0, v3
	v_add_u32_e32 v17, v17, v23
	v_mul_lo_u32 v35, v3, v17
	v_mul_hi_u32 v37, v3, v36
	v_mul_hi_u32 v23, v3, v17
	v_add_co_u32_e32 v35, vcc, v37, v35
	v_addc_co_u32_e32 v23, vcc, 0, v23, vcc
	v_mul_hi_u32 v38, v16, v36
	v_mul_lo_u32 v36, v16, v36
	v_add_co_u32_e32 v35, vcc, v35, v36
	v_mul_hi_u32 v37, v16, v17
	v_addc_co_u32_e32 v23, vcc, v23, v38, vcc
	v_addc_co_u32_e32 v35, vcc, 0, v37, vcc
	v_mul_lo_u32 v17, v16, v17
	v_add_co_u32_e32 v17, vcc, v23, v17
	v_addc_co_u32_e32 v23, vcc, 0, v35, vcc
	v_add_co_u32_e32 v3, vcc, v3, v17
	v_addc_co_u32_e32 v16, vcc, v16, v23, vcc
	v_mul_lo_u32 v17, s0, v16
	v_mul_hi_u32 v23, s0, v3
	v_add_u32_e32 v17, v23, v17
	v_mul_lo_u32 v23, s1, v3
	v_add_u32_e32 v17, v17, v23
	v_mul_lo_u32 v35, s0, v3
	v_mul_hi_u32 v36, v16, v35
	v_mul_lo_u32 v37, v16, v35
	v_mul_lo_u32 v39, v3, v17
	v_mul_hi_u32 v35, v3, v35
	v_mul_hi_u32 v38, v3, v17
	v_add_co_u32_e32 v35, vcc, v35, v39
	v_addc_co_u32_e32 v38, vcc, 0, v38, vcc
	v_add_co_u32_e32 v35, vcc, v35, v37
	v_mul_hi_u32 v23, v16, v17
	v_addc_co_u32_e32 v35, vcc, v38, v36, vcc
	v_addc_co_u32_e32 v23, vcc, 0, v23, vcc
	v_mul_lo_u32 v17, v16, v17
	v_add_co_u32_e32 v17, vcc, v35, v17
	v_addc_co_u32_e32 v23, vcc, 0, v23, vcc
	v_add_co_u32_e32 v3, vcc, v3, v17
	v_addc_co_u32_e32 v23, vcc, v16, v23, vcc
	;; [unrolled: 2-line block ×3, first 2 shown]
	v_xor_b32_e32 v36, v16, v33
	v_xor_b32_e32 v35, v17, v33
	v_mad_u64_u32 v[16:17], s[0:1], v36, v23, 0
	v_mul_hi_u32 v18, v36, v3
	v_add_co_u32_e32 v37, vcc, v18, v16
	v_addc_co_u32_e32 v38, vcc, 0, v17, vcc
	v_mad_u64_u32 v[18:19], s[0:1], v35, v3, 0
	v_add_co_u32_e32 v3, vcc, v37, v18
	v_mad_u64_u32 v[16:17], s[0:1], v35, v23, 0
	v_addc_co_u32_e32 v3, vcc, v38, v19, vcc
	v_addc_co_u32_e32 v17, vcc, 0, v17, vcc
	v_add_co_u32_e32 v3, vcc, v3, v16
	v_addc_co_u32_e32 v18, vcc, 0, v17, vcc
	v_mul_lo_u32 v19, s75, v3
	v_mul_lo_u32 v23, s74, v18
	v_mad_u64_u32 v[16:17], s[0:1], s74, v3, 0
	v_add3_u32 v17, v17, v23, v19
	v_sub_u32_e32 v19, v35, v17
	v_mov_b32_e32 v23, s75
	v_sub_co_u32_e32 v16, vcc, v36, v16
	v_subb_co_u32_e64 v19, s[0:1], v19, v23, vcc
	v_subrev_co_u32_e64 v23, s[0:1], s74, v16
	v_subbrev_co_u32_e64 v19, s[0:1], 0, v19, s[0:1]
	v_cmp_le_u32_e64 s[0:1], s75, v19
	v_cndmask_b32_e64 v36, 0, -1, s[0:1]
	v_cmp_le_u32_e64 s[0:1], s74, v23
	v_cndmask_b32_e64 v23, 0, -1, s[0:1]
	v_cmp_eq_u32_e64 s[0:1], s75, v19
	v_cndmask_b32_e64 v19, v36, v23, s[0:1]
	v_add_co_u32_e64 v23, s[0:1], 2, v3
	v_subb_co_u32_e32 v17, vcc, v35, v17, vcc
	v_addc_co_u32_e64 v36, s[0:1], 0, v18, s[0:1]
	v_cmp_le_u32_e32 vcc, s75, v17
	v_add_co_u32_e64 v37, s[0:1], 1, v3
	v_cndmask_b32_e64 v35, 0, -1, vcc
	v_cmp_le_u32_e32 vcc, s74, v16
	v_addc_co_u32_e64 v38, s[0:1], 0, v18, s[0:1]
	v_cndmask_b32_e64 v16, 0, -1, vcc
	v_cmp_eq_u32_e32 vcc, s75, v17
	v_cmp_ne_u32_e64 s[0:1], 0, v19
	v_cndmask_b32_e32 v16, v35, v16, vcc
	v_cmp_ne_u32_e32 vcc, 0, v16
	v_cndmask_b32_e64 v17, v37, v23, s[0:1]
	v_cndmask_b32_e64 v19, v38, v36, s[0:1]
	v_cndmask_b32_e32 v3, v3, v17, vcc
	v_xor_b32_e32 v17, s72, v33
	v_cndmask_b32_e32 v16, v18, v19, vcc
	v_xor_b32_e32 v3, v3, v17
	v_xor_b32_e32 v18, v16, v17
	v_sub_co_u32_e32 v16, vcc, v3, v17
	v_subb_co_u32_e32 v17, vcc, v18, v17, vcc
                                        ; implicit-def: $vgpr18_vgpr19
.LBB23_33:                              ;   in Loop: Header=BB23_3 Depth=1
	s_andn2_saveexec_b64 s[0:1], s[70:71]
	s_cbranch_execz .LBB23_35
; %bb.34:                               ;   in Loop: Header=BB23_3 Depth=1
	v_rcp_iflag_f32_e32 v3, v22
	s_sub_i32 s70, 0, s66
	v_mul_f32_e32 v3, 0x4f7ffffe, v3
	v_cvt_u32_f32_e32 v3, v3
	v_mul_lo_u32 v16, s70, v3
	v_mul_hi_u32 v16, v3, v16
	v_add_u32_e32 v3, v3, v16
	v_mul_hi_u32 v3, v18, v3
	v_mul_lo_u32 v16, v3, s66
	v_sub_u32_e32 v16, v18, v16
	v_add_u32_e32 v17, 1, v3
	v_subrev_u32_e32 v18, s66, v16
	v_cmp_le_u32_e32 vcc, s66, v16
	v_cndmask_b32_e32 v16, v16, v18, vcc
	v_cndmask_b32_e32 v3, v3, v17, vcc
	v_add_u32_e32 v17, 1, v3
	v_cmp_le_u32_e32 vcc, s66, v16
	v_cndmask_b32_e32 v16, v3, v17, vcc
	v_mov_b32_e32 v17, v2
.LBB23_35:                              ;   in Loop: Header=BB23_3 Depth=1
	s_or_b64 exec, exec, s[0:1]
	v_or_b32_e32 v3, s67, v21
	v_cmp_ne_u64_e32 vcc, 0, v[2:3]
                                        ; implicit-def: $vgpr18_vgpr19
	s_and_saveexec_b64 s[0:1], vcc
	s_xor_b64 s[70:71], exec, s[0:1]
	s_cbranch_execz .LBB23_37
; %bb.36:                               ;   in Loop: Header=BB23_3 Depth=1
	s_ashr_i32 s72, s67, 31
	s_add_u32 s0, s66, s72
	s_mov_b32 s73, s72
	s_addc_u32 s1, s67, s72
	s_xor_b64 s[74:75], s[0:1], s[72:73]
	v_cvt_f32_u32_e32 v3, s74
	v_cvt_f32_u32_e32 v18, s75
	s_sub_u32 s0, 0, s74
	s_subb_u32 s1, 0, s75
	v_mac_f32_e32 v3, 0x4f800000, v18
	v_rcp_f32_e32 v3, v3
	v_mul_f32_e32 v3, 0x5f7ffffc, v3
	v_mul_f32_e32 v18, 0x2f800000, v3
	v_trunc_f32_e32 v18, v18
	v_mac_f32_e32 v3, 0xcf800000, v18
	v_cvt_u32_f32_e32 v18, v18
	v_cvt_u32_f32_e32 v3, v3
	v_mul_lo_u32 v19, s0, v18
	v_mul_hi_u32 v23, s0, v3
	v_mul_lo_u32 v22, s1, v3
	v_add_u32_e32 v19, v23, v19
	v_mul_lo_u32 v33, s0, v3
	v_add_u32_e32 v19, v19, v22
	v_mul_lo_u32 v23, v3, v19
	v_mul_hi_u32 v35, v3, v33
	v_mul_hi_u32 v22, v3, v19
	v_add_co_u32_e32 v23, vcc, v35, v23
	v_addc_co_u32_e32 v22, vcc, 0, v22, vcc
	v_mul_hi_u32 v36, v18, v33
	v_mul_lo_u32 v33, v18, v33
	v_add_co_u32_e32 v23, vcc, v23, v33
	v_mul_hi_u32 v35, v18, v19
	v_addc_co_u32_e32 v22, vcc, v22, v36, vcc
	v_addc_co_u32_e32 v23, vcc, 0, v35, vcc
	v_mul_lo_u32 v19, v18, v19
	v_add_co_u32_e32 v19, vcc, v22, v19
	v_addc_co_u32_e32 v22, vcc, 0, v23, vcc
	v_add_co_u32_e32 v3, vcc, v3, v19
	v_addc_co_u32_e32 v18, vcc, v18, v22, vcc
	v_mul_lo_u32 v19, s0, v18
	v_mul_hi_u32 v22, s0, v3
	v_add_u32_e32 v19, v22, v19
	v_mul_lo_u32 v22, s1, v3
	v_add_u32_e32 v19, v19, v22
	v_mul_lo_u32 v23, s0, v3
	v_mul_hi_u32 v33, v18, v23
	v_mul_lo_u32 v35, v18, v23
	v_mul_lo_u32 v37, v3, v19
	v_mul_hi_u32 v23, v3, v23
	v_mul_hi_u32 v36, v3, v19
	v_add_co_u32_e32 v23, vcc, v23, v37
	v_addc_co_u32_e32 v36, vcc, 0, v36, vcc
	v_add_co_u32_e32 v23, vcc, v23, v35
	v_mul_hi_u32 v22, v18, v19
	v_addc_co_u32_e32 v23, vcc, v36, v33, vcc
	v_addc_co_u32_e32 v22, vcc, 0, v22, vcc
	v_mul_lo_u32 v19, v18, v19
	v_add_co_u32_e32 v19, vcc, v23, v19
	v_addc_co_u32_e32 v22, vcc, 0, v22, vcc
	v_add_co_u32_e32 v3, vcc, v3, v19
	v_addc_co_u32_e32 v22, vcc, v18, v22, vcc
	;; [unrolled: 2-line block ×3, first 2 shown]
	v_xor_b32_e32 v33, v18, v34
	v_xor_b32_e32 v23, v19, v34
	v_mad_u64_u32 v[18:19], s[0:1], v33, v22, 0
	v_mul_hi_u32 v20, v33, v3
	v_add_co_u32_e32 v35, vcc, v20, v18
	v_addc_co_u32_e32 v36, vcc, 0, v19, vcc
	v_mad_u64_u32 v[20:21], s[0:1], v23, v3, 0
	v_add_co_u32_e32 v3, vcc, v35, v20
	v_mad_u64_u32 v[18:19], s[0:1], v23, v22, 0
	v_addc_co_u32_e32 v3, vcc, v36, v21, vcc
	v_addc_co_u32_e32 v19, vcc, 0, v19, vcc
	v_add_co_u32_e32 v3, vcc, v3, v18
	v_addc_co_u32_e32 v20, vcc, 0, v19, vcc
	v_mul_lo_u32 v21, s75, v3
	v_mul_lo_u32 v22, s74, v20
	v_mad_u64_u32 v[18:19], s[0:1], s74, v3, 0
	v_add3_u32 v19, v19, v22, v21
	v_sub_u32_e32 v21, v23, v19
	v_mov_b32_e32 v22, s75
	v_sub_co_u32_e32 v18, vcc, v33, v18
	v_subb_co_u32_e64 v21, s[0:1], v21, v22, vcc
	v_subrev_co_u32_e64 v22, s[0:1], s74, v18
	v_subbrev_co_u32_e64 v21, s[0:1], 0, v21, s[0:1]
	v_cmp_le_u32_e64 s[0:1], s75, v21
	v_cndmask_b32_e64 v33, 0, -1, s[0:1]
	v_cmp_le_u32_e64 s[0:1], s74, v22
	v_cndmask_b32_e64 v22, 0, -1, s[0:1]
	v_cmp_eq_u32_e64 s[0:1], s75, v21
	v_cndmask_b32_e64 v21, v33, v22, s[0:1]
	v_add_co_u32_e64 v22, s[0:1], 2, v3
	v_subb_co_u32_e32 v19, vcc, v23, v19, vcc
	v_addc_co_u32_e64 v33, s[0:1], 0, v20, s[0:1]
	v_cmp_le_u32_e32 vcc, s75, v19
	v_add_co_u32_e64 v35, s[0:1], 1, v3
	v_cndmask_b32_e64 v23, 0, -1, vcc
	v_cmp_le_u32_e32 vcc, s74, v18
	v_addc_co_u32_e64 v36, s[0:1], 0, v20, s[0:1]
	v_cndmask_b32_e64 v18, 0, -1, vcc
	v_cmp_eq_u32_e32 vcc, s75, v19
	v_cmp_ne_u32_e64 s[0:1], 0, v21
	v_cndmask_b32_e32 v18, v23, v18, vcc
	v_cmp_ne_u32_e32 vcc, 0, v18
	v_cndmask_b32_e64 v19, v35, v22, s[0:1]
	v_cndmask_b32_e64 v21, v36, v33, s[0:1]
	v_cndmask_b32_e32 v3, v3, v19, vcc
	v_xor_b32_e32 v19, s72, v34
	v_cndmask_b32_e32 v18, v20, v21, vcc
	v_xor_b32_e32 v3, v3, v19
	v_xor_b32_e32 v20, v18, v19
	v_sub_co_u32_e32 v18, vcc, v3, v19
	v_subb_co_u32_e32 v19, vcc, v20, v19, vcc
                                        ; implicit-def: $vgpr22
                                        ; implicit-def: $vgpr20_vgpr21
.LBB23_37:                              ;   in Loop: Header=BB23_3 Depth=1
	s_andn2_saveexec_b64 s[0:1], s[70:71]
	s_cbranch_execz .LBB23_39
; %bb.38:                               ;   in Loop: Header=BB23_3 Depth=1
	v_rcp_iflag_f32_e32 v3, v22
	s_sub_i32 s70, 0, s66
	v_mul_f32_e32 v3, 0x4f7ffffe, v3
	v_cvt_u32_f32_e32 v3, v3
	v_mul_lo_u32 v18, s70, v3
	v_mul_hi_u32 v18, v3, v18
	v_add_u32_e32 v3, v3, v18
	v_mul_hi_u32 v3, v20, v3
	v_mul_lo_u32 v18, v3, s66
	v_sub_u32_e32 v18, v20, v18
	v_add_u32_e32 v19, 1, v3
	v_subrev_u32_e32 v20, s66, v18
	v_cmp_le_u32_e32 vcc, s66, v18
	v_cndmask_b32_e32 v18, v18, v20, vcc
	v_cndmask_b32_e32 v3, v3, v19, vcc
	v_add_u32_e32 v19, 1, v3
	v_cmp_le_u32_e32 vcc, s66, v18
	v_cndmask_b32_e32 v18, v3, v19, vcc
	v_mov_b32_e32 v19, v2
.LBB23_39:                              ;   in Loop: Header=BB23_3 Depth=1
	s_or_b64 exec, exec, s[0:1]
	v_or_b32_e32 v3, s45, v1
	v_cmp_ne_u64_e32 vcc, 0, v[2:3]
                                        ; implicit-def: $vgpr20_vgpr21
	s_and_saveexec_b64 s[0:1], vcc
	s_xor_b64 s[70:71], exec, s[0:1]
	s_cbranch_execz .LBB23_41
; %bb.40:                               ;   in Loop: Header=BB23_3 Depth=1
	s_ashr_i32 s72, s45, 31
	s_add_u32 s0, s44, s72
	s_mov_b32 s73, s72
	s_addc_u32 s1, s45, s72
	s_xor_b64 s[74:75], s[0:1], s[72:73]
	v_cvt_f32_u32_e32 v3, s74
	v_cvt_f32_u32_e32 v20, s75
	s_sub_u32 s0, 0, s74
	s_subb_u32 s1, 0, s75
	v_mac_f32_e32 v3, 0x4f800000, v20
	v_rcp_f32_e32 v3, v3
	v_mul_f32_e32 v3, 0x5f7ffffc, v3
	v_mul_f32_e32 v20, 0x2f800000, v3
	v_trunc_f32_e32 v20, v20
	v_mac_f32_e32 v3, 0xcf800000, v20
	v_cvt_u32_f32_e32 v20, v20
	v_cvt_u32_f32_e32 v3, v3
	v_mul_lo_u32 v21, s0, v20
	v_mul_hi_u32 v23, s0, v3
	v_mul_lo_u32 v22, s1, v3
	v_add_u32_e32 v21, v23, v21
	v_mul_lo_u32 v33, s0, v3
	v_add_u32_e32 v21, v21, v22
	v_mul_lo_u32 v23, v3, v21
	v_mul_hi_u32 v34, v3, v33
	v_mul_hi_u32 v22, v3, v21
	v_add_co_u32_e32 v23, vcc, v34, v23
	v_addc_co_u32_e32 v22, vcc, 0, v22, vcc
	v_mul_hi_u32 v35, v20, v33
	v_mul_lo_u32 v33, v20, v33
	v_add_co_u32_e32 v23, vcc, v23, v33
	v_mul_hi_u32 v34, v20, v21
	v_addc_co_u32_e32 v22, vcc, v22, v35, vcc
	v_addc_co_u32_e32 v23, vcc, 0, v34, vcc
	v_mul_lo_u32 v21, v20, v21
	v_add_co_u32_e32 v21, vcc, v22, v21
	v_addc_co_u32_e32 v22, vcc, 0, v23, vcc
	v_add_co_u32_e32 v3, vcc, v3, v21
	v_addc_co_u32_e32 v20, vcc, v20, v22, vcc
	v_mul_lo_u32 v21, s0, v20
	v_mul_hi_u32 v22, s0, v3
	v_add_u32_e32 v21, v22, v21
	v_mul_lo_u32 v22, s1, v3
	v_add_u32_e32 v21, v21, v22
	v_mul_lo_u32 v23, s0, v3
	v_mul_hi_u32 v33, v20, v23
	v_mul_lo_u32 v34, v20, v23
	v_mul_lo_u32 v36, v3, v21
	v_mul_hi_u32 v23, v3, v23
	v_mul_hi_u32 v35, v3, v21
	v_add_co_u32_e32 v23, vcc, v23, v36
	v_addc_co_u32_e32 v35, vcc, 0, v35, vcc
	v_add_co_u32_e32 v23, vcc, v23, v34
	v_mul_hi_u32 v22, v20, v21
	v_addc_co_u32_e32 v23, vcc, v35, v33, vcc
	v_addc_co_u32_e32 v22, vcc, 0, v22, vcc
	v_mul_lo_u32 v21, v20, v21
	v_add_co_u32_e32 v21, vcc, v23, v21
	v_addc_co_u32_e32 v22, vcc, 0, v22, vcc
	v_add_co_u32_e32 v3, vcc, v3, v21
	v_addc_co_u32_e32 v22, vcc, v20, v22, vcc
	v_ashrrev_i32_e32 v33, 31, v1
	v_add_co_u32_e32 v20, vcc, v0, v33
	v_addc_co_u32_e32 v21, vcc, v1, v33, vcc
	v_xor_b32_e32 v35, v20, v33
	v_xor_b32_e32 v34, v21, v33
	v_mad_u64_u32 v[20:21], s[0:1], v35, v22, 0
	v_mul_hi_u32 v23, v35, v3
	v_add_co_u32_e32 v36, vcc, v23, v20
	v_addc_co_u32_e32 v37, vcc, 0, v21, vcc
	v_mad_u64_u32 v[20:21], s[0:1], v34, v22, 0
	v_mad_u64_u32 v[22:23], s[0:1], v34, v3, 0
	v_add_co_u32_e32 v3, vcc, v36, v22
	v_addc_co_u32_e32 v3, vcc, v37, v23, vcc
	v_addc_co_u32_e32 v21, vcc, 0, v21, vcc
	v_add_co_u32_e32 v3, vcc, v3, v20
	v_addc_co_u32_e32 v22, vcc, 0, v21, vcc
	v_mul_lo_u32 v23, s75, v3
	v_mul_lo_u32 v36, s74, v22
	v_mad_u64_u32 v[20:21], s[0:1], s74, v3, 0
	v_add3_u32 v21, v21, v36, v23
	v_sub_u32_e32 v23, v34, v21
	v_mov_b32_e32 v36, s75
	v_sub_co_u32_e32 v20, vcc, v35, v20
	v_subb_co_u32_e64 v23, s[0:1], v23, v36, vcc
	v_subrev_co_u32_e64 v35, s[0:1], s74, v20
	v_subbrev_co_u32_e64 v23, s[0:1], 0, v23, s[0:1]
	v_cmp_le_u32_e64 s[0:1], s75, v23
	v_cndmask_b32_e64 v36, 0, -1, s[0:1]
	v_cmp_le_u32_e64 s[0:1], s74, v35
	v_cndmask_b32_e64 v35, 0, -1, s[0:1]
	v_cmp_eq_u32_e64 s[0:1], s75, v23
	v_cndmask_b32_e64 v23, v36, v35, s[0:1]
	v_add_co_u32_e64 v35, s[0:1], 2, v3
	v_subb_co_u32_e32 v21, vcc, v34, v21, vcc
	v_addc_co_u32_e64 v36, s[0:1], 0, v22, s[0:1]
	v_cmp_le_u32_e32 vcc, s75, v21
	v_add_co_u32_e64 v37, s[0:1], 1, v3
	v_cndmask_b32_e64 v34, 0, -1, vcc
	v_cmp_le_u32_e32 vcc, s74, v20
	v_addc_co_u32_e64 v38, s[0:1], 0, v22, s[0:1]
	v_cndmask_b32_e64 v20, 0, -1, vcc
	v_cmp_eq_u32_e32 vcc, s75, v21
	v_cmp_ne_u32_e64 s[0:1], 0, v23
	v_cndmask_b32_e32 v20, v34, v20, vcc
	v_cmp_ne_u32_e32 vcc, 0, v20
	v_cndmask_b32_e64 v21, v37, v35, s[0:1]
	v_cndmask_b32_e64 v23, v38, v36, s[0:1]
	v_cndmask_b32_e32 v3, v3, v21, vcc
	v_xor_b32_e32 v21, s72, v33
	v_cndmask_b32_e32 v20, v22, v23, vcc
	v_xor_b32_e32 v3, v3, v21
	v_xor_b32_e32 v22, v20, v21
	v_sub_co_u32_e32 v20, vcc, v3, v21
	v_subb_co_u32_e32 v21, vcc, v22, v21, vcc
.LBB23_41:                              ;   in Loop: Header=BB23_3 Depth=1
	s_andn2_saveexec_b64 s[0:1], s[70:71]
	s_cbranch_execz .LBB23_43
; %bb.42:                               ;   in Loop: Header=BB23_3 Depth=1
	v_cvt_f32_u32_e32 v3, s44
	s_sub_i32 s70, 0, s44
	v_rcp_iflag_f32_e32 v3, v3
	v_mul_f32_e32 v3, 0x4f7ffffe, v3
	v_cvt_u32_f32_e32 v3, v3
	v_mul_lo_u32 v20, s70, v3
	v_mul_hi_u32 v20, v3, v20
	v_add_u32_e32 v3, v3, v20
	v_mul_hi_u32 v3, v0, v3
	v_mul_lo_u32 v20, v3, s44
	v_sub_u32_e32 v20, v0, v20
	v_add_u32_e32 v21, 1, v3
	v_subrev_u32_e32 v22, s44, v20
	v_cmp_le_u32_e32 vcc, s44, v20
	v_cndmask_b32_e32 v20, v20, v22, vcc
	v_cndmask_b32_e32 v3, v3, v21, vcc
	v_add_u32_e32 v21, 1, v3
	v_cmp_le_u32_e32 vcc, s44, v20
	v_cndmask_b32_e32 v20, v3, v21, vcc
	v_mov_b32_e32 v21, v2
.LBB23_43:                              ;   in Loop: Header=BB23_3 Depth=1
	s_or_b64 exec, exec, s[0:1]
	v_mad_u64_u32 v[22:23], s[0:1], s79, v20, v[0:1]
	v_mul_lo_u32 v3, s79, v21
	v_mul_lo_u32 v33, s80, v20
	v_add3_u32 v3, v33, v23, v3
	v_mul_lo_u32 v33, v22, s19
	v_mul_lo_u32 v3, v3, s18
	v_mad_u64_u32 v[22:23], s[0:1], v22, s18, 0
	v_add3_u32 v23, v23, v33, v3
	v_mul_lo_u32 v3, v21, s16
	v_mul_lo_u32 v33, v20, s17
	v_mad_u64_u32 v[20:21], s[0:1], v20, s16, 0
	v_add3_u32 v21, v21, v33, v3
	v_lshlrev_b64 v[20:21], 2, v[20:21]
	v_mov_b32_e32 v3, s43
	v_add_co_u32_e32 v33, vcc, s42, v20
	v_addc_co_u32_e32 v3, vcc, v3, v21, vcc
	v_lshlrev_b64 v[20:21], 2, v[22:23]
	v_add_co_u32_e32 v20, vcc, v33, v20
	v_addc_co_u32_e32 v21, vcc, v3, v21, vcc
	global_load_dword v33, v[20:21], off
	v_or_b32_e32 v3, s49, v1
	v_cmp_ne_u64_e32 vcc, 0, v[2:3]
                                        ; implicit-def: $vgpr20_vgpr21
	s_and_saveexec_b64 s[0:1], vcc
	s_xor_b64 s[70:71], exec, s[0:1]
	s_cbranch_execz .LBB23_45
; %bb.44:                               ;   in Loop: Header=BB23_3 Depth=1
	s_ashr_i32 s72, s49, 31
	s_add_u32 s0, s48, s72
	s_mov_b32 s73, s72
	s_addc_u32 s1, s49, s72
	s_xor_b64 s[74:75], s[0:1], s[72:73]
	v_cvt_f32_u32_e32 v3, s74
	v_cvt_f32_u32_e32 v20, s75
	s_sub_u32 s0, 0, s74
	s_subb_u32 s1, 0, s75
	v_mac_f32_e32 v3, 0x4f800000, v20
	v_rcp_f32_e32 v3, v3
	v_mul_f32_e32 v3, 0x5f7ffffc, v3
	v_mul_f32_e32 v20, 0x2f800000, v3
	v_trunc_f32_e32 v20, v20
	v_mac_f32_e32 v3, 0xcf800000, v20
	v_cvt_u32_f32_e32 v20, v20
	v_cvt_u32_f32_e32 v3, v3
	v_mul_lo_u32 v21, s0, v20
	v_mul_hi_u32 v23, s0, v3
	v_mul_lo_u32 v22, s1, v3
	v_add_u32_e32 v21, v23, v21
	v_mul_lo_u32 v34, s0, v3
	v_add_u32_e32 v21, v21, v22
	v_mul_lo_u32 v23, v3, v21
	v_mul_hi_u32 v35, v3, v34
	v_mul_hi_u32 v22, v3, v21
	v_add_co_u32_e32 v23, vcc, v35, v23
	v_addc_co_u32_e32 v22, vcc, 0, v22, vcc
	v_mul_hi_u32 v36, v20, v34
	v_mul_lo_u32 v34, v20, v34
	v_add_co_u32_e32 v23, vcc, v23, v34
	v_mul_hi_u32 v35, v20, v21
	v_addc_co_u32_e32 v22, vcc, v22, v36, vcc
	v_addc_co_u32_e32 v23, vcc, 0, v35, vcc
	v_mul_lo_u32 v21, v20, v21
	v_add_co_u32_e32 v21, vcc, v22, v21
	v_addc_co_u32_e32 v22, vcc, 0, v23, vcc
	v_add_co_u32_e32 v3, vcc, v3, v21
	v_addc_co_u32_e32 v20, vcc, v20, v22, vcc
	v_mul_lo_u32 v21, s0, v20
	v_mul_hi_u32 v22, s0, v3
	v_add_u32_e32 v21, v22, v21
	v_mul_lo_u32 v22, s1, v3
	v_add_u32_e32 v21, v21, v22
	v_mul_lo_u32 v23, s0, v3
	v_mul_hi_u32 v34, v20, v23
	v_mul_lo_u32 v35, v20, v23
	v_mul_lo_u32 v37, v3, v21
	v_mul_hi_u32 v23, v3, v23
	v_mul_hi_u32 v36, v3, v21
	v_add_co_u32_e32 v23, vcc, v23, v37
	v_addc_co_u32_e32 v36, vcc, 0, v36, vcc
	v_add_co_u32_e32 v23, vcc, v23, v35
	v_mul_hi_u32 v22, v20, v21
	v_addc_co_u32_e32 v23, vcc, v36, v34, vcc
	v_addc_co_u32_e32 v22, vcc, 0, v22, vcc
	v_mul_lo_u32 v21, v20, v21
	v_add_co_u32_e32 v21, vcc, v23, v21
	v_addc_co_u32_e32 v22, vcc, 0, v22, vcc
	v_add_co_u32_e32 v3, vcc, v3, v21
	v_addc_co_u32_e32 v22, vcc, v20, v22, vcc
	v_ashrrev_i32_e32 v34, 31, v1
	v_add_co_u32_e32 v20, vcc, v0, v34
	v_addc_co_u32_e32 v21, vcc, v1, v34, vcc
	v_xor_b32_e32 v36, v20, v34
	v_xor_b32_e32 v35, v21, v34
	v_mad_u64_u32 v[20:21], s[0:1], v36, v22, 0
	v_mul_hi_u32 v23, v36, v3
	v_add_co_u32_e32 v37, vcc, v23, v20
	v_addc_co_u32_e32 v38, vcc, 0, v21, vcc
	v_mad_u64_u32 v[20:21], s[0:1], v35, v22, 0
	v_mad_u64_u32 v[22:23], s[0:1], v35, v3, 0
	v_add_co_u32_e32 v3, vcc, v37, v22
	v_addc_co_u32_e32 v3, vcc, v38, v23, vcc
	v_addc_co_u32_e32 v21, vcc, 0, v21, vcc
	v_add_co_u32_e32 v3, vcc, v3, v20
	v_addc_co_u32_e32 v22, vcc, 0, v21, vcc
	v_mul_lo_u32 v23, s75, v3
	v_mul_lo_u32 v37, s74, v22
	v_mad_u64_u32 v[20:21], s[0:1], s74, v3, 0
	v_add3_u32 v21, v21, v37, v23
	v_sub_u32_e32 v23, v35, v21
	v_mov_b32_e32 v37, s75
	v_sub_co_u32_e32 v20, vcc, v36, v20
	v_subb_co_u32_e64 v23, s[0:1], v23, v37, vcc
	v_subrev_co_u32_e64 v36, s[0:1], s74, v20
	v_subbrev_co_u32_e64 v23, s[0:1], 0, v23, s[0:1]
	v_cmp_le_u32_e64 s[0:1], s75, v23
	v_cndmask_b32_e64 v37, 0, -1, s[0:1]
	v_cmp_le_u32_e64 s[0:1], s74, v36
	v_cndmask_b32_e64 v36, 0, -1, s[0:1]
	v_cmp_eq_u32_e64 s[0:1], s75, v23
	v_cndmask_b32_e64 v23, v37, v36, s[0:1]
	v_add_co_u32_e64 v36, s[0:1], 2, v3
	v_subb_co_u32_e32 v21, vcc, v35, v21, vcc
	v_addc_co_u32_e64 v37, s[0:1], 0, v22, s[0:1]
	v_cmp_le_u32_e32 vcc, s75, v21
	v_add_co_u32_e64 v38, s[0:1], 1, v3
	v_cndmask_b32_e64 v35, 0, -1, vcc
	v_cmp_le_u32_e32 vcc, s74, v20
	v_addc_co_u32_e64 v39, s[0:1], 0, v22, s[0:1]
	v_cndmask_b32_e64 v20, 0, -1, vcc
	v_cmp_eq_u32_e32 vcc, s75, v21
	v_cmp_ne_u32_e64 s[0:1], 0, v23
	v_cndmask_b32_e32 v20, v35, v20, vcc
	v_cmp_ne_u32_e32 vcc, 0, v20
	v_cndmask_b32_e64 v21, v38, v36, s[0:1]
	v_cndmask_b32_e64 v23, v39, v37, s[0:1]
	v_cndmask_b32_e32 v3, v3, v21, vcc
	v_xor_b32_e32 v21, s72, v34
	v_cndmask_b32_e32 v20, v22, v23, vcc
	v_xor_b32_e32 v3, v3, v21
	v_xor_b32_e32 v22, v20, v21
	v_sub_co_u32_e32 v20, vcc, v3, v21
	v_subb_co_u32_e32 v21, vcc, v22, v21, vcc
.LBB23_45:                              ;   in Loop: Header=BB23_3 Depth=1
	s_andn2_saveexec_b64 s[0:1], s[70:71]
	s_cbranch_execz .LBB23_47
; %bb.46:                               ;   in Loop: Header=BB23_3 Depth=1
	v_cvt_f32_u32_e32 v3, s48
	s_sub_i32 s70, 0, s48
	v_rcp_iflag_f32_e32 v3, v3
	v_mul_f32_e32 v3, 0x4f7ffffe, v3
	v_cvt_u32_f32_e32 v3, v3
	v_mul_lo_u32 v20, s70, v3
	v_mul_hi_u32 v20, v3, v20
	v_add_u32_e32 v3, v3, v20
	v_mul_hi_u32 v3, v0, v3
	v_mul_lo_u32 v20, v3, s48
	v_sub_u32_e32 v20, v0, v20
	v_add_u32_e32 v21, 1, v3
	v_subrev_u32_e32 v22, s48, v20
	v_cmp_le_u32_e32 vcc, s48, v20
	v_cndmask_b32_e32 v20, v20, v22, vcc
	v_cndmask_b32_e32 v3, v3, v21, vcc
	v_add_u32_e32 v21, 1, v3
	v_cmp_le_u32_e32 vcc, s48, v20
	v_cndmask_b32_e32 v20, v3, v21, vcc
	v_mov_b32_e32 v21, v2
.LBB23_47:                              ;   in Loop: Header=BB23_3 Depth=1
	s_or_b64 exec, exec, s[0:1]
	v_mad_u64_u32 v[22:23], s[0:1], s81, v20, v[0:1]
	v_mul_lo_u32 v3, s81, v21
	v_mul_lo_u32 v34, s82, v20
	v_add3_u32 v3, v34, v23, v3
	v_mul_lo_u32 v34, v22, s23
	v_mul_lo_u32 v3, v3, s22
	v_mad_u64_u32 v[22:23], s[0:1], v22, s22, 0
	v_add3_u32 v23, v23, v34, v3
	v_mul_lo_u32 v3, v21, s20
	v_mul_lo_u32 v34, v20, s21
	v_mad_u64_u32 v[20:21], s[0:1], v20, s20, 0
	v_add3_u32 v21, v21, v34, v3
	v_lshlrev_b64 v[20:21], 2, v[20:21]
	v_mov_b32_e32 v3, s47
	v_add_co_u32_e32 v34, vcc, s46, v20
	v_addc_co_u32_e32 v3, vcc, v3, v21, vcc
	v_lshlrev_b64 v[20:21], 2, v[22:23]
	v_add_co_u32_e32 v20, vcc, v34, v20
	v_addc_co_u32_e32 v21, vcc, v3, v21, vcc
	global_load_dword v34, v[20:21], off
	v_or_b32_e32 v3, s61, v1
	v_cmp_ne_u64_e32 vcc, 0, v[2:3]
                                        ; implicit-def: $vgpr20_vgpr21
	s_and_saveexec_b64 s[0:1], vcc
	s_xor_b64 s[70:71], exec, s[0:1]
	s_cbranch_execz .LBB23_63
; %bb.48:                               ;   in Loop: Header=BB23_3 Depth=1
	s_ashr_i32 s72, s61, 31
	s_add_u32 s0, s60, s72
	s_mov_b32 s73, s72
	s_addc_u32 s1, s61, s72
	s_xor_b64 s[74:75], s[0:1], s[72:73]
	v_cvt_f32_u32_e32 v3, s74
	v_cvt_f32_u32_e32 v20, s75
	s_sub_u32 s0, 0, s74
	s_subb_u32 s1, 0, s75
	v_mac_f32_e32 v3, 0x4f800000, v20
	v_rcp_f32_e32 v3, v3
	v_mul_f32_e32 v3, 0x5f7ffffc, v3
	v_mul_f32_e32 v20, 0x2f800000, v3
	v_trunc_f32_e32 v20, v20
	v_mac_f32_e32 v3, 0xcf800000, v20
	v_cvt_u32_f32_e32 v20, v20
	v_cvt_u32_f32_e32 v3, v3
	v_mul_lo_u32 v21, s0, v20
	v_mul_hi_u32 v23, s0, v3
	v_mul_lo_u32 v22, s1, v3
	v_add_u32_e32 v21, v23, v21
	v_mul_lo_u32 v35, s0, v3
	v_add_u32_e32 v21, v21, v22
	v_mul_lo_u32 v23, v3, v21
	v_mul_hi_u32 v36, v3, v35
	v_mul_hi_u32 v22, v3, v21
	v_add_co_u32_e32 v23, vcc, v36, v23
	v_addc_co_u32_e32 v22, vcc, 0, v22, vcc
	v_mul_hi_u32 v37, v20, v35
	v_mul_lo_u32 v35, v20, v35
	v_add_co_u32_e32 v23, vcc, v23, v35
	v_mul_hi_u32 v36, v20, v21
	v_addc_co_u32_e32 v22, vcc, v22, v37, vcc
	v_addc_co_u32_e32 v23, vcc, 0, v36, vcc
	v_mul_lo_u32 v21, v20, v21
	v_add_co_u32_e32 v21, vcc, v22, v21
	v_addc_co_u32_e32 v22, vcc, 0, v23, vcc
	v_add_co_u32_e32 v3, vcc, v3, v21
	v_addc_co_u32_e32 v20, vcc, v20, v22, vcc
	v_mul_lo_u32 v21, s0, v20
	v_mul_hi_u32 v22, s0, v3
	v_add_u32_e32 v21, v22, v21
	v_mul_lo_u32 v22, s1, v3
	v_add_u32_e32 v21, v21, v22
	v_mul_lo_u32 v23, s0, v3
	v_mul_hi_u32 v35, v20, v23
	v_mul_lo_u32 v36, v20, v23
	v_mul_lo_u32 v38, v3, v21
	v_mul_hi_u32 v23, v3, v23
	v_mul_hi_u32 v37, v3, v21
	v_add_co_u32_e32 v23, vcc, v23, v38
	v_addc_co_u32_e32 v37, vcc, 0, v37, vcc
	v_add_co_u32_e32 v23, vcc, v23, v36
	v_mul_hi_u32 v22, v20, v21
	v_addc_co_u32_e32 v23, vcc, v37, v35, vcc
	v_addc_co_u32_e32 v22, vcc, 0, v22, vcc
	v_mul_lo_u32 v21, v20, v21
	v_add_co_u32_e32 v21, vcc, v23, v21
	v_addc_co_u32_e32 v22, vcc, 0, v22, vcc
	v_add_co_u32_e32 v3, vcc, v3, v21
	v_addc_co_u32_e32 v22, vcc, v20, v22, vcc
	v_ashrrev_i32_e32 v35, 31, v1
	v_add_co_u32_e32 v20, vcc, v0, v35
	v_addc_co_u32_e32 v21, vcc, v1, v35, vcc
	v_xor_b32_e32 v37, v20, v35
	v_xor_b32_e32 v36, v21, v35
	v_mad_u64_u32 v[20:21], s[0:1], v37, v22, 0
	v_mul_hi_u32 v23, v37, v3
	v_add_co_u32_e32 v38, vcc, v23, v20
	v_addc_co_u32_e32 v39, vcc, 0, v21, vcc
	v_mad_u64_u32 v[20:21], s[0:1], v36, v22, 0
	v_mad_u64_u32 v[22:23], s[0:1], v36, v3, 0
	v_add_co_u32_e32 v3, vcc, v38, v22
	v_addc_co_u32_e32 v3, vcc, v39, v23, vcc
	v_addc_co_u32_e32 v21, vcc, 0, v21, vcc
	v_add_co_u32_e32 v3, vcc, v3, v20
	v_addc_co_u32_e32 v22, vcc, 0, v21, vcc
	v_mul_lo_u32 v23, s75, v3
	v_mul_lo_u32 v38, s74, v22
	v_mad_u64_u32 v[20:21], s[0:1], s74, v3, 0
	v_add3_u32 v21, v21, v38, v23
	v_sub_u32_e32 v23, v36, v21
	v_mov_b32_e32 v38, s75
	v_sub_co_u32_e32 v20, vcc, v37, v20
	v_subb_co_u32_e64 v23, s[0:1], v23, v38, vcc
	v_subrev_co_u32_e64 v37, s[0:1], s74, v20
	v_subbrev_co_u32_e64 v23, s[0:1], 0, v23, s[0:1]
	v_cmp_le_u32_e64 s[0:1], s75, v23
	v_cndmask_b32_e64 v38, 0, -1, s[0:1]
	v_cmp_le_u32_e64 s[0:1], s74, v37
	v_cndmask_b32_e64 v37, 0, -1, s[0:1]
	v_cmp_eq_u32_e64 s[0:1], s75, v23
	v_cndmask_b32_e64 v23, v38, v37, s[0:1]
	v_add_co_u32_e64 v37, s[0:1], 2, v3
	v_subb_co_u32_e32 v21, vcc, v36, v21, vcc
	v_addc_co_u32_e64 v38, s[0:1], 0, v22, s[0:1]
	v_cmp_le_u32_e32 vcc, s75, v21
	v_add_co_u32_e64 v39, s[0:1], 1, v3
	v_cndmask_b32_e64 v36, 0, -1, vcc
	v_cmp_le_u32_e32 vcc, s74, v20
	v_addc_co_u32_e64 v40, s[0:1], 0, v22, s[0:1]
	v_cndmask_b32_e64 v20, 0, -1, vcc
	v_cmp_eq_u32_e32 vcc, s75, v21
	v_cmp_ne_u32_e64 s[0:1], 0, v23
	v_cndmask_b32_e32 v20, v36, v20, vcc
	v_cmp_ne_u32_e32 vcc, 0, v20
	v_cndmask_b32_e64 v21, v39, v37, s[0:1]
	v_cndmask_b32_e64 v23, v40, v38, s[0:1]
	v_cndmask_b32_e32 v3, v3, v21, vcc
	v_xor_b32_e32 v21, s72, v35
	v_cndmask_b32_e32 v20, v22, v23, vcc
	v_xor_b32_e32 v3, v3, v21
	v_xor_b32_e32 v22, v20, v21
	v_sub_co_u32_e32 v20, vcc, v3, v21
	v_subb_co_u32_e32 v21, vcc, v22, v21, vcc
	s_andn2_saveexec_b64 s[0:1], s[70:71]
	s_cbranch_execnz .LBB23_64
.LBB23_49:                              ;   in Loop: Header=BB23_3 Depth=1
	s_or_b64 exec, exec, s[0:1]
	s_andn2_b64 vcc, exec, s[62:63]
	s_cbranch_vccnz .LBB23_65
.LBB23_50:                              ;   in Loop: Header=BB23_3 Depth=1
	v_or_b32_e32 v3, s53, v1
	v_cmp_ne_u64_e32 vcc, 0, v[2:3]
                                        ; implicit-def: $vgpr22_vgpr23
	s_and_saveexec_b64 s[0:1], vcc
	s_xor_b64 s[70:71], exec, s[0:1]
	s_cbranch_execz .LBB23_52
; %bb.51:                               ;   in Loop: Header=BB23_3 Depth=1
	s_ashr_i32 s72, s53, 31
	s_add_u32 s0, s52, s72
	s_mov_b32 s73, s72
	s_addc_u32 s1, s53, s72
	s_xor_b64 s[74:75], s[0:1], s[72:73]
	v_cvt_f32_u32_e32 v3, s74
	v_cvt_f32_u32_e32 v22, s75
	s_sub_u32 s0, 0, s74
	s_subb_u32 s1, 0, s75
	v_mac_f32_e32 v3, 0x4f800000, v22
	v_rcp_f32_e32 v3, v3
	v_mul_f32_e32 v3, 0x5f7ffffc, v3
	v_mul_f32_e32 v22, 0x2f800000, v3
	v_trunc_f32_e32 v22, v22
	v_mac_f32_e32 v3, 0xcf800000, v22
	v_cvt_u32_f32_e32 v22, v22
	v_cvt_u32_f32_e32 v3, v3
	v_mul_lo_u32 v23, s0, v22
	v_mul_hi_u32 v36, s0, v3
	v_mul_lo_u32 v35, s1, v3
	v_add_u32_e32 v23, v36, v23
	v_mul_lo_u32 v37, s0, v3
	v_add_u32_e32 v23, v23, v35
	v_mul_lo_u32 v36, v3, v23
	v_mul_hi_u32 v38, v3, v37
	v_mul_hi_u32 v35, v3, v23
	v_add_co_u32_e32 v36, vcc, v38, v36
	v_addc_co_u32_e32 v35, vcc, 0, v35, vcc
	v_mul_hi_u32 v39, v22, v37
	v_mul_lo_u32 v37, v22, v37
	v_add_co_u32_e32 v36, vcc, v36, v37
	v_mul_hi_u32 v38, v22, v23
	v_addc_co_u32_e32 v35, vcc, v35, v39, vcc
	v_addc_co_u32_e32 v36, vcc, 0, v38, vcc
	v_mul_lo_u32 v23, v22, v23
	v_add_co_u32_e32 v23, vcc, v35, v23
	v_addc_co_u32_e32 v35, vcc, 0, v36, vcc
	v_add_co_u32_e32 v3, vcc, v3, v23
	v_addc_co_u32_e32 v22, vcc, v22, v35, vcc
	v_mul_lo_u32 v23, s0, v22
	v_mul_hi_u32 v35, s0, v3
	v_add_u32_e32 v23, v35, v23
	v_mul_lo_u32 v35, s1, v3
	v_add_u32_e32 v23, v23, v35
	v_mul_lo_u32 v36, s0, v3
	v_mul_hi_u32 v37, v22, v36
	v_mul_lo_u32 v38, v22, v36
	v_mul_lo_u32 v40, v3, v23
	v_mul_hi_u32 v36, v3, v36
	v_mul_hi_u32 v39, v3, v23
	v_add_co_u32_e32 v36, vcc, v36, v40
	v_addc_co_u32_e32 v39, vcc, 0, v39, vcc
	v_add_co_u32_e32 v36, vcc, v36, v38
	v_mul_hi_u32 v35, v22, v23
	v_addc_co_u32_e32 v36, vcc, v39, v37, vcc
	v_addc_co_u32_e32 v35, vcc, 0, v35, vcc
	v_mul_lo_u32 v23, v22, v23
	v_add_co_u32_e32 v23, vcc, v36, v23
	v_addc_co_u32_e32 v35, vcc, 0, v35, vcc
	v_add_co_u32_e32 v3, vcc, v3, v23
	v_addc_co_u32_e32 v35, vcc, v22, v35, vcc
	v_ashrrev_i32_e32 v38, 31, v1
	v_add_co_u32_e32 v22, vcc, v0, v38
	v_addc_co_u32_e32 v23, vcc, v1, v38, vcc
	v_xor_b32_e32 v40, v22, v38
	v_xor_b32_e32 v39, v23, v38
	v_mad_u64_u32 v[22:23], s[0:1], v40, v35, 0
	v_mul_hi_u32 v36, v40, v3
	v_add_co_u32_e32 v41, vcc, v36, v22
	v_addc_co_u32_e32 v42, vcc, 0, v23, vcc
	v_mad_u64_u32 v[36:37], s[0:1], v39, v3, 0
	v_add_co_u32_e32 v3, vcc, v41, v36
	v_mad_u64_u32 v[22:23], s[0:1], v39, v35, 0
	v_addc_co_u32_e32 v3, vcc, v42, v37, vcc
	v_addc_co_u32_e32 v23, vcc, 0, v23, vcc
	v_add_co_u32_e32 v3, vcc, v3, v22
	v_addc_co_u32_e32 v35, vcc, 0, v23, vcc
	v_mul_lo_u32 v36, s75, v3
	v_mul_lo_u32 v37, s74, v35
	v_mad_u64_u32 v[22:23], s[0:1], s74, v3, 0
	v_add3_u32 v23, v23, v37, v36
	v_sub_u32_e32 v36, v39, v23
	v_mov_b32_e32 v37, s75
	v_sub_co_u32_e32 v22, vcc, v40, v22
	v_subb_co_u32_e64 v36, s[0:1], v36, v37, vcc
	v_subrev_co_u32_e64 v37, s[0:1], s74, v22
	v_subbrev_co_u32_e64 v36, s[0:1], 0, v36, s[0:1]
	v_cmp_le_u32_e64 s[0:1], s75, v36
	v_cndmask_b32_e64 v40, 0, -1, s[0:1]
	v_cmp_le_u32_e64 s[0:1], s74, v37
	v_cndmask_b32_e64 v37, 0, -1, s[0:1]
	v_cmp_eq_u32_e64 s[0:1], s75, v36
	v_cndmask_b32_e64 v36, v40, v37, s[0:1]
	v_add_co_u32_e64 v37, s[0:1], 2, v3
	v_subb_co_u32_e32 v23, vcc, v39, v23, vcc
	v_addc_co_u32_e64 v40, s[0:1], 0, v35, s[0:1]
	v_cmp_le_u32_e32 vcc, s75, v23
	v_add_co_u32_e64 v41, s[0:1], 1, v3
	v_cndmask_b32_e64 v39, 0, -1, vcc
	v_cmp_le_u32_e32 vcc, s74, v22
	v_addc_co_u32_e64 v42, s[0:1], 0, v35, s[0:1]
	v_cndmask_b32_e64 v22, 0, -1, vcc
	v_cmp_eq_u32_e32 vcc, s75, v23
	v_cmp_ne_u32_e64 s[0:1], 0, v36
	v_cndmask_b32_e32 v22, v39, v22, vcc
	v_cmp_ne_u32_e32 vcc, 0, v22
	v_cndmask_b32_e64 v23, v41, v37, s[0:1]
	v_cndmask_b32_e64 v36, v42, v40, s[0:1]
	v_cndmask_b32_e32 v3, v3, v23, vcc
	v_xor_b32_e32 v23, s72, v38
	v_cndmask_b32_e32 v22, v35, v36, vcc
	v_xor_b32_e32 v3, v3, v23
	v_xor_b32_e32 v35, v22, v23
	v_sub_co_u32_e32 v22, vcc, v3, v23
	v_subb_co_u32_e32 v23, vcc, v35, v23, vcc
.LBB23_52:                              ;   in Loop: Header=BB23_3 Depth=1
	s_andn2_saveexec_b64 s[0:1], s[70:71]
	s_cbranch_execz .LBB23_54
; %bb.53:                               ;   in Loop: Header=BB23_3 Depth=1
	v_cvt_f32_u32_e32 v3, s52
	s_sub_i32 s70, 0, s52
	v_rcp_iflag_f32_e32 v3, v3
	v_mul_f32_e32 v3, 0x4f7ffffe, v3
	v_cvt_u32_f32_e32 v3, v3
	v_mul_lo_u32 v22, s70, v3
	v_mul_hi_u32 v22, v3, v22
	v_add_u32_e32 v3, v3, v22
	v_mul_hi_u32 v3, v0, v3
	v_mul_lo_u32 v22, v3, s52
	v_sub_u32_e32 v22, v0, v22
	v_add_u32_e32 v23, 1, v3
	v_subrev_u32_e32 v35, s52, v22
	v_cmp_le_u32_e32 vcc, s52, v22
	v_cndmask_b32_e32 v22, v22, v35, vcc
	v_cndmask_b32_e32 v3, v3, v23, vcc
	v_add_u32_e32 v23, 1, v3
	v_cmp_le_u32_e32 vcc, s52, v22
	v_cndmask_b32_e32 v22, v3, v23, vcc
	v_mov_b32_e32 v23, v2
.LBB23_54:                              ;   in Loop: Header=BB23_3 Depth=1
	s_or_b64 exec, exec, s[0:1]
	v_mad_u64_u32 v[36:37], s[0:1], s85, v22, v[0:1]
	v_mul_lo_u32 v3, s85, v23
	v_mul_lo_u32 v35, s86, v22
	v_add3_u32 v3, v35, v37, v3
	v_mul_lo_u32 v35, v36, s27
	v_mul_lo_u32 v3, v3, s26
	v_mad_u64_u32 v[36:37], s[0:1], v36, s26, 0
	v_add3_u32 v37, v37, v35, v3
	v_mul_lo_u32 v3, v23, s24
	v_mul_lo_u32 v35, v22, s25
	v_mad_u64_u32 v[22:23], s[0:1], v22, s24, 0
	v_add3_u32 v23, v23, v35, v3
	v_lshlrev_b64 v[22:23], 2, v[22:23]
	v_mov_b32_e32 v3, s51
	v_add_co_u32_e32 v35, vcc, s50, v22
	v_addc_co_u32_e32 v3, vcc, v3, v23, vcc
	v_lshlrev_b64 v[22:23], 2, v[36:37]
	v_add_co_u32_e32 v22, vcc, v35, v22
	v_addc_co_u32_e32 v23, vcc, v3, v23, vcc
	global_load_dword v35, v[22:23], off
	s_andn2_b64 vcc, exec, s[64:65]
	s_cbranch_vccnz .LBB23_66
.LBB23_55:                              ;   in Loop: Header=BB23_3 Depth=1
	v_or_b32_e32 v3, s57, v1
	v_cmp_ne_u64_e32 vcc, 0, v[2:3]
                                        ; implicit-def: $vgpr22_vgpr23
	s_and_saveexec_b64 s[0:1], vcc
	s_xor_b64 s[70:71], exec, s[0:1]
	s_cbranch_execz .LBB23_57
; %bb.56:                               ;   in Loop: Header=BB23_3 Depth=1
	s_ashr_i32 s72, s57, 31
	s_add_u32 s0, s56, s72
	s_mov_b32 s73, s72
	s_addc_u32 s1, s57, s72
	s_xor_b64 s[74:75], s[0:1], s[72:73]
	v_cvt_f32_u32_e32 v3, s74
	v_cvt_f32_u32_e32 v22, s75
	s_sub_u32 s0, 0, s74
	s_subb_u32 s1, 0, s75
	v_mac_f32_e32 v3, 0x4f800000, v22
	v_rcp_f32_e32 v3, v3
	v_mul_f32_e32 v3, 0x5f7ffffc, v3
	v_mul_f32_e32 v22, 0x2f800000, v3
	v_trunc_f32_e32 v22, v22
	v_mac_f32_e32 v3, 0xcf800000, v22
	v_cvt_u32_f32_e32 v22, v22
	v_cvt_u32_f32_e32 v3, v3
	v_mul_lo_u32 v23, s0, v22
	v_mul_hi_u32 v37, s0, v3
	v_mul_lo_u32 v36, s1, v3
	v_add_u32_e32 v23, v37, v23
	v_mul_lo_u32 v38, s0, v3
	v_add_u32_e32 v23, v23, v36
	v_mul_lo_u32 v37, v3, v23
	v_mul_hi_u32 v39, v3, v38
	v_mul_hi_u32 v36, v3, v23
	v_add_co_u32_e32 v37, vcc, v39, v37
	v_addc_co_u32_e32 v36, vcc, 0, v36, vcc
	v_mul_hi_u32 v40, v22, v38
	v_mul_lo_u32 v38, v22, v38
	v_add_co_u32_e32 v37, vcc, v37, v38
	v_mul_hi_u32 v39, v22, v23
	v_addc_co_u32_e32 v36, vcc, v36, v40, vcc
	v_addc_co_u32_e32 v37, vcc, 0, v39, vcc
	v_mul_lo_u32 v23, v22, v23
	v_add_co_u32_e32 v23, vcc, v36, v23
	v_addc_co_u32_e32 v36, vcc, 0, v37, vcc
	v_add_co_u32_e32 v3, vcc, v3, v23
	v_addc_co_u32_e32 v22, vcc, v22, v36, vcc
	v_mul_lo_u32 v23, s0, v22
	v_mul_hi_u32 v36, s0, v3
	v_add_u32_e32 v23, v36, v23
	v_mul_lo_u32 v36, s1, v3
	v_add_u32_e32 v23, v23, v36
	v_mul_lo_u32 v37, s0, v3
	v_mul_hi_u32 v38, v22, v37
	v_mul_lo_u32 v39, v22, v37
	v_mul_lo_u32 v41, v3, v23
	v_mul_hi_u32 v37, v3, v37
	v_mul_hi_u32 v40, v3, v23
	v_add_co_u32_e32 v37, vcc, v37, v41
	v_addc_co_u32_e32 v40, vcc, 0, v40, vcc
	v_add_co_u32_e32 v37, vcc, v37, v39
	v_mul_hi_u32 v36, v22, v23
	v_addc_co_u32_e32 v37, vcc, v40, v38, vcc
	v_addc_co_u32_e32 v36, vcc, 0, v36, vcc
	v_mul_lo_u32 v23, v22, v23
	v_add_co_u32_e32 v23, vcc, v37, v23
	v_addc_co_u32_e32 v36, vcc, 0, v36, vcc
	v_add_co_u32_e32 v3, vcc, v3, v23
	v_addc_co_u32_e32 v36, vcc, v22, v36, vcc
	v_ashrrev_i32_e32 v38, 31, v1
	v_add_co_u32_e32 v22, vcc, v0, v38
	v_addc_co_u32_e32 v23, vcc, v1, v38, vcc
	v_xor_b32_e32 v40, v22, v38
	v_xor_b32_e32 v39, v23, v38
	v_mad_u64_u32 v[22:23], s[0:1], v40, v36, 0
	v_mul_hi_u32 v37, v40, v3
	v_add_co_u32_e32 v41, vcc, v37, v22
	v_addc_co_u32_e32 v42, vcc, 0, v23, vcc
	v_mad_u64_u32 v[22:23], s[0:1], v39, v36, 0
	v_mad_u64_u32 v[36:37], s[0:1], v39, v3, 0
	v_add_co_u32_e32 v3, vcc, v41, v36
	v_addc_co_u32_e32 v3, vcc, v42, v37, vcc
	v_addc_co_u32_e32 v23, vcc, 0, v23, vcc
	v_add_co_u32_e32 v3, vcc, v3, v22
	v_addc_co_u32_e32 v36, vcc, 0, v23, vcc
	v_mul_lo_u32 v37, s75, v3
	v_mul_lo_u32 v41, s74, v36
	v_mad_u64_u32 v[22:23], s[0:1], s74, v3, 0
	v_add3_u32 v23, v23, v41, v37
	v_sub_u32_e32 v37, v39, v23
	v_mov_b32_e32 v41, s75
	v_sub_co_u32_e32 v22, vcc, v40, v22
	v_subb_co_u32_e64 v37, s[0:1], v37, v41, vcc
	v_subrev_co_u32_e64 v40, s[0:1], s74, v22
	v_subbrev_co_u32_e64 v37, s[0:1], 0, v37, s[0:1]
	v_cmp_le_u32_e64 s[0:1], s75, v37
	v_cndmask_b32_e64 v41, 0, -1, s[0:1]
	v_cmp_le_u32_e64 s[0:1], s74, v40
	v_cndmask_b32_e64 v40, 0, -1, s[0:1]
	v_cmp_eq_u32_e64 s[0:1], s75, v37
	v_cndmask_b32_e64 v37, v41, v40, s[0:1]
	v_add_co_u32_e64 v40, s[0:1], 2, v3
	v_subb_co_u32_e32 v23, vcc, v39, v23, vcc
	v_addc_co_u32_e64 v41, s[0:1], 0, v36, s[0:1]
	v_cmp_le_u32_e32 vcc, s75, v23
	v_add_co_u32_e64 v42, s[0:1], 1, v3
	v_cndmask_b32_e64 v39, 0, -1, vcc
	v_cmp_le_u32_e32 vcc, s74, v22
	v_addc_co_u32_e64 v43, s[0:1], 0, v36, s[0:1]
	v_cndmask_b32_e64 v22, 0, -1, vcc
	v_cmp_eq_u32_e32 vcc, s75, v23
	v_cmp_ne_u32_e64 s[0:1], 0, v37
	v_cndmask_b32_e32 v22, v39, v22, vcc
	v_cmp_ne_u32_e32 vcc, 0, v22
	v_cndmask_b32_e64 v23, v42, v40, s[0:1]
	v_cndmask_b32_e64 v37, v43, v41, s[0:1]
	v_cndmask_b32_e32 v3, v3, v23, vcc
	v_xor_b32_e32 v23, s72, v38
	v_cndmask_b32_e32 v22, v36, v37, vcc
	v_xor_b32_e32 v3, v3, v23
	v_xor_b32_e32 v36, v22, v23
	v_sub_co_u32_e32 v22, vcc, v3, v23
	v_subb_co_u32_e32 v23, vcc, v36, v23, vcc
.LBB23_57:                              ;   in Loop: Header=BB23_3 Depth=1
	s_andn2_saveexec_b64 s[0:1], s[70:71]
	s_cbranch_execz .LBB23_59
; %bb.58:                               ;   in Loop: Header=BB23_3 Depth=1
	v_cvt_f32_u32_e32 v3, s56
	s_sub_i32 s70, 0, s56
	v_rcp_iflag_f32_e32 v3, v3
	v_mul_f32_e32 v3, 0x4f7ffffe, v3
	v_cvt_u32_f32_e32 v3, v3
	v_mul_lo_u32 v22, s70, v3
	v_mul_hi_u32 v22, v3, v22
	v_add_u32_e32 v3, v3, v22
	v_mul_hi_u32 v3, v0, v3
	v_mul_lo_u32 v22, v3, s56
	v_sub_u32_e32 v22, v0, v22
	v_add_u32_e32 v23, 1, v3
	v_subrev_u32_e32 v36, s56, v22
	v_cmp_le_u32_e32 vcc, s56, v22
	v_cndmask_b32_e32 v22, v22, v36, vcc
	v_cndmask_b32_e32 v3, v3, v23, vcc
	v_add_u32_e32 v23, 1, v3
	v_cmp_le_u32_e32 vcc, s56, v22
	v_cndmask_b32_e32 v22, v3, v23, vcc
	v_mov_b32_e32 v23, v2
.LBB23_59:                              ;   in Loop: Header=BB23_3 Depth=1
	s_or_b64 exec, exec, s[0:1]
	v_mad_u64_u32 v[36:37], s[0:1], s87, v22, v[0:1]
	v_mul_lo_u32 v3, s87, v23
	v_mul_lo_u32 v38, s88, v22
	v_add3_u32 v3, v38, v37, v3
	v_mul_lo_u32 v38, v36, s31
	v_mul_lo_u32 v3, v3, s30
	v_mad_u64_u32 v[36:37], s[0:1], v36, s30, 0
	v_add3_u32 v37, v37, v38, v3
	v_mul_lo_u32 v3, v23, s28
	v_mul_lo_u32 v38, v22, s29
	v_mad_u64_u32 v[22:23], s[0:1], v22, s28, 0
	v_add3_u32 v23, v23, v38, v3
	v_lshlrev_b64 v[22:23], 2, v[22:23]
	v_mov_b32_e32 v3, s55
	v_add_co_u32_e32 v38, vcc, s54, v22
	v_addc_co_u32_e32 v3, vcc, v3, v23, vcc
	v_lshlrev_b64 v[22:23], 2, v[36:37]
	v_add_co_u32_e32 v22, vcc, v38, v22
	v_addc_co_u32_e32 v23, vcc, v3, v23, vcc
	global_load_dword v3, v[22:23], off
	s_waitcnt vmcnt(1)
	v_cmp_nlt_f32_e64 s[0:1], |v34|, s89
                                        ; implicit-def: $vgpr22
	s_and_saveexec_b64 s[70:71], s[0:1]
	s_xor_b64 s[0:1], exec, s[70:71]
	s_cbranch_execz .LBB23_61
.LBB23_60:                              ;   in Loop: Header=BB23_3 Depth=1
	v_add_f32_e64 v22, |v34|, |v34|
	v_mul_f32_e32 v23, 0x3fb8aa3b, v22
	v_rndne_f32_e32 v36, v23
	v_sub_f32_e32 v37, v23, v36
	v_fma_f32 v23, v22, s90, -v23
	v_fmac_f32_e32 v23, 0x32a5705f, v22
	v_add_f32_e32 v23, v37, v23
	v_cvt_i32_f32_e32 v36, v36
	v_exp_f32_e32 v23, v23
	v_cmp_ngt_f32_e32 vcc, s91, v22
	v_ldexp_f32 v23, v23, v36
	v_cndmask_b32_e32 v23, 0, v23, vcc
	v_cmp_nlt_f32_e32 vcc, s92, v22
	v_cndmask_b32_e32 v22, v28, v23, vcc
	v_add_f32_e32 v22, 1.0, v22
	v_rcp_f32_e32 v22, v22
	v_fma_f32 v22, v22, -2.0, 1.0
.LBB23_61:                              ;   in Loop: Header=BB23_3 Depth=1
	s_andn2_saveexec_b64 s[0:1], s[0:1]
	s_cbranch_execz .LBB23_2
; %bb.62:                               ;   in Loop: Header=BB23_3 Depth=1
	v_mul_f32_e32 v22, v34, v34
	v_mov_b32_e32 v23, 0x3ca908c9
	v_fmac_f32_e32 v23, 0xbbbac73d, v22
	v_fma_f32 v23, v22, v23, v24
	v_fma_f32 v23, v22, v23, v25
	;; [unrolled: 1-line block ×3, first 2 shown]
	v_mul_f32_e64 v23, |v34|, v23
	v_fma_f32 v22, v22, v23, |v34|
	s_branch .LBB23_2
.LBB23_63:                              ;   in Loop: Header=BB23_3 Depth=1
	s_andn2_saveexec_b64 s[0:1], s[70:71]
	s_cbranch_execz .LBB23_49
.LBB23_64:                              ;   in Loop: Header=BB23_3 Depth=1
	v_cvt_f32_u32_e32 v3, s60
	s_sub_i32 s70, 0, s60
	v_rcp_iflag_f32_e32 v3, v3
	v_mul_f32_e32 v3, 0x4f7ffffe, v3
	v_cvt_u32_f32_e32 v3, v3
	v_mul_lo_u32 v20, s70, v3
	v_mul_hi_u32 v20, v3, v20
	v_add_u32_e32 v3, v3, v20
	v_mul_hi_u32 v3, v0, v3
	v_mul_lo_u32 v20, v3, s60
	v_sub_u32_e32 v20, v0, v20
	v_add_u32_e32 v21, 1, v3
	v_subrev_u32_e32 v22, s60, v20
	v_cmp_le_u32_e32 vcc, s60, v20
	v_cndmask_b32_e32 v20, v20, v22, vcc
	v_cndmask_b32_e32 v3, v3, v21, vcc
	v_add_u32_e32 v21, 1, v3
	v_cmp_le_u32_e32 vcc, s60, v20
	v_cndmask_b32_e32 v20, v3, v21, vcc
	v_mov_b32_e32 v21, v2
	s_or_b64 exec, exec, s[0:1]
	s_andn2_b64 vcc, exec, s[62:63]
	s_cbranch_vccz .LBB23_50
.LBB23_65:                              ;   in Loop: Header=BB23_3 Depth=1
	v_mov_b32_e32 v35, 0
	s_andn2_b64 vcc, exec, s[64:65]
	s_cbranch_vccz .LBB23_55
.LBB23_66:                              ;   in Loop: Header=BB23_3 Depth=1
	v_mov_b32_e32 v3, 0
	s_waitcnt vmcnt(0)
	v_cmp_nlt_f32_e64 s[0:1], |v34|, s89
                                        ; implicit-def: $vgpr22
	s_and_saveexec_b64 s[70:71], s[0:1]
	s_xor_b64 s[0:1], exec, s[70:71]
	s_cbranch_execz .LBB23_61
	s_branch .LBB23_60
.LBB23_67:
	s_endpgm
	.section	.rodata,"a",@progbits
	.p2align	6, 0x0
	.amdhsa_kernel _ZN2at6native12_GLOBAL__N_16kernel18lstm_cell_backwardIfflLi2EEEvNS_4cuda6detail10TensorInfoIT_T1_EES9_S9_S9_S9_S9_S9_S8_S8_
		.amdhsa_group_segment_fixed_size 0
		.amdhsa_private_segment_fixed_size 0
		.amdhsa_kernarg_size 3184
		.amdhsa_user_sgpr_count 6
		.amdhsa_user_sgpr_private_segment_buffer 1
		.amdhsa_user_sgpr_dispatch_ptr 0
		.amdhsa_user_sgpr_queue_ptr 0
		.amdhsa_user_sgpr_kernarg_segment_ptr 1
		.amdhsa_user_sgpr_dispatch_id 0
		.amdhsa_user_sgpr_flat_scratch_init 0
		.amdhsa_user_sgpr_kernarg_preload_length 0
		.amdhsa_user_sgpr_kernarg_preload_offset 0
		.amdhsa_user_sgpr_private_segment_size 0
		.amdhsa_uses_dynamic_stack 0
		.amdhsa_system_sgpr_private_segment_wavefront_offset 0
		.amdhsa_system_sgpr_workgroup_id_x 1
		.amdhsa_system_sgpr_workgroup_id_y 0
		.amdhsa_system_sgpr_workgroup_id_z 0
		.amdhsa_system_sgpr_workgroup_info 0
		.amdhsa_system_vgpr_workitem_id 0
		.amdhsa_next_free_vgpr 44
		.amdhsa_next_free_sgpr 94
		.amdhsa_accum_offset 44
		.amdhsa_reserve_vcc 1
		.amdhsa_reserve_flat_scratch 0
		.amdhsa_float_round_mode_32 0
		.amdhsa_float_round_mode_16_64 0
		.amdhsa_float_denorm_mode_32 3
		.amdhsa_float_denorm_mode_16_64 3
		.amdhsa_dx10_clamp 1
		.amdhsa_ieee_mode 1
		.amdhsa_fp16_overflow 0
		.amdhsa_tg_split 0
		.amdhsa_exception_fp_ieee_invalid_op 0
		.amdhsa_exception_fp_denorm_src 0
		.amdhsa_exception_fp_ieee_div_zero 0
		.amdhsa_exception_fp_ieee_overflow 0
		.amdhsa_exception_fp_ieee_underflow 0
		.amdhsa_exception_fp_ieee_inexact 0
		.amdhsa_exception_int_div_zero 0
	.end_amdhsa_kernel
	.section	.text._ZN2at6native12_GLOBAL__N_16kernel18lstm_cell_backwardIfflLi2EEEvNS_4cuda6detail10TensorInfoIT_T1_EES9_S9_S9_S9_S9_S9_S8_S8_,"axG",@progbits,_ZN2at6native12_GLOBAL__N_16kernel18lstm_cell_backwardIfflLi2EEEvNS_4cuda6detail10TensorInfoIT_T1_EES9_S9_S9_S9_S9_S9_S8_S8_,comdat
.Lfunc_end23:
	.size	_ZN2at6native12_GLOBAL__N_16kernel18lstm_cell_backwardIfflLi2EEEvNS_4cuda6detail10TensorInfoIT_T1_EES9_S9_S9_S9_S9_S9_S8_S8_, .Lfunc_end23-_ZN2at6native12_GLOBAL__N_16kernel18lstm_cell_backwardIfflLi2EEEvNS_4cuda6detail10TensorInfoIT_T1_EES9_S9_S9_S9_S9_S9_S8_S8_
                                        ; -- End function
	.section	.AMDGPU.csdata,"",@progbits
; Kernel info:
; codeLenInByte = 14160
; NumSgprs: 98
; NumVgprs: 44
; NumAgprs: 0
; TotalNumVgprs: 44
; ScratchSize: 0
; MemoryBound: 0
; FloatMode: 240
; IeeeMode: 1
; LDSByteSize: 0 bytes/workgroup (compile time only)
; SGPRBlocks: 12
; VGPRBlocks: 5
; NumSGPRsForWavesPerEU: 98
; NumVGPRsForWavesPerEU: 44
; AccumOffset: 44
; Occupancy: 8
; WaveLimiterHint : 1
; COMPUTE_PGM_RSRC2:SCRATCH_EN: 0
; COMPUTE_PGM_RSRC2:USER_SGPR: 6
; COMPUTE_PGM_RSRC2:TRAP_HANDLER: 0
; COMPUTE_PGM_RSRC2:TGID_X_EN: 1
; COMPUTE_PGM_RSRC2:TGID_Y_EN: 0
; COMPUTE_PGM_RSRC2:TGID_Z_EN: 0
; COMPUTE_PGM_RSRC2:TIDIG_COMP_CNT: 0
; COMPUTE_PGM_RSRC3_GFX90A:ACCUM_OFFSET: 10
; COMPUTE_PGM_RSRC3_GFX90A:TG_SPLIT: 0
	.section	.text._ZN2at6native12_GLOBAL__N_16kernel18lstm_cell_backwardIN3c104HalfEfiLi1EEEvNS_4cuda6detail10TensorInfoIT_T1_EESB_SB_SB_SB_SB_SB_SA_SA_,"axG",@progbits,_ZN2at6native12_GLOBAL__N_16kernel18lstm_cell_backwardIN3c104HalfEfiLi1EEEvNS_4cuda6detail10TensorInfoIT_T1_EESB_SB_SB_SB_SB_SB_SA_SA_,comdat
	.globl	_ZN2at6native12_GLOBAL__N_16kernel18lstm_cell_backwardIN3c104HalfEfiLi1EEEvNS_4cuda6detail10TensorInfoIT_T1_EESB_SB_SB_SB_SB_SB_SA_SA_ ; -- Begin function _ZN2at6native12_GLOBAL__N_16kernel18lstm_cell_backwardIN3c104HalfEfiLi1EEEvNS_4cuda6detail10TensorInfoIT_T1_EESB_SB_SB_SB_SB_SB_SA_SA_
	.p2align	8
	.type	_ZN2at6native12_GLOBAL__N_16kernel18lstm_cell_backwardIN3c104HalfEfiLi1EEEvNS_4cuda6detail10TensorInfoIT_T1_EESB_SB_SB_SB_SB_SB_SA_SA_,@function
_ZN2at6native12_GLOBAL__N_16kernel18lstm_cell_backwardIN3c104HalfEfiLi1EEEvNS_4cuda6detail10TensorInfoIT_T1_EESB_SB_SB_SB_SB_SB_SA_SA_: ; @_ZN2at6native12_GLOBAL__N_16kernel18lstm_cell_backwardIN3c104HalfEfiLi1EEEvNS_4cuda6detail10TensorInfoIT_T1_EESB_SB_SB_SB_SB_SB_SA_SA_
; %bb.0:
	s_load_dword s7, s[4:5], 0x5fc
	s_load_dwordx2 s[2:3], s[4:5], 0x5e8
	s_add_u32 s0, s4, 0x5f0
	s_addc_u32 s1, s5, 0
	s_waitcnt lgkmcnt(0)
	s_and_b32 s22, s7, 0xffff
	s_mul_i32 s6, s6, s22
	v_add_u32_e32 v0, s6, v0
	v_cmp_gt_i32_e32 vcc, s3, v0
	s_and_saveexec_b64 s[6:7], vcc
	s_cbranch_execz .LBB24_12
; %bb.1:
	s_load_dwordx2 s[6:7], s[4:5], 0x360
	s_load_dword s23, s[4:5], 0x3cc
	s_load_dwordx2 s[8:9], s[4:5], 0x438
	s_load_dwordx2 s[10:11], s[4:5], 0x0
	s_load_dword s24, s[4:5], 0x6c
	s_load_dwordx2 s[12:13], s[4:5], 0xd8
	s_load_dword s25, s[4:5], 0x144
	s_load_dword s35, s[4:5], 0x4a4
	s_waitcnt lgkmcnt(0)
	s_cmp_lg_u64 s[6:7], 0
	s_cselect_b64 s[36:37], -1, 0
	s_cmp_lg_u64 s[8:9], 0
	s_cselect_b64 s[14:15], -1, 0
	s_abs_i32 s26, s2
	v_cvt_f32_u32_e32 v1, s26
	s_load_dwordx2 s[16:17], s[4:5], 0x1b0
	s_load_dword s30, s[4:5], 0x21c
	s_load_dwordx2 s[18:19], s[4:5], 0x288
	s_load_dword s31, s[4:5], 0x2f4
	s_load_dword s27, s[0:1], 0x0
	s_load_dwordx2 s[20:21], s[4:5], 0x510
	s_nop 0
	s_load_dword s0, s[4:5], 0x57c
	s_sub_i32 s1, 0, s26
	v_rcp_iflag_f32_e32 v1, v1
	v_cndmask_b32_e64 v3, 0, 1, s[36:37]
	s_waitcnt lgkmcnt(0)
	s_mul_i32 s27, s27, s22
	s_mov_b64 s[4:5], 0
	v_mul_f32_e32 v1, 0x4f7ffffe, v1
	v_cvt_u32_f32_e32 v1, v1
	s_ashr_i32 s28, s2, 31
	s_mul_i32 s29, s2, 3
	v_mul_lo_u32 v4, v0, s31
	v_mul_lo_u32 v2, s1, v1
	v_mul_hi_u32 v2, v1, v2
	v_add_u32_e32 v1, v1, v2
	v_mul_lo_u32 v2, v0, s30
	s_mul_i32 s30, s27, s30
	s_mul_i32 s31, s27, s31
	v_mul_lo_u32 v6, v0, s0
	s_mul_i32 s33, s27, s0
	v_mul_lo_u32 v8, v0, s23
	;; [unrolled: 2-line block ×3, first 2 shown]
	s_mul_i32 s35, s27, s35
	v_mov_b32_e32 v18, s11
	v_mov_b32_e32 v19, s17
	;; [unrolled: 1-line block ×3, first 2 shown]
	v_cmp_ne_u32_e64 s[0:1], 1, v3
	s_mov_b32 s11, 0x3f200000
	s_mov_b32 s17, 0x3fb8aa3b
	;; [unrolled: 1-line block ×4, first 2 shown]
	v_mov_b32_e32 v21, 0xbd5c1c4e
	v_mov_b32_e32 v22, 0x3e088382
	;; [unrolled: 1-line block ×3, first 2 shown]
	s_brev_b32 s37, -2
	s_mov_b32 s38, 1.0
	v_mov_b32_e32 v24, 0x7f800000
	s_branch .LBB24_3
.LBB24_2:                               ;   in Loop: Header=BB24_3 Depth=1
	s_or_b64 exec, exec, s[22:23]
	v_mul_lo_u32 v28, v12, s25
	v_ashrrev_i32_e32 v29, 31, v28
	v_lshlrev_b64 v[28:29], 1, v[28:29]
	v_mul_lo_u32 v30, v7, s25
	v_mov_b32_e32 v12, s13
	v_add_co_u32_e32 v28, vcc, s12, v28
	v_ashrrev_i32_e32 v31, 31, v30
	v_addc_co_u32_e32 v29, vcc, v12, v29, vcc
	v_lshlrev_b64 v[30:31], 1, v[30:31]
	v_mul_lo_u32 v32, v14, s25
	v_add_co_u32_e32 v30, vcc, s12, v30
	v_ashrrev_i32_e32 v33, 31, v32
	v_addc_co_u32_e32 v31, vcc, v12, v31, vcc
	v_lshlrev_b64 v[32:33], 1, v[32:33]
	v_mul_lo_u32 v34, v16, s25
	v_add_co_u32_e32 v32, vcc, s12, v32
	v_ashrrev_i32_e32 v35, 31, v34
	v_addc_co_u32_e32 v33, vcc, v12, v33, vcc
	v_lshlrev_b64 v[34:35], 1, v[34:35]
	v_add_co_u32_e32 v34, vcc, s12, v34
	v_addc_co_u32_e32 v35, vcc, v12, v35, vcc
	v_ashrrev_i32_e32 v7, 31, v6
	v_cvt_f32_f16_e32 v12, v15
	v_lshlrev_b64 v[36:37], 1, v[6:7]
	v_mov_b32_e32 v7, s21
	v_add_co_u32_e32 v36, vcc, s20, v36
	v_cvt_f32_f16_e32 v14, v25
	v_addc_co_u32_e32 v37, vcc, v7, v37, vcc
	v_bfi_b32 v7, s37, v26, v11
	v_mul_f32_e32 v11, v9, v7
	v_mul_f32_e32 v9, v9, v12
	v_fma_f32 v7, -v7, v7, 1.0
	v_fmac_f32_e32 v5, v9, v7
	v_cvt_f32_f16_e32 v7, v17
	v_cvt_f32_f16_e32 v3, v3
	v_mul_f32_e32 v9, v5, v14
	v_cvt_f32_f16_e32 v14, v13
	v_mul_f32_e32 v16, v5, v7
	v_sub_f32_e32 v7, 1.0, v7
	v_mul_f32_e32 v3, v5, v3
	v_mul_f32_e32 v7, v7, v9
	v_sub_f32_e32 v9, 1.0, v14
	v_mul_f32_e32 v3, v9, v3
	v_fma_mix_f32 v9, -v25, v25, s38 op_sel_hi:[1,1,0]
	v_sub_f32_e32 v12, 1.0, v12
	v_fma_mixlo_f16 v7, v7, v17, 0 op_sel_hi:[0,1,0]
	v_fma_mixlo_f16 v3, v3, v13, 0 op_sel_hi:[0,1,0]
	v_mul_f32_e32 v11, v12, v11
	global_store_short v[28:29], v7, off
	global_store_short v[30:31], v3, off
	v_fma_mixlo_f16 v3, v9, v16, 0
	v_add_u32_e32 v0, s27, v0
	global_store_short v[32:33], v3, off
	v_fma_mixlo_f16 v3, v11, v15, 0 op_sel_hi:[0,1,0]
	v_cmp_le_i32_e32 vcc, s3, v0
	global_store_short v[34:35], v3, off
	v_fma_mixlo_f16 v3, v5, v13, 0 op_sel_hi:[0,1,0]
	v_add_u32_e32 v2, s30, v2
	v_add_u32_e32 v4, s31, v4
	;; [unrolled: 1-line block ×4, first 2 shown]
	s_or_b64 s[4:5], vcc, s[4:5]
	v_add_u32_e32 v10, s35, v10
	global_store_short v[36:37], v3, off
	s_andn2_b64 exec, exec, s[4:5]
	s_cbranch_execz .LBB24_12
.LBB24_3:                               ; =>This Inner Loop Header: Depth=1
	v_sub_u32_e32 v5, 0, v0
	v_max_i32_e32 v5, v0, v5
	v_mul_hi_u32 v7, v5, v1
	v_mul_lo_u32 v9, v7, s26
	v_sub_u32_e32 v5, v5, v9
	v_add_u32_e32 v9, 1, v7
	v_cmp_le_u32_e32 vcc, s26, v5
	v_cndmask_b32_e32 v7, v7, v9, vcc
	v_subrev_u32_e32 v9, s26, v5
	v_cndmask_b32_e32 v5, v5, v9, vcc
	v_ashrrev_i32_e32 v3, 31, v0
	v_add_u32_e32 v9, 1, v7
	v_cmp_le_u32_e32 vcc, s26, v5
	v_xor_b32_e32 v3, s28, v3
	v_cndmask_b32_e32 v5, v7, v9, vcc
	v_xor_b32_e32 v5, v5, v3
	v_sub_u32_e32 v7, v5, v3
	v_mad_u64_u32 v[12:13], s[22:23], s29, v7, v[0:1]
	v_lshl_add_u32 v5, v5, 1, v5
	v_mul_i32_i24_e32 v3, 3, v3
	v_mul_lo_u32 v14, v12, s24
	v_sub_u32_e32 v3, v5, v3
	v_ashrrev_i32_e32 v15, 31, v14
	v_mul_lo_u32 v5, s2, v3
	v_lshlrev_b64 v[14:15], 1, v[14:15]
	v_add3_u32 v7, v5, s2, v0
	v_add_co_u32_e32 v26, vcc, s10, v14
	v_mul_lo_u32 v14, v7, s24
	v_addc_co_u32_e32 v27, vcc, v18, v15, vcc
	v_ashrrev_i32_e32 v15, 31, v14
	v_lshlrev_b64 v[14:15], 1, v[14:15]
	v_add_co_u32_e32 v28, vcc, s10, v14
	v_add_u32_e32 v5, 2, v3
	v_addc_co_u32_e32 v29, vcc, v18, v15, vcc
	v_mad_u64_u32 v[14:15], s[22:23], s2, v5, v[0:1]
	v_mul_lo_u32 v16, v14, s24
	v_ashrrev_i32_e32 v17, 31, v16
	v_lshlrev_b64 v[16:17], 1, v[16:17]
	v_add_co_u32_e32 v30, vcc, s10, v16
	v_add_u32_e32 v3, 3, v3
	v_addc_co_u32_e32 v31, vcc, v18, v17, vcc
	v_mad_u64_u32 v[16:17], s[22:23], s2, v3, v[0:1]
	v_mul_lo_u32 v32, v16, s24
	v_ashrrev_i32_e32 v33, 31, v32
	v_lshlrev_b64 v[32:33], 1, v[32:33]
	v_add_co_u32_e32 v32, vcc, s10, v32
	v_ashrrev_i32_e32 v3, 31, v2
	v_addc_co_u32_e32 v33, vcc, v18, v33, vcc
	global_load_ushort v17, v[26:27], off
	global_load_ushort v13, v[28:29], off
	;; [unrolled: 1-line block ×4, first 2 shown]
	v_lshlrev_b64 v[26:27], 1, v[2:3]
	v_add_co_u32_e32 v26, vcc, s16, v26
	v_addc_co_u32_e32 v27, vcc, v19, v27, vcc
	v_ashrrev_i32_e32 v5, 31, v4
	global_load_ushort v3, v[26:27], off
	v_lshlrev_b64 v[26:27], 1, v[4:5]
	v_add_co_u32_e32 v26, vcc, s18, v26
	v_addc_co_u32_e32 v27, vcc, v20, v27, vcc
	global_load_ushort v26, v[26:27], off
	s_and_b64 vcc, exec, s[0:1]
	v_mov_b32_e32 v9, 0
	s_cbranch_vccnz .LBB24_5
; %bb.4:                                ;   in Loop: Header=BB24_3 Depth=1
	v_ashrrev_i32_e32 v9, 31, v8
	v_lshlrev_b64 v[28:29], 1, v[8:9]
	v_mov_b32_e32 v5, s7
	v_add_co_u32_e32 v28, vcc, s6, v28
	v_addc_co_u32_e32 v29, vcc, v5, v29, vcc
	global_load_ushort v5, v[28:29], off
	s_waitcnt vmcnt(0)
	v_cvt_f32_f16_e32 v9, v5
.LBB24_5:                               ;   in Loop: Header=BB24_3 Depth=1
	s_andn2_b64 vcc, exec, s[14:15]
	s_cbranch_vccnz .LBB24_7
; %bb.6:                                ;   in Loop: Header=BB24_3 Depth=1
	v_ashrrev_i32_e32 v11, 31, v10
	v_lshlrev_b64 v[28:29], 1, v[10:11]
	v_mov_b32_e32 v5, s9
	v_add_co_u32_e32 v28, vcc, s8, v28
	v_addc_co_u32_e32 v29, vcc, v5, v29, vcc
	global_load_ushort v5, v[28:29], off
	s_waitcnt vmcnt(0)
	v_cvt_f32_f16_e32 v5, v5
	s_branch .LBB24_8
.LBB24_7:                               ;   in Loop: Header=BB24_3 Depth=1
	v_mov_b32_e32 v5, 0
.LBB24_8:                               ;   in Loop: Header=BB24_3 Depth=1
	s_waitcnt vmcnt(0)
	v_cvt_f32_f16_e32 v11, v26
                                        ; implicit-def: $vgpr26
	v_cmp_nlt_f32_e64 s[22:23], |v11|, s11
	s_and_saveexec_b64 s[40:41], s[22:23]
	s_xor_b64 s[22:23], exec, s[40:41]
	s_cbranch_execz .LBB24_10
; %bb.9:                                ;   in Loop: Header=BB24_3 Depth=1
	v_add_f32_e64 v26, |v11|, |v11|
	v_mul_f32_e32 v27, 0x3fb8aa3b, v26
	v_rndne_f32_e32 v28, v27
	v_sub_f32_e32 v29, v27, v28
	v_fma_f32 v27, v26, s17, -v27
	v_fmac_f32_e32 v27, 0x32a5705f, v26
	v_add_f32_e32 v27, v29, v27
	v_cvt_i32_f32_e32 v28, v28
	v_exp_f32_e32 v27, v27
	v_cmp_ngt_f32_e32 vcc, s19, v26
	v_ldexp_f32 v27, v27, v28
	v_cndmask_b32_e32 v27, 0, v27, vcc
	v_cmp_nlt_f32_e32 vcc, s36, v26
	v_cndmask_b32_e32 v26, v24, v27, vcc
	v_add_f32_e32 v26, 1.0, v26
	v_rcp_f32_e32 v26, v26
	v_fma_f32 v26, v26, -2.0, 1.0
.LBB24_10:                              ;   in Loop: Header=BB24_3 Depth=1
	s_andn2_saveexec_b64 s[22:23], s[22:23]
	s_cbranch_execz .LBB24_2
; %bb.11:                               ;   in Loop: Header=BB24_3 Depth=1
	v_mul_f32_e32 v26, v11, v11
	v_mov_b32_e32 v27, 0x3ca908c9
	v_fmac_f32_e32 v27, 0xbbbac73d, v26
	v_fma_f32 v27, v26, v27, v21
	v_fma_f32 v27, v26, v27, v22
	;; [unrolled: 1-line block ×3, first 2 shown]
	v_mul_f32_e64 v27, |v11|, v27
	v_fma_f32 v26, v26, v27, |v11|
	s_branch .LBB24_2
.LBB24_12:
	s_endpgm
	.section	.rodata,"a",@progbits
	.p2align	6, 0x0
	.amdhsa_kernel _ZN2at6native12_GLOBAL__N_16kernel18lstm_cell_backwardIN3c104HalfEfiLi1EEEvNS_4cuda6detail10TensorInfoIT_T1_EESB_SB_SB_SB_SB_SB_SA_SA_
		.amdhsa_group_segment_fixed_size 0
		.amdhsa_private_segment_fixed_size 0
		.amdhsa_kernarg_size 1776
		.amdhsa_user_sgpr_count 6
		.amdhsa_user_sgpr_private_segment_buffer 1
		.amdhsa_user_sgpr_dispatch_ptr 0
		.amdhsa_user_sgpr_queue_ptr 0
		.amdhsa_user_sgpr_kernarg_segment_ptr 1
		.amdhsa_user_sgpr_dispatch_id 0
		.amdhsa_user_sgpr_flat_scratch_init 0
		.amdhsa_user_sgpr_kernarg_preload_length 0
		.amdhsa_user_sgpr_kernarg_preload_offset 0
		.amdhsa_user_sgpr_private_segment_size 0
		.amdhsa_uses_dynamic_stack 0
		.amdhsa_system_sgpr_private_segment_wavefront_offset 0
		.amdhsa_system_sgpr_workgroup_id_x 1
		.amdhsa_system_sgpr_workgroup_id_y 0
		.amdhsa_system_sgpr_workgroup_id_z 0
		.amdhsa_system_sgpr_workgroup_info 0
		.amdhsa_system_vgpr_workitem_id 0
		.amdhsa_next_free_vgpr 38
		.amdhsa_next_free_sgpr 42
		.amdhsa_accum_offset 40
		.amdhsa_reserve_vcc 1
		.amdhsa_reserve_flat_scratch 0
		.amdhsa_float_round_mode_32 0
		.amdhsa_float_round_mode_16_64 0
		.amdhsa_float_denorm_mode_32 3
		.amdhsa_float_denorm_mode_16_64 3
		.amdhsa_dx10_clamp 1
		.amdhsa_ieee_mode 1
		.amdhsa_fp16_overflow 0
		.amdhsa_tg_split 0
		.amdhsa_exception_fp_ieee_invalid_op 0
		.amdhsa_exception_fp_denorm_src 0
		.amdhsa_exception_fp_ieee_div_zero 0
		.amdhsa_exception_fp_ieee_overflow 0
		.amdhsa_exception_fp_ieee_underflow 0
		.amdhsa_exception_fp_ieee_inexact 0
		.amdhsa_exception_int_div_zero 0
	.end_amdhsa_kernel
	.section	.text._ZN2at6native12_GLOBAL__N_16kernel18lstm_cell_backwardIN3c104HalfEfiLi1EEEvNS_4cuda6detail10TensorInfoIT_T1_EESB_SB_SB_SB_SB_SB_SA_SA_,"axG",@progbits,_ZN2at6native12_GLOBAL__N_16kernel18lstm_cell_backwardIN3c104HalfEfiLi1EEEvNS_4cuda6detail10TensorInfoIT_T1_EESB_SB_SB_SB_SB_SB_SA_SA_,comdat
.Lfunc_end24:
	.size	_ZN2at6native12_GLOBAL__N_16kernel18lstm_cell_backwardIN3c104HalfEfiLi1EEEvNS_4cuda6detail10TensorInfoIT_T1_EESB_SB_SB_SB_SB_SB_SA_SA_, .Lfunc_end24-_ZN2at6native12_GLOBAL__N_16kernel18lstm_cell_backwardIN3c104HalfEfiLi1EEEvNS_4cuda6detail10TensorInfoIT_T1_EESB_SB_SB_SB_SB_SB_SA_SA_
                                        ; -- End function
	.section	.AMDGPU.csdata,"",@progbits
; Kernel info:
; codeLenInByte = 1436
; NumSgprs: 46
; NumVgprs: 38
; NumAgprs: 0
; TotalNumVgprs: 38
; ScratchSize: 0
; MemoryBound: 0
; FloatMode: 240
; IeeeMode: 1
; LDSByteSize: 0 bytes/workgroup (compile time only)
; SGPRBlocks: 5
; VGPRBlocks: 4
; NumSGPRsForWavesPerEU: 46
; NumVGPRsForWavesPerEU: 38
; AccumOffset: 40
; Occupancy: 8
; WaveLimiterHint : 1
; COMPUTE_PGM_RSRC2:SCRATCH_EN: 0
; COMPUTE_PGM_RSRC2:USER_SGPR: 6
; COMPUTE_PGM_RSRC2:TRAP_HANDLER: 0
; COMPUTE_PGM_RSRC2:TGID_X_EN: 1
; COMPUTE_PGM_RSRC2:TGID_Y_EN: 0
; COMPUTE_PGM_RSRC2:TGID_Z_EN: 0
; COMPUTE_PGM_RSRC2:TIDIG_COMP_CNT: 0
; COMPUTE_PGM_RSRC3_GFX90A:ACCUM_OFFSET: 9
; COMPUTE_PGM_RSRC3_GFX90A:TG_SPLIT: 0
	.section	.text._ZN2at6native12_GLOBAL__N_16kernel18lstm_cell_backwardIN3c104HalfEfiLi2EEEvNS_4cuda6detail10TensorInfoIT_T1_EESB_SB_SB_SB_SB_SB_SA_SA_,"axG",@progbits,_ZN2at6native12_GLOBAL__N_16kernel18lstm_cell_backwardIN3c104HalfEfiLi2EEEvNS_4cuda6detail10TensorInfoIT_T1_EESB_SB_SB_SB_SB_SB_SA_SA_,comdat
	.globl	_ZN2at6native12_GLOBAL__N_16kernel18lstm_cell_backwardIN3c104HalfEfiLi2EEEvNS_4cuda6detail10TensorInfoIT_T1_EESB_SB_SB_SB_SB_SB_SA_SA_ ; -- Begin function _ZN2at6native12_GLOBAL__N_16kernel18lstm_cell_backwardIN3c104HalfEfiLi2EEEvNS_4cuda6detail10TensorInfoIT_T1_EESB_SB_SB_SB_SB_SB_SA_SA_
	.p2align	8
	.type	_ZN2at6native12_GLOBAL__N_16kernel18lstm_cell_backwardIN3c104HalfEfiLi2EEEvNS_4cuda6detail10TensorInfoIT_T1_EESB_SB_SB_SB_SB_SB_SA_SA_,@function
_ZN2at6native12_GLOBAL__N_16kernel18lstm_cell_backwardIN3c104HalfEfiLi2EEEvNS_4cuda6detail10TensorInfoIT_T1_EESB_SB_SB_SB_SB_SB_SA_SA_: ; @_ZN2at6native12_GLOBAL__N_16kernel18lstm_cell_backwardIN3c104HalfEfiLi2EEEvNS_4cuda6detail10TensorInfoIT_T1_EESB_SB_SB_SB_SB_SB_SA_SA_
; %bb.0:
	s_load_dword s2, s[4:5], 0x5fc
	s_load_dwordx2 s[0:1], s[4:5], 0x5e8
	s_add_u32 s30, s4, 0x5f0
	s_addc_u32 s31, s5, 0
	s_waitcnt lgkmcnt(0)
	s_and_b32 s38, s2, 0xffff
	s_mul_i32 s6, s6, s38
	v_add_u32_e32 v0, s6, v0
	v_cmp_gt_i32_e32 vcc, s1, v0
	s_and_saveexec_b64 s[2:3], vcc
	s_cbranch_execz .LBB25_11
; %bb.1:
	s_load_dwordx2 s[2:3], s[4:5], 0x0
	s_load_dword s33, s[4:5], 0xc
	s_load_dwordx2 s[6:7], s[4:5], 0x6c
	s_load_dwordx2 s[8:9], s[4:5], 0xd8
	s_load_dword s40, s[4:5], 0xe4
	s_load_dwordx2 s[10:11], s[4:5], 0x144
	;; [unrolled: 3-line block ×3, first 2 shown]
	s_load_dword s62, s[4:5], 0x36c
	s_load_dwordx2 s[16:17], s[4:5], 0x3cc
	s_load_dwordx2 s[18:19], s[4:5], 0x438
	;; [unrolled: 1-line block ×4, first 2 shown]
	s_load_dword s60, s[4:5], 0x294
	s_load_dwordx2 s[24:25], s[4:5], 0x2f4
	s_waitcnt lgkmcnt(0)
	s_cmp_lg_u64 s[14:15], 0
	s_cselect_b64 s[26:27], -1, 0
	s_cmp_lg_u64 s[18:19], 0
	s_cselect_b64 s[28:29], -1, 0
	s_abs_i32 s41, s0
	v_cvt_f32_u32_e32 v1, s41
	s_load_dword s42, s[30:31], 0x0
	s_abs_i32 s43, s33
	v_cvt_f32_u32_e32 v2, s43
	v_rcp_iflag_f32_e32 v1, v1
	s_abs_i32 s45, s40
	s_waitcnt lgkmcnt(0)
	s_mul_i32 s42, s42, s38
	s_sub_i32 s38, 0, s41
	v_mul_f32_e32 v1, 0x4f7ffffe, v1
	v_cvt_u32_f32_e32 v1, v1
	v_rcp_iflag_f32_e32 v2, v2
	s_abs_i32 s47, s39
	s_abs_i32 s49, s60
	v_mul_lo_u32 v3, s38, v1
	v_mul_hi_u32 v3, v1, v3
	v_add_u32_e32 v1, v1, v3
	v_cvt_f32_u32_e32 v3, s45
	v_mul_f32_e32 v2, 0x4f7ffffe, v2
	v_cvt_u32_f32_e32 v2, v2
	s_sub_i32 s38, 0, s43
	v_rcp_iflag_f32_e32 v3, v3
	s_load_dword s63, s[4:5], 0x444
	s_load_dwordx2 s[30:31], s[4:5], 0x4a4
	s_load_dwordx2 s[34:35], s[4:5], 0x510
	s_load_dword s61, s[4:5], 0x51c
	v_mul_lo_u32 v4, s38, v2
	v_mul_hi_u32 v4, v2, v4
	v_add_u32_e32 v4, v2, v4
	v_mul_f32_e32 v2, 0x4f7ffffe, v3
	v_cvt_f32_u32_e32 v3, s47
	v_cvt_u32_f32_e32 v2, v2
	s_sub_i32 s38, 0, s45
	s_waitcnt lgkmcnt(0)
	s_abs_i32 s51, s61
	v_rcp_iflag_f32_e32 v3, v3
	v_mul_lo_u32 v5, s38, v2
	v_mul_hi_u32 v5, v2, v5
	v_add_u32_e32 v5, v2, v5
	v_mul_f32_e32 v2, 0x4f7ffffe, v3
	v_cvt_f32_u32_e32 v3, s49
	v_cvt_u32_f32_e32 v2, v2
	s_sub_i32 s38, 0, s47
	s_abs_i32 s54, s62
	v_rcp_iflag_f32_e32 v3, v3
	v_mul_lo_u32 v6, s38, v2
	v_mul_hi_u32 v6, v2, v6
	v_add_u32_e32 v6, v2, v6
	v_mul_f32_e32 v2, 0x4f7ffffe, v3
	v_cvt_f32_u32_e32 v3, s51
	v_cvt_u32_f32_e32 v2, v2
	s_sub_i32 s38, 0, s49
	s_abs_i32 s55, s63
	v_rcp_iflag_f32_e32 v3, v3
	v_mul_lo_u32 v7, s38, v2
	v_mul_hi_u32 v7, v2, v7
	v_add_u32_e32 v7, v2, v7
	v_mul_f32_e32 v2, 0x4f7ffffe, v3
	v_cvt_u32_f32_e32 v2, v2
	s_sub_i32 s38, 0, s51
	v_cvt_f32_u32_e32 v3, s54
	s_load_dwordx2 s[4:5], s[4:5], 0x57c
	v_mul_lo_u32 v8, s38, v2
	v_mul_hi_u32 v8, v2, v8
	v_add_u32_e32 v8, v2, v8
	v_cvt_f32_u32_e32 v2, s55
	v_rcp_iflag_f32_e32 v3, v3
	s_sub_i32 s38, 0, s54
	s_mov_b64 s[36:37], 0
	v_rcp_iflag_f32_e32 v2, v2
	v_mul_f32_e32 v3, 0x4f7ffffe, v3
	v_cvt_u32_f32_e32 v3, v3
	s_ashr_i32 s44, s0, 31
	v_mul_f32_e32 v2, 0x4f7ffffe, v2
	v_cvt_u32_f32_e32 v2, v2
	v_mul_lo_u32 v9, s38, v3
	v_mul_hi_u32 v9, v3, v9
	s_sub_i32 s38, 0, s55
	v_add_u32_e32 v9, v3, v9
	v_mul_lo_u32 v3, s38, v2
	v_mul_hi_u32 v3, v2, v3
	s_ashr_i32 s46, s33, 31
	s_ashr_i32 s48, s40, 31
	;; [unrolled: 1-line block ×7, first 2 shown]
	v_add_u32_e32 v10, v2, v3
	s_mul_i32 s58, s0, 3
	s_sub_i32 s59, 0, s39
	s_sub_i32 s60, 0, s60
	;; [unrolled: 1-line block ×5, first 2 shown]
	v_mov_b32_e32 v11, s3
	v_mov_b32_e32 v12, s13
	;; [unrolled: 1-line block ×3, first 2 shown]
	s_mov_b32 s3, 0x3f200000
	s_mov_b32 s13, 0x3fb8aa3b
	;; [unrolled: 1-line block ×4, first 2 shown]
	v_mov_b32_e32 v14, 0xbd5c1c4e
	v_mov_b32_e32 v15, 0x3e088382
	v_mov_b32_e32 v16, 0xbeaaaa99
	s_brev_b32 s65, -2
	s_mov_b32 s66, 1.0
	v_mov_b32_e32 v17, 0x7f800000
	s_branch .LBB25_3
.LBB25_2:                               ;   in Loop: Header=BB25_3 Depth=1
	s_or_b64 exec, exec, s[38:39]
	v_mul_hi_u32 v39, v26, v5
	v_mul_lo_u32 v40, v39, s45
	v_sub_u32_e32 v26, v26, v40
	v_add_u32_e32 v40, 1, v39
	v_cmp_le_u32_e32 vcc, s45, v26
	v_cndmask_b32_e32 v39, v39, v40, vcc
	v_subrev_u32_e32 v40, s45, v26
	v_cndmask_b32_e32 v26, v26, v40, vcc
	v_add_u32_e32 v40, 1, v39
	v_cmp_le_u32_e32 vcc, s45, v26
	v_xor_b32_e32 v3, s48, v3
	v_cndmask_b32_e32 v26, v39, v40, vcc
	v_xor_b32_e32 v26, v26, v3
	v_sub_u32_e32 v3, v26, v3
	v_mul_lo_u32 v26, v3, s40
	v_sub_u32_e32 v2, v2, v26
	v_add_u32_e32 v2, v0, v2
	v_mul_lo_u32 v2, v2, s11
	v_mad_u64_u32 v[2:3], s[38:39], v3, s10, v[2:3]
	v_ashrrev_i32_e32 v3, 31, v2
	v_lshlrev_b64 v[2:3], 1, v[2:3]
	v_xor_b32_e32 v26, s48, v28
	v_mul_hi_u32 v28, v29, v5
	v_mov_b32_e32 v39, s9
	v_add_co_u32_e32 v2, vcc, s8, v2
	v_mul_lo_u32 v40, v28, s45
	v_addc_co_u32_e32 v3, vcc, v39, v3, vcc
	v_sub_u32_e32 v29, v29, v40
	v_add_u32_e32 v40, 1, v28
	v_cmp_le_u32_e32 vcc, s45, v29
	v_cndmask_b32_e32 v28, v28, v40, vcc
	v_subrev_u32_e32 v40, s45, v29
	v_cndmask_b32_e32 v29, v29, v40, vcc
	v_add_u32_e32 v40, 1, v28
	v_cmp_le_u32_e32 vcc, s45, v29
	v_cndmask_b32_e32 v28, v28, v40, vcc
	v_xor_b32_e32 v28, v28, v26
	v_sub_u32_e32 v26, v28, v26
	v_mul_lo_u32 v28, v26, s40
	v_sub_u32_e32 v24, v24, v28
	v_add_u32_e32 v24, v0, v24
	v_mul_lo_u32 v24, v24, s11
	v_mad_u64_u32 v[28:29], s[38:39], v26, s10, v[24:25]
	v_ashrrev_i32_e32 v29, 31, v28
	v_lshlrev_b64 v[28:29], 1, v[28:29]
	v_mul_hi_u32 v26, v31, v5
	v_add_co_u32_e32 v28, vcc, s8, v28
	v_xor_b32_e32 v24, s48, v30
	v_mul_lo_u32 v30, v26, s45
	v_addc_co_u32_e32 v29, vcc, v39, v29, vcc
	v_sub_u32_e32 v30, v31, v30
	v_add_u32_e32 v31, 1, v26
	v_cmp_le_u32_e32 vcc, s45, v30
	v_cndmask_b32_e32 v26, v26, v31, vcc
	v_subrev_u32_e32 v31, s45, v30
	v_cndmask_b32_e32 v30, v30, v31, vcc
	v_add_u32_e32 v31, 1, v26
	v_cmp_le_u32_e32 vcc, s45, v30
	v_cndmask_b32_e32 v26, v26, v31, vcc
	v_xor_b32_e32 v26, v26, v24
	v_sub_u32_e32 v26, v26, v24
	v_mul_lo_u32 v24, v26, s40
	v_sub_u32_e32 v24, v25, v24
	v_add_u32_e32 v24, v0, v24
	v_mul_lo_u32 v24, v24, s11
	v_mad_u64_u32 v[24:25], s[38:39], v26, s10, v[24:25]
	v_ashrrev_i32_e32 v25, 31, v24
	v_lshlrev_b64 v[24:25], 1, v[24:25]
	v_mul_hi_u32 v30, v34, v5
	v_add_co_u32_e32 v24, vcc, s8, v24
	v_mul_lo_u32 v31, v30, s45
	v_addc_co_u32_e32 v25, vcc, v39, v25, vcc
	v_sub_u32_e32 v31, v34, v31
	v_xor_b32_e32 v26, s48, v33
	v_add_u32_e32 v33, 1, v30
	v_cmp_le_u32_e32 vcc, s45, v31
	v_cndmask_b32_e32 v30, v30, v33, vcc
	v_subrev_u32_e32 v33, s45, v31
	v_cndmask_b32_e32 v31, v31, v33, vcc
	v_add_u32_e32 v33, 1, v30
	v_cmp_le_u32_e32 vcc, s45, v31
	v_cndmask_b32_e32 v30, v30, v33, vcc
	v_xor_b32_e32 v30, v30, v26
	v_sub_u32_e32 v30, v30, v26
	v_mul_lo_u32 v26, v30, s40
	v_sub_u32_e32 v26, v27, v26
	v_add_u32_e32 v26, v0, v26
	v_mul_lo_u32 v26, v26, s11
	v_mad_u64_u32 v[26:27], s[38:39], v30, s10, v[26:27]
	v_ashrrev_i32_e32 v27, 31, v26
	v_lshlrev_b64 v[26:27], 1, v[26:27]
	v_mul_hi_u32 v30, v19, v8
	v_add_co_u32_e32 v26, vcc, s8, v26
	v_mul_lo_u32 v31, v30, s51
	v_addc_co_u32_e32 v27, vcc, v39, v27, vcc
	v_sub_u32_e32 v19, v19, v31
	v_add_u32_e32 v31, 1, v30
	v_cmp_le_u32_e32 vcc, s51, v19
	v_cndmask_b32_e32 v30, v30, v31, vcc
	v_subrev_u32_e32 v31, s51, v19
	v_cndmask_b32_e32 v19, v19, v31, vcc
	v_add_u32_e32 v31, 1, v30
	v_cmp_le_u32_e32 vcc, s51, v19
	v_xor_b32_e32 v18, s53, v18
	v_cndmask_b32_e32 v19, v30, v31, vcc
	v_xor_b32_e32 v19, v19, v18
	v_sub_u32_e32 v30, v19, v18
	v_mad_u64_u32 v[18:19], s[38:39], s61, v30, v[0:1]
	s_waitcnt lgkmcnt(0)
	v_mul_lo_u32 v18, v18, s5
	v_mad_u64_u32 v[18:19], s[38:39], v30, s4, v[18:19]
	v_ashrrev_i32_e32 v19, 31, v18
	v_cvt_f32_f16_e32 v31, v21
	v_lshlrev_b64 v[18:19], 1, v[18:19]
	v_mov_b32_e32 v30, s35
	v_add_co_u32_e32 v18, vcc, s34, v18
	v_addc_co_u32_e32 v19, vcc, v30, v19, vcc
	v_bfi_b32 v30, s65, v38, v37
	v_mul_f32_e32 v33, v36, v30
	v_mul_f32_e32 v34, v36, v31
	v_cvt_f32_f16_e32 v36, v23
	v_fma_f32 v30, -v30, v30, 1.0
	v_fmac_f32_e32 v35, v34, v30
	v_cvt_f32_f16_e32 v30, v22
	v_cvt_f32_f16_e32 v32, v32
	v_mul_f32_e32 v34, v35, v36
	v_cvt_f32_f16_e32 v36, v20
	v_mul_f32_e32 v37, v35, v30
	v_sub_f32_e32 v30, 1.0, v30
	v_mul_f32_e32 v32, v35, v32
	v_mul_f32_e32 v30, v30, v34
	v_sub_f32_e32 v34, 1.0, v36
	v_mul_f32_e32 v32, v34, v32
	v_fma_mixlo_f16 v22, v30, v22, 0 op_sel_hi:[0,1,0]
	v_fma_mix_f32 v23, -v23, v23, s66 op_sel_hi:[1,1,0]
	v_sub_f32_e32 v31, 1.0, v31
	global_store_short v[2:3], v22, off
	v_fma_mixlo_f16 v2, v32, v20, 0 op_sel_hi:[0,1,0]
	v_mul_f32_e32 v31, v31, v33
	global_store_short v[28:29], v2, off
	v_fma_mixlo_f16 v2, v23, v37, 0
	v_add_u32_e32 v0, s42, v0
	global_store_short v[24:25], v2, off
	v_fma_mixlo_f16 v2, v31, v21, 0 op_sel_hi:[0,1,0]
	v_cmp_le_i32_e32 vcc, s1, v0
	global_store_short v[26:27], v2, off
	v_fma_mixlo_f16 v2, v35, v20, 0 op_sel_hi:[0,1,0]
	s_or_b64 s[36:37], vcc, s[36:37]
	global_store_short v[18:19], v2, off
	s_andn2_b64 exec, exec, s[36:37]
	s_cbranch_execz .LBB25_11
.LBB25_3:                               ; =>This Inner Loop Header: Depth=1
	v_sub_u32_e32 v2, 0, v0
	v_max_i32_e32 v19, v0, v2
	v_mul_hi_u32 v2, v19, v1
	v_mul_lo_u32 v3, v2, s41
	v_sub_u32_e32 v3, v19, v3
	v_add_u32_e32 v20, 1, v2
	v_cmp_le_u32_e32 vcc, s41, v3
	v_cndmask_b32_e32 v2, v2, v20, vcc
	v_subrev_u32_e32 v20, s41, v3
	v_cndmask_b32_e32 v3, v3, v20, vcc
	v_ashrrev_i32_e32 v18, 31, v0
	v_add_u32_e32 v20, 1, v2
	v_cmp_le_u32_e32 vcc, s41, v3
	v_xor_b32_e32 v22, s44, v18
	v_cndmask_b32_e32 v2, v2, v20, vcc
	v_xor_b32_e32 v23, v2, v22
	v_sub_u32_e32 v2, v23, v22
	v_mul_lo_u32 v2, s58, v2
	v_add_u32_e32 v3, v0, v2
	v_ashrrev_i32_e32 v3, 31, v3
	v_add3_u32 v21, v3, v2, v0
	v_xor_b32_e32 v26, v21, v3
	v_mul_hi_u32 v21, v26, v4
	v_mul_lo_u32 v24, v21, s43
	v_sub_u32_e32 v24, v26, v24
	v_add_u32_e32 v25, 1, v21
	v_cmp_le_u32_e32 vcc, s43, v24
	v_cndmask_b32_e32 v21, v21, v25, vcc
	v_subrev_u32_e32 v25, s43, v24
	v_cndmask_b32_e32 v24, v24, v25, vcc
	v_add_u32_e32 v25, 1, v21
	v_cmp_le_u32_e32 vcc, s43, v24
	v_xor_b32_e32 v20, s46, v3
	v_cndmask_b32_e32 v21, v21, v25, vcc
	v_xor_b32_e32 v21, v21, v20
	v_lshl_add_u32 v23, v23, 1, v23
	v_mul_i32_i24_e32 v22, 3, v22
	v_sub_u32_e32 v21, v21, v20
	v_sub_u32_e32 v27, v23, v22
	v_mul_lo_u32 v20, v21, s33
	v_mul_lo_u32 v22, s0, v27
	v_sub_u32_e32 v20, v2, v20
	v_add_u32_e32 v24, s0, v22
	v_add_u32_e32 v20, v0, v20
	v_add_u32_e32 v22, v0, v24
	v_mul_lo_u32 v20, v20, s7
	v_ashrrev_i32_e32 v28, 31, v22
	v_mad_u64_u32 v[20:21], s[38:39], v21, s6, v[20:21]
	v_add3_u32 v23, v28, v24, v0
	v_ashrrev_i32_e32 v21, 31, v20
	v_xor_b32_e32 v29, v23, v28
	v_lshlrev_b64 v[20:21], 1, v[20:21]
	v_mul_hi_u32 v23, v29, v4
	v_add_co_u32_e32 v20, vcc, s2, v20
	v_mul_lo_u32 v25, v23, s43
	v_addc_co_u32_e32 v21, vcc, v11, v21, vcc
	v_sub_u32_e32 v25, v29, v25
	v_add_u32_e32 v30, 1, v23
	v_cmp_le_u32_e32 vcc, s43, v25
	v_cndmask_b32_e32 v23, v23, v30, vcc
	v_subrev_u32_e32 v30, s43, v25
	v_cndmask_b32_e32 v25, v25, v30, vcc
	v_add_u32_e32 v30, 1, v23
	v_cmp_le_u32_e32 vcc, s43, v25
	v_xor_b32_e32 v22, s46, v28
	v_cndmask_b32_e32 v23, v23, v30, vcc
	v_xor_b32_e32 v23, v23, v22
	v_sub_u32_e32 v23, v23, v22
	v_mul_lo_u32 v22, v23, s33
	v_sub_u32_e32 v22, v24, v22
	v_add_u32_e32 v22, v0, v22
	v_mul_lo_u32 v22, v22, s7
	v_mad_u64_u32 v[22:23], s[38:39], v23, s6, v[22:23]
	v_ashrrev_i32_e32 v23, 31, v22
	v_lshlrev_b64 v[22:23], 1, v[22:23]
	v_add_co_u32_e32 v36, vcc, s2, v22
	v_add_u32_e32 v22, 2, v27
	v_mul_lo_u32 v25, s0, v22
	v_add_u32_e32 v22, v0, v25
	v_ashrrev_i32_e32 v30, 31, v22
	v_addc_co_u32_e32 v37, vcc, v11, v23, vcc
	v_add3_u32 v23, v30, v25, v0
	v_xor_b32_e32 v31, v23, v30
	v_mul_hi_u32 v23, v31, v4
	v_mul_lo_u32 v32, v23, s43
	v_sub_u32_e32 v32, v31, v32
	v_add_u32_e32 v33, 1, v23
	v_cmp_le_u32_e32 vcc, s43, v32
	v_cndmask_b32_e32 v23, v23, v33, vcc
	v_subrev_u32_e32 v33, s43, v32
	v_cndmask_b32_e32 v32, v32, v33, vcc
	v_add_u32_e32 v33, 1, v23
	v_cmp_le_u32_e32 vcc, s43, v32
	v_xor_b32_e32 v22, s46, v30
	v_cndmask_b32_e32 v23, v23, v33, vcc
	v_xor_b32_e32 v23, v23, v22
	v_sub_u32_e32 v23, v23, v22
	v_mul_lo_u32 v22, v23, s33
	v_sub_u32_e32 v22, v25, v22
	v_add_u32_e32 v22, v0, v22
	v_mul_lo_u32 v22, v22, s7
	v_mad_u64_u32 v[22:23], s[38:39], v23, s6, v[22:23]
	v_ashrrev_i32_e32 v23, 31, v22
	v_lshlrev_b64 v[22:23], 1, v[22:23]
	v_add_co_u32_e32 v38, vcc, s2, v22
	v_add_u32_e32 v22, 3, v27
	v_mul_lo_u32 v27, s0, v22
	v_add_u32_e32 v22, v0, v27
	v_ashrrev_i32_e32 v33, 31, v22
	v_addc_co_u32_e32 v39, vcc, v11, v23, vcc
	v_add3_u32 v23, v33, v27, v0
	v_xor_b32_e32 v34, v23, v33
	v_mul_hi_u32 v23, v34, v4
	v_mul_lo_u32 v32, v23, s43
	v_sub_u32_e32 v32, v34, v32
	v_add_u32_e32 v35, 1, v23
	v_cmp_le_u32_e32 vcc, s43, v32
	v_cndmask_b32_e32 v23, v23, v35, vcc
	v_subrev_u32_e32 v35, s43, v32
	v_cndmask_b32_e32 v32, v32, v35, vcc
	v_add_u32_e32 v35, 1, v23
	v_cmp_le_u32_e32 vcc, s43, v32
	v_xor_b32_e32 v22, s46, v33
	v_cndmask_b32_e32 v23, v23, v35, vcc
	v_xor_b32_e32 v23, v23, v22
	v_sub_u32_e32 v23, v23, v22
	v_mul_lo_u32 v22, v23, s33
	v_sub_u32_e32 v22, v27, v22
	v_add_u32_e32 v22, v0, v22
	v_mul_lo_u32 v22, v22, s7
	v_mad_u64_u32 v[22:23], s[38:39], v23, s6, v[22:23]
	v_ashrrev_i32_e32 v23, 31, v22
	v_lshlrev_b64 v[22:23], 1, v[22:23]
	v_add_co_u32_e32 v40, vcc, s2, v22
	v_mul_hi_u32 v35, v19, v6
	v_addc_co_u32_e32 v41, vcc, v11, v23, vcc
	global_load_ushort v22, v[20:21], off
	s_nop 0
	global_load_ushort v20, v[36:37], off
	global_load_ushort v23, v[38:39], off
	;; [unrolled: 1-line block ×3, first 2 shown]
	v_mul_lo_u32 v36, v35, s47
	v_sub_u32_e32 v36, v19, v36
	v_add_u32_e32 v37, 1, v35
	v_cmp_le_u32_e32 vcc, s47, v36
	v_cndmask_b32_e32 v35, v35, v37, vcc
	v_subrev_u32_e32 v37, s47, v36
	v_cndmask_b32_e32 v36, v36, v37, vcc
	v_add_u32_e32 v37, 1, v35
	v_cmp_le_u32_e32 vcc, s47, v36
	v_xor_b32_e32 v32, s50, v18
	v_cndmask_b32_e32 v35, v35, v37, vcc
	v_xor_b32_e32 v35, v35, v32
	v_sub_u32_e32 v35, v35, v32
	v_mad_u64_u32 v[36:37], s[38:39], s59, v35, v[0:1]
	v_mul_lo_u32 v32, v36, s21
	v_mad_u64_u32 v[36:37], s[38:39], v35, s20, v[32:33]
	v_ashrrev_i32_e32 v37, 31, v36
	v_lshlrev_b64 v[36:37], 1, v[36:37]
	v_add_co_u32_e32 v36, vcc, s12, v36
	v_addc_co_u32_e32 v37, vcc, v12, v37, vcc
	global_load_ushort v32, v[36:37], off
	v_mul_hi_u32 v36, v19, v7
	v_mul_lo_u32 v37, v36, s49
	v_sub_u32_e32 v37, v19, v37
	v_add_u32_e32 v38, 1, v36
	v_cmp_le_u32_e32 vcc, s49, v37
	v_cndmask_b32_e32 v36, v36, v38, vcc
	v_subrev_u32_e32 v38, s49, v37
	v_cndmask_b32_e32 v37, v37, v38, vcc
	v_add_u32_e32 v38, 1, v36
	v_cmp_le_u32_e32 vcc, s49, v37
	v_xor_b32_e32 v35, s52, v18
	v_cndmask_b32_e32 v36, v36, v38, vcc
	v_xor_b32_e32 v36, v36, v35
	v_sub_u32_e32 v35, v36, v35
	v_mad_u64_u32 v[36:37], s[38:39], s60, v35, v[0:1]
	v_mul_lo_u32 v36, v36, s25
	v_mad_u64_u32 v[36:37], s[38:39], v35, s24, v[36:37]
	v_ashrrev_i32_e32 v37, 31, v36
	v_lshlrev_b64 v[36:37], 1, v[36:37]
	v_add_co_u32_e32 v36, vcc, s22, v36
	v_addc_co_u32_e32 v37, vcc, v13, v37, vcc
	global_load_ushort v37, v[36:37], off
	s_andn2_b64 vcc, exec, s[26:27]
	v_mov_b32_e32 v35, 0
	v_mov_b32_e32 v36, 0
	s_cbranch_vccnz .LBB25_5
; %bb.4:                                ;   in Loop: Header=BB25_3 Depth=1
	v_mul_hi_u32 v38, v19, v9
	v_mul_lo_u32 v39, v38, s54
	v_sub_u32_e32 v39, v19, v39
	v_add_u32_e32 v40, 1, v38
	v_cmp_le_u32_e32 vcc, s54, v39
	v_cndmask_b32_e32 v38, v38, v40, vcc
	v_subrev_u32_e32 v40, s54, v39
	v_cndmask_b32_e32 v39, v39, v40, vcc
	v_add_u32_e32 v40, 1, v38
	v_cmp_le_u32_e32 vcc, s54, v39
	v_xor_b32_e32 v36, s56, v18
	v_cndmask_b32_e32 v38, v38, v40, vcc
	v_xor_b32_e32 v38, v38, v36
	v_sub_u32_e32 v40, v38, v36
	v_mad_u64_u32 v[38:39], s[38:39], s62, v40, v[0:1]
	v_mul_lo_u32 v36, v38, s17
	s_waitcnt vmcnt(0)
	v_mad_u64_u32 v[38:39], s[38:39], v40, s16, v[36:37]
	v_ashrrev_i32_e32 v39, 31, v38
	v_lshlrev_b64 v[38:39], 1, v[38:39]
	v_mov_b32_e32 v36, s15
	v_add_co_u32_e32 v38, vcc, s14, v38
	v_addc_co_u32_e32 v39, vcc, v36, v39, vcc
	global_load_ushort v36, v[38:39], off
	s_waitcnt vmcnt(0)
	v_cvt_f32_f16_e32 v36, v36
.LBB25_5:                               ;   in Loop: Header=BB25_3 Depth=1
	s_andn2_b64 vcc, exec, s[28:29]
	s_cbranch_vccnz .LBB25_7
; %bb.6:                                ;   in Loop: Header=BB25_3 Depth=1
	v_mul_hi_u32 v38, v19, v10
	v_mul_lo_u32 v39, v38, s55
	v_sub_u32_e32 v39, v19, v39
	v_add_u32_e32 v40, 1, v38
	v_cmp_le_u32_e32 vcc, s55, v39
	v_cndmask_b32_e32 v38, v38, v40, vcc
	v_subrev_u32_e32 v40, s55, v39
	v_cndmask_b32_e32 v39, v39, v40, vcc
	v_add_u32_e32 v40, 1, v38
	v_cmp_le_u32_e32 vcc, s55, v39
	v_xor_b32_e32 v35, s57, v18
	v_cndmask_b32_e32 v38, v38, v40, vcc
	v_xor_b32_e32 v38, v38, v35
	v_sub_u32_e32 v35, v38, v35
	v_mad_u64_u32 v[38:39], s[38:39], s63, v35, v[0:1]
	v_mul_lo_u32 v38, v38, s31
	v_mad_u64_u32 v[38:39], s[38:39], v35, s30, v[38:39]
	v_ashrrev_i32_e32 v39, 31, v38
	v_lshlrev_b64 v[38:39], 1, v[38:39]
	v_mov_b32_e32 v35, s19
	v_add_co_u32_e32 v38, vcc, s18, v38
	v_addc_co_u32_e32 v39, vcc, v35, v39, vcc
	global_load_ushort v35, v[38:39], off
	s_waitcnt vmcnt(0)
	v_cvt_f32_f16_e32 v35, v35
.LBB25_7:                               ;   in Loop: Header=BB25_3 Depth=1
	s_waitcnt vmcnt(0)
	v_cvt_f32_f16_e32 v37, v37
                                        ; implicit-def: $vgpr38
	v_cmp_nlt_f32_e64 s[38:39], |v37|, s3
	s_and_saveexec_b64 s[68:69], s[38:39]
	s_xor_b64 s[38:39], exec, s[68:69]
	s_cbranch_execz .LBB25_9
; %bb.8:                                ;   in Loop: Header=BB25_3 Depth=1
	v_add_f32_e64 v38, |v37|, |v37|
	v_mul_f32_e32 v39, 0x3fb8aa3b, v38
	v_rndne_f32_e32 v40, v39
	v_sub_f32_e32 v41, v39, v40
	v_fma_f32 v39, v38, s13, -v39
	v_fmac_f32_e32 v39, 0x32a5705f, v38
	v_add_f32_e32 v39, v41, v39
	v_cvt_i32_f32_e32 v40, v40
	v_exp_f32_e32 v39, v39
	v_cmp_ngt_f32_e32 vcc, s23, v38
	v_ldexp_f32 v39, v39, v40
	v_cndmask_b32_e32 v39, 0, v39, vcc
	v_cmp_nlt_f32_e32 vcc, s64, v38
	v_cndmask_b32_e32 v38, v17, v39, vcc
	v_add_f32_e32 v38, 1.0, v38
	v_rcp_f32_e32 v38, v38
	v_fma_f32 v38, v38, -2.0, 1.0
.LBB25_9:                               ;   in Loop: Header=BB25_3 Depth=1
	s_andn2_saveexec_b64 s[38:39], s[38:39]
	s_cbranch_execz .LBB25_2
; %bb.10:                               ;   in Loop: Header=BB25_3 Depth=1
	v_mul_f32_e32 v38, v37, v37
	v_mov_b32_e32 v39, 0x3ca908c9
	v_fmac_f32_e32 v39, 0xbbbac73d, v38
	v_fma_f32 v39, v38, v39, v14
	v_fma_f32 v39, v38, v39, v15
	;; [unrolled: 1-line block ×3, first 2 shown]
	v_mul_f32_e64 v39, |v37|, v39
	v_fma_f32 v38, v38, v39, |v37|
	s_branch .LBB25_2
.LBB25_11:
	s_endpgm
	.section	.rodata,"a",@progbits
	.p2align	6, 0x0
	.amdhsa_kernel _ZN2at6native12_GLOBAL__N_16kernel18lstm_cell_backwardIN3c104HalfEfiLi2EEEvNS_4cuda6detail10TensorInfoIT_T1_EESB_SB_SB_SB_SB_SB_SA_SA_
		.amdhsa_group_segment_fixed_size 0
		.amdhsa_private_segment_fixed_size 0
		.amdhsa_kernarg_size 1776
		.amdhsa_user_sgpr_count 6
		.amdhsa_user_sgpr_private_segment_buffer 1
		.amdhsa_user_sgpr_dispatch_ptr 0
		.amdhsa_user_sgpr_queue_ptr 0
		.amdhsa_user_sgpr_kernarg_segment_ptr 1
		.amdhsa_user_sgpr_dispatch_id 0
		.amdhsa_user_sgpr_flat_scratch_init 0
		.amdhsa_user_sgpr_kernarg_preload_length 0
		.amdhsa_user_sgpr_kernarg_preload_offset 0
		.amdhsa_user_sgpr_private_segment_size 0
		.amdhsa_uses_dynamic_stack 0
		.amdhsa_system_sgpr_private_segment_wavefront_offset 0
		.amdhsa_system_sgpr_workgroup_id_x 1
		.amdhsa_system_sgpr_workgroup_id_y 0
		.amdhsa_system_sgpr_workgroup_id_z 0
		.amdhsa_system_sgpr_workgroup_info 0
		.amdhsa_system_vgpr_workitem_id 0
		.amdhsa_next_free_vgpr 42
		.amdhsa_next_free_sgpr 70
		.amdhsa_accum_offset 44
		.amdhsa_reserve_vcc 1
		.amdhsa_reserve_flat_scratch 0
		.amdhsa_float_round_mode_32 0
		.amdhsa_float_round_mode_16_64 0
		.amdhsa_float_denorm_mode_32 3
		.amdhsa_float_denorm_mode_16_64 3
		.amdhsa_dx10_clamp 1
		.amdhsa_ieee_mode 1
		.amdhsa_fp16_overflow 0
		.amdhsa_tg_split 0
		.amdhsa_exception_fp_ieee_invalid_op 0
		.amdhsa_exception_fp_denorm_src 0
		.amdhsa_exception_fp_ieee_div_zero 0
		.amdhsa_exception_fp_ieee_overflow 0
		.amdhsa_exception_fp_ieee_underflow 0
		.amdhsa_exception_fp_ieee_inexact 0
		.amdhsa_exception_int_div_zero 0
	.end_amdhsa_kernel
	.section	.text._ZN2at6native12_GLOBAL__N_16kernel18lstm_cell_backwardIN3c104HalfEfiLi2EEEvNS_4cuda6detail10TensorInfoIT_T1_EESB_SB_SB_SB_SB_SB_SA_SA_,"axG",@progbits,_ZN2at6native12_GLOBAL__N_16kernel18lstm_cell_backwardIN3c104HalfEfiLi2EEEvNS_4cuda6detail10TensorInfoIT_T1_EESB_SB_SB_SB_SB_SB_SA_SA_,comdat
.Lfunc_end25:
	.size	_ZN2at6native12_GLOBAL__N_16kernel18lstm_cell_backwardIN3c104HalfEfiLi2EEEvNS_4cuda6detail10TensorInfoIT_T1_EESB_SB_SB_SB_SB_SB_SA_SA_, .Lfunc_end25-_ZN2at6native12_GLOBAL__N_16kernel18lstm_cell_backwardIN3c104HalfEfiLi2EEEvNS_4cuda6detail10TensorInfoIT_T1_EESB_SB_SB_SB_SB_SB_SA_SA_
                                        ; -- End function
	.section	.AMDGPU.csdata,"",@progbits
; Kernel info:
; codeLenInByte = 3008
; NumSgprs: 74
; NumVgprs: 42
; NumAgprs: 0
; TotalNumVgprs: 42
; ScratchSize: 0
; MemoryBound: 0
; FloatMode: 240
; IeeeMode: 1
; LDSByteSize: 0 bytes/workgroup (compile time only)
; SGPRBlocks: 9
; VGPRBlocks: 5
; NumSGPRsForWavesPerEU: 74
; NumVGPRsForWavesPerEU: 42
; AccumOffset: 44
; Occupancy: 8
; WaveLimiterHint : 1
; COMPUTE_PGM_RSRC2:SCRATCH_EN: 0
; COMPUTE_PGM_RSRC2:USER_SGPR: 6
; COMPUTE_PGM_RSRC2:TRAP_HANDLER: 0
; COMPUTE_PGM_RSRC2:TGID_X_EN: 1
; COMPUTE_PGM_RSRC2:TGID_Y_EN: 0
; COMPUTE_PGM_RSRC2:TGID_Z_EN: 0
; COMPUTE_PGM_RSRC2:TIDIG_COMP_CNT: 0
; COMPUTE_PGM_RSRC3_GFX90A:ACCUM_OFFSET: 10
; COMPUTE_PGM_RSRC3_GFX90A:TG_SPLIT: 0
	.section	.text._ZN2at6native12_GLOBAL__N_16kernel18lstm_cell_backwardIN3c104HalfEflLi1EEEvNS_4cuda6detail10TensorInfoIT_T1_EESB_SB_SB_SB_SB_SB_SA_SA_,"axG",@progbits,_ZN2at6native12_GLOBAL__N_16kernel18lstm_cell_backwardIN3c104HalfEflLi1EEEvNS_4cuda6detail10TensorInfoIT_T1_EESB_SB_SB_SB_SB_SB_SA_SA_,comdat
	.globl	_ZN2at6native12_GLOBAL__N_16kernel18lstm_cell_backwardIN3c104HalfEflLi1EEEvNS_4cuda6detail10TensorInfoIT_T1_EESB_SB_SB_SB_SB_SB_SA_SA_ ; -- Begin function _ZN2at6native12_GLOBAL__N_16kernel18lstm_cell_backwardIN3c104HalfEflLi1EEEvNS_4cuda6detail10TensorInfoIT_T1_EESB_SB_SB_SB_SB_SB_SA_SA_
	.p2align	8
	.type	_ZN2at6native12_GLOBAL__N_16kernel18lstm_cell_backwardIN3c104HalfEflLi1EEEvNS_4cuda6detail10TensorInfoIT_T1_EESB_SB_SB_SB_SB_SB_SA_SA_,@function
_ZN2at6native12_GLOBAL__N_16kernel18lstm_cell_backwardIN3c104HalfEflLi1EEEvNS_4cuda6detail10TensorInfoIT_T1_EESB_SB_SB_SB_SB_SB_SA_SA_: ; @_ZN2at6native12_GLOBAL__N_16kernel18lstm_cell_backwardIN3c104HalfEflLi1EEEvNS_4cuda6detail10TensorInfoIT_T1_EESB_SB_SB_SB_SB_SB_SA_SA_
; %bb.0:
	s_load_dword s0, s[4:5], 0xb7c
	s_load_dwordx4 s[8:11], s[4:5], 0xb60
	s_add_u32 s16, s4, 0xb70
	s_addc_u32 s17, s5, 0
	v_mov_b32_e32 v2, 0
	s_waitcnt lgkmcnt(0)
	s_and_b32 s20, s0, 0xffff
	s_mul_i32 s6, s6, s20
	v_add_u32_e32 v0, s6, v0
	v_mov_b32_e32 v1, v2
	v_cmp_gt_i64_e32 vcc, s[10:11], v[0:1]
	s_and_saveexec_b64 s[0:1], vcc
	s_cbranch_execz .LBB26_15
; %bb.1:
	s_load_dwordx2 s[2:3], s[4:5], 0x0
	s_load_dwordx2 s[6:7], s[4:5], 0xd0
	;; [unrolled: 1-line block ×14, first 2 shown]
	s_load_dword s21, s[16:17], 0x0
	s_waitcnt lgkmcnt(0)
	s_cmp_lg_u64 s[30:31], 0
	s_cselect_b64 s[16:17], -1, 0
	s_cmp_lg_u64 s[28:29], 0
	s_cselect_b64 s[18:19], -1, 0
	s_mul_i32 s33, s21, s20
	s_mul_i32 s20, s9, 3
	s_mul_hi_u32 s21, s8, 3
	s_add_i32 s39, s21, s20
	v_mul_lo_u32 v3, 0, s24
	v_mul_lo_u32 v6, v0, s25
	v_mad_u64_u32 v[4:5], s[20:21], v0, s24, 0
	v_add3_u32 v5, v5, v6, v3
	v_lshlrev_b64 v[4:5], 1, v[4:5]
	v_mov_b32_e32 v3, s23
	v_add_co_u32_e32 v4, vcc, s22, v4
	v_addc_co_u32_e32 v5, vcc, v3, v5, vcc
	v_mul_lo_u32 v3, 0, s36
	v_mul_lo_u32 v8, v0, s37
	v_mad_u64_u32 v[6:7], s[22:23], v0, s36, 0
	v_add3_u32 v7, v7, v8, v3
	v_lshlrev_b64 v[6:7], 1, v[6:7]
	s_mul_i32 s20, s33, s25
	s_mul_hi_u32 s21, s33, s24
	v_mov_b32_e32 v3, s35
	v_add_co_u32_e32 v6, vcc, s34, v6
	s_add_i32 s21, s21, s20
	s_mul_i32 s20, s33, s24
	v_addc_co_u32_e32 v7, vcc, v3, v7, vcc
	v_mul_lo_u32 v3, 0, s44
	v_mul_lo_u32 v10, v0, s45
	v_mad_u64_u32 v[8:9], s[24:25], v0, s44, 0
	v_add3_u32 v9, v9, v10, v3
	v_lshlrev_b64 v[8:9], 1, v[8:9]
	v_mov_b32_e32 v3, s43
	v_add_co_u32_e32 v8, vcc, s42, v8
	v_addc_co_u32_e32 v9, vcc, v3, v9, vcc
	v_mul_lo_u32 v3, 0, s26
	v_mul_lo_u32 v12, v0, s27
	v_mad_u64_u32 v[10:11], s[34:35], v0, s26, 0
	v_add3_u32 v11, v11, v12, v3
	v_lshlrev_b64 v[10:11], 1, v[10:11]
	v_mov_b32_e32 v3, s31
	v_add_co_u32_e32 v10, vcc, s30, v10
	s_mul_i32 s27, s33, s27
	s_mul_hi_u32 s30, s33, s26
	v_addc_co_u32_e32 v11, vcc, v3, v11, vcc
	s_add_i32 s27, s30, s27
	v_mul_lo_u32 v3, 0, s0
	v_mul_lo_u32 v14, v0, s1
	v_mad_u64_u32 v[12:13], s[30:31], v0, s0, 0
	v_add3_u32 v13, v13, v14, v3
	v_lshlrev_b64 v[12:13], 1, v[12:13]
	s_mul_i32 s22, s33, s37
	s_mul_hi_u32 s23, s33, s36
	s_mul_i32 s24, s33, s45
	s_mul_hi_u32 s25, s33, s44
	v_add_co_u32_e32 v12, vcc, s28, v12
	s_mul_i32 s1, s33, s1
	s_mul_hi_u32 s28, s33, s0
	s_add_i32 s23, s23, s22
	s_mul_i32 s22, s33, s36
	s_add_i32 s25, s25, s24
	s_mul_i32 s24, s33, s44
	s_mul_i32 s26, s33, s26
	v_mov_b32_e32 v3, s29
	s_add_i32 s1, s28, s1
	s_mul_i32 s0, s33, s0
	s_mov_b64 s[4:5], 0
	s_mov_b32 s38, 0
	s_mul_i32 s40, s8, 3
	s_lshl_b64 s[20:21], s[20:21], 1
	s_lshl_b64 s[22:23], s[22:23], 1
	;; [unrolled: 1-line block ×4, first 2 shown]
	v_addc_co_u32_e32 v13, vcc, v3, v13, vcc
	s_lshl_b64 s[28:29], s[0:1], 1
	s_mov_b32 s41, 0x3f200000
	s_mov_b32 s42, 0x3fb8aa3b
	;; [unrolled: 1-line block ×4, first 2 shown]
	v_mov_b32_e32 v22, 0xbd5c1c4e
	v_mov_b32_e32 v23, 0x3e088382
	;; [unrolled: 1-line block ×3, first 2 shown]
	s_brev_b32 s45, -2
	s_mov_b32 s46, 1.0
	v_mov_b32_e32 v25, 0x7f800000
	s_branch .LBB26_3
.LBB26_2:                               ;   in Loop: Header=BB26_3 Depth=1
	s_or_b64 exec, exec, s[0:1]
	v_mul_lo_u32 v26, v26, s14
	v_mul_lo_u32 v36, v14, s15
	v_mad_u64_u32 v[34:35], s[0:1], v14, s14, 0
	v_add3_u32 v35, v35, v36, v26
	v_lshlrev_b64 v[34:35], 1, v[34:35]
	v_mul_lo_u32 v36, v27, s14
	v_mul_lo_u32 v37, v16, s15
	v_mad_u64_u32 v[26:27], s[0:1], v16, s14, 0
	v_mov_b32_e32 v14, s13
	v_add_co_u32_e32 v34, vcc, s12, v34
	v_add3_u32 v27, v27, v37, v36
	v_addc_co_u32_e32 v35, vcc, v14, v35, vcc
	v_lshlrev_b64 v[26:27], 1, v[26:27]
	v_mul_lo_u32 v16, v29, s14
	v_mul_lo_u32 v29, v18, s15
	v_mad_u64_u32 v[36:37], s[0:1], v18, s14, 0
	v_add_co_u32_e32 v26, vcc, s12, v26
	v_add3_u32 v37, v37, v29, v16
	v_addc_co_u32_e32 v27, vcc, v14, v27, vcc
	v_lshlrev_b64 v[36:37], 1, v[36:37]
	v_mul_lo_u32 v16, v30, s14
	v_mul_lo_u32 v18, v20, s15
	v_mad_u64_u32 v[38:39], s[0:1], v20, s14, 0
	v_add_co_u32_e32 v36, vcc, s12, v36
	v_add3_u32 v39, v39, v18, v16
	v_cvt_f32_f16_e32 v16, v15
	v_addc_co_u32_e32 v37, vcc, v14, v37, vcc
	v_lshlrev_b64 v[38:39], 1, v[38:39]
	v_add_co_u32_e32 v38, vcc, s12, v38
	v_cvt_f32_f16_e32 v29, v19
	v_addc_co_u32_e32 v39, vcc, v14, v39, vcc
	v_bfi_b32 v14, s45, v33, v32
	v_mul_f32_e32 v18, v31, v14
	v_mul_f32_e32 v20, v31, v16
	v_fma_f32 v14, -v14, v14, 1.0
	v_fmac_f32_e32 v21, v20, v14
	v_cvt_f32_f16_e32 v14, v17
	v_cvt_f32_f16_e32 v28, v28
	v_mul_f32_e32 v20, v21, v29
	v_cvt_f32_f16_e32 v29, v3
	v_mul_f32_e32 v30, v21, v14
	v_sub_f32_e32 v14, 1.0, v14
	v_mul_f32_e32 v28, v21, v28
	v_mul_f32_e32 v14, v14, v20
	v_sub_f32_e32 v20, 1.0, v29
	v_mul_f32_e32 v20, v20, v28
	v_fma_mixlo_f16 v14, v14, v17, 0 op_sel_hi:[0,1,0]
	v_fma_mix_f32 v19, -v19, v19, s46 op_sel_hi:[1,1,0]
	v_sub_f32_e32 v16, 1.0, v16
	global_store_short v[34:35], v14, off
	v_fma_mixlo_f16 v14, v20, v3, 0 op_sel_hi:[0,1,0]
	v_mul_f32_e32 v16, v16, v18
	global_store_short v[26:27], v14, off
	v_fma_mixlo_f16 v14, v19, v30, 0
	global_store_short v[36:37], v14, off
	v_fma_mixlo_f16 v14, v16, v15, 0 op_sel_hi:[0,1,0]
	v_fma_mixlo_f16 v3, v21, v3, 0 op_sel_hi:[0,1,0]
	global_store_short v[38:39], v14, off
	global_store_short v[8:9], v3, off
	v_mov_b32_e32 v3, s38
	v_add_co_u32_e32 v0, vcc, s33, v0
	v_addc_co_u32_e32 v1, vcc, v1, v3, vcc
	v_mov_b32_e32 v3, s21
	v_add_co_u32_e32 v4, vcc, s20, v4
	v_addc_co_u32_e32 v5, vcc, v5, v3, vcc
	;; [unrolled: 3-line block ×5, first 2 shown]
	v_cmp_le_i64_e32 vcc, s[10:11], v[0:1]
	v_mov_b32_e32 v3, s29
	s_or_b64 s[4:5], vcc, s[4:5]
	v_add_co_u32_e32 v12, vcc, s28, v12
	v_addc_co_u32_e32 v13, vcc, v13, v3, vcc
	s_andn2_b64 exec, exec, s[4:5]
	s_cbranch_execz .LBB26_15
.LBB26_3:                               ; =>This Inner Loop Header: Depth=1
	v_or_b32_e32 v3, s9, v1
	v_cmp_ne_u64_e32 vcc, 0, v[2:3]
                                        ; implicit-def: $vgpr20_vgpr21
	s_and_saveexec_b64 s[0:1], vcc
	s_xor_b64 s[30:31], exec, s[0:1]
	s_cbranch_execz .LBB26_5
; %bb.4:                                ;   in Loop: Header=BB26_3 Depth=1
	s_ashr_i32 s34, s9, 31
	s_add_u32 s0, s8, s34
	s_mov_b32 s35, s34
	s_addc_u32 s1, s9, s34
	s_xor_b64 s[36:37], s[0:1], s[34:35]
	v_cvt_f32_u32_e32 v3, s36
	v_cvt_f32_u32_e32 v14, s37
	s_sub_u32 s0, 0, s36
	s_subb_u32 s1, 0, s37
	v_mac_f32_e32 v3, 0x4f800000, v14
	v_rcp_f32_e32 v3, v3
	v_mul_f32_e32 v3, 0x5f7ffffc, v3
	v_mul_f32_e32 v14, 0x2f800000, v3
	v_trunc_f32_e32 v14, v14
	v_mac_f32_e32 v3, 0xcf800000, v14
	v_cvt_u32_f32_e32 v14, v14
	v_cvt_u32_f32_e32 v3, v3
	v_mul_lo_u32 v15, s0, v14
	v_mul_hi_u32 v17, s0, v3
	v_mul_lo_u32 v16, s1, v3
	v_add_u32_e32 v15, v17, v15
	v_mul_lo_u32 v18, s0, v3
	v_add_u32_e32 v15, v15, v16
	v_mul_lo_u32 v17, v3, v15
	v_mul_hi_u32 v19, v3, v18
	v_mul_hi_u32 v16, v3, v15
	v_add_co_u32_e32 v17, vcc, v19, v17
	v_addc_co_u32_e32 v16, vcc, 0, v16, vcc
	v_mul_hi_u32 v20, v14, v18
	v_mul_lo_u32 v18, v14, v18
	v_add_co_u32_e32 v17, vcc, v17, v18
	v_mul_hi_u32 v19, v14, v15
	v_addc_co_u32_e32 v16, vcc, v16, v20, vcc
	v_addc_co_u32_e32 v17, vcc, 0, v19, vcc
	v_mul_lo_u32 v15, v14, v15
	v_add_co_u32_e32 v15, vcc, v16, v15
	v_addc_co_u32_e32 v16, vcc, 0, v17, vcc
	v_add_co_u32_e32 v3, vcc, v3, v15
	v_addc_co_u32_e32 v14, vcc, v14, v16, vcc
	v_mul_lo_u32 v15, s0, v14
	v_mul_hi_u32 v16, s0, v3
	v_add_u32_e32 v15, v16, v15
	v_mul_lo_u32 v16, s1, v3
	v_add_u32_e32 v15, v15, v16
	v_mul_lo_u32 v17, s0, v3
	v_mul_hi_u32 v18, v14, v17
	v_mul_lo_u32 v19, v14, v17
	v_mul_lo_u32 v21, v3, v15
	v_mul_hi_u32 v17, v3, v17
	v_mul_hi_u32 v20, v3, v15
	v_add_co_u32_e32 v17, vcc, v17, v21
	v_addc_co_u32_e32 v20, vcc, 0, v20, vcc
	v_add_co_u32_e32 v17, vcc, v17, v19
	v_mul_hi_u32 v16, v14, v15
	v_addc_co_u32_e32 v17, vcc, v20, v18, vcc
	v_addc_co_u32_e32 v16, vcc, 0, v16, vcc
	v_mul_lo_u32 v15, v14, v15
	v_add_co_u32_e32 v15, vcc, v17, v15
	v_addc_co_u32_e32 v16, vcc, 0, v16, vcc
	v_add_co_u32_e32 v3, vcc, v3, v15
	v_addc_co_u32_e32 v16, vcc, v14, v16, vcc
	v_ashrrev_i32_e32 v18, 31, v1
	v_add_co_u32_e32 v14, vcc, v0, v18
	v_addc_co_u32_e32 v15, vcc, v1, v18, vcc
	v_xor_b32_e32 v20, v14, v18
	v_xor_b32_e32 v19, v15, v18
	v_mad_u64_u32 v[14:15], s[0:1], v20, v16, 0
	v_mul_hi_u32 v17, v20, v3
	v_add_co_u32_e32 v21, vcc, v17, v14
	v_addc_co_u32_e32 v26, vcc, 0, v15, vcc
	v_mad_u64_u32 v[14:15], s[0:1], v19, v16, 0
	v_mad_u64_u32 v[16:17], s[0:1], v19, v3, 0
	v_add_co_u32_e32 v3, vcc, v21, v16
	v_addc_co_u32_e32 v3, vcc, v26, v17, vcc
	v_addc_co_u32_e32 v15, vcc, 0, v15, vcc
	v_add_co_u32_e32 v3, vcc, v3, v14
	v_addc_co_u32_e32 v16, vcc, 0, v15, vcc
	v_mul_lo_u32 v17, s37, v3
	v_mul_lo_u32 v21, s36, v16
	v_mad_u64_u32 v[14:15], s[0:1], s36, v3, 0
	v_add3_u32 v15, v15, v21, v17
	v_sub_u32_e32 v17, v19, v15
	v_mov_b32_e32 v21, s37
	v_sub_co_u32_e32 v14, vcc, v20, v14
	v_subb_co_u32_e64 v17, s[0:1], v17, v21, vcc
	v_subrev_co_u32_e64 v20, s[0:1], s36, v14
	v_subbrev_co_u32_e64 v17, s[0:1], 0, v17, s[0:1]
	v_cmp_le_u32_e64 s[0:1], s37, v17
	v_cndmask_b32_e64 v21, 0, -1, s[0:1]
	v_cmp_le_u32_e64 s[0:1], s36, v20
	v_cndmask_b32_e64 v20, 0, -1, s[0:1]
	v_cmp_eq_u32_e64 s[0:1], s37, v17
	v_cndmask_b32_e64 v17, v21, v20, s[0:1]
	v_add_co_u32_e64 v20, s[0:1], 2, v3
	v_subb_co_u32_e32 v15, vcc, v19, v15, vcc
	v_addc_co_u32_e64 v21, s[0:1], 0, v16, s[0:1]
	v_cmp_le_u32_e32 vcc, s37, v15
	v_add_co_u32_e64 v26, s[0:1], 1, v3
	v_cndmask_b32_e64 v19, 0, -1, vcc
	v_cmp_le_u32_e32 vcc, s36, v14
	v_addc_co_u32_e64 v27, s[0:1], 0, v16, s[0:1]
	v_cndmask_b32_e64 v14, 0, -1, vcc
	v_cmp_eq_u32_e32 vcc, s37, v15
	v_cmp_ne_u32_e64 s[0:1], 0, v17
	v_cndmask_b32_e32 v14, v19, v14, vcc
	v_cmp_ne_u32_e32 vcc, 0, v14
	v_cndmask_b32_e64 v15, v26, v20, s[0:1]
	v_cndmask_b32_e64 v17, v27, v21, s[0:1]
	v_cndmask_b32_e32 v3, v3, v15, vcc
	v_xor_b32_e32 v15, s34, v18
	v_cndmask_b32_e32 v14, v16, v17, vcc
	v_xor_b32_e32 v3, v3, v15
	v_xor_b32_e32 v14, v14, v15
	v_sub_co_u32_e32 v20, vcc, v3, v15
	v_subb_co_u32_e32 v21, vcc, v14, v15, vcc
.LBB26_5:                               ;   in Loop: Header=BB26_3 Depth=1
	s_andn2_saveexec_b64 s[0:1], s[30:31]
	s_cbranch_execz .LBB26_7
; %bb.6:                                ;   in Loop: Header=BB26_3 Depth=1
	v_cvt_f32_u32_e32 v3, s8
	s_sub_i32 s30, 0, s8
	v_mov_b32_e32 v21, v2
	v_rcp_iflag_f32_e32 v3, v3
	v_mul_f32_e32 v3, 0x4f7ffffe, v3
	v_cvt_u32_f32_e32 v3, v3
	v_mul_lo_u32 v14, s30, v3
	v_mul_hi_u32 v14, v3, v14
	v_add_u32_e32 v3, v3, v14
	v_mul_hi_u32 v3, v0, v3
	v_mul_lo_u32 v14, v3, s8
	v_sub_u32_e32 v14, v0, v14
	v_add_u32_e32 v15, 1, v3
	v_subrev_u32_e32 v16, s8, v14
	v_cmp_le_u32_e32 vcc, s8, v14
	v_cndmask_b32_e32 v14, v14, v16, vcc
	v_cndmask_b32_e32 v3, v3, v15, vcc
	v_add_u32_e32 v15, 1, v3
	v_cmp_le_u32_e32 vcc, s8, v14
	v_cndmask_b32_e32 v20, v3, v15, vcc
.LBB26_7:                               ;   in Loop: Header=BB26_3 Depth=1
	s_or_b64 exec, exec, s[0:1]
	v_mad_u64_u32 v[14:15], s[0:1], s40, v20, v[0:1]
	v_mul_lo_u32 v3, s40, v21
	v_mul_lo_u32 v16, s39, v20
	v_add3_u32 v26, v16, v15, v3
	v_mul_lo_u32 v3, v14, s7
	v_mul_lo_u32 v15, v26, s6
	v_mad_u64_u32 v[16:17], s[0:1], v14, s6, 0
	v_add3_u32 v17, v17, v3, v15
	v_lshlrev_b64 v[16:17], 1, v[16:17]
	v_mov_b32_e32 v3, s3
	v_add_co_u32_e32 v34, vcc, s2, v16
	v_addc_co_u32_e32 v35, vcc, v3, v17, vcc
	v_mad_u64_u32 v[16:17], s[0:1], v20, 3, 1
	v_lshl_add_u32 v15, v21, 1, v21
	v_add_u32_e32 v17, v15, v17
	v_mul_lo_u32 v18, s9, v16
	v_mul_lo_u32 v19, s8, v17
	v_mad_u64_u32 v[16:17], s[0:1], s8, v16, v[0:1]
	v_add3_u32 v27, v18, v17, v19
	v_mul_lo_u32 v17, v27, s6
	v_mul_lo_u32 v21, v16, s7
	v_mad_u64_u32 v[18:19], s[0:1], v16, s6, 0
	v_add3_u32 v19, v19, v21, v17
	v_lshlrev_b64 v[18:19], 1, v[18:19]
	v_add_co_u32_e32 v36, vcc, s2, v18
	v_addc_co_u32_e32 v37, vcc, v3, v19, vcc
	v_mad_u64_u32 v[18:19], s[0:1], v20, 3, 2
	v_add_u32_e32 v17, v15, v19
	v_mul_lo_u32 v21, s9, v18
	v_mul_lo_u32 v17, s8, v17
	v_mad_u64_u32 v[18:19], s[0:1], s8, v18, v[0:1]
	v_add3_u32 v29, v21, v19, v17
	v_mul_lo_u32 v17, v29, s6
	v_mul_lo_u32 v19, v18, s7
	v_mad_u64_u32 v[30:31], s[0:1], v18, s6, 0
	v_mad_u64_u32 v[20:21], s[0:1], v20, 3, 3
	v_add3_u32 v31, v31, v19, v17
	v_add_u32_e32 v15, v15, v21
	v_lshlrev_b64 v[30:31], 1, v[30:31]
	v_mul_lo_u32 v17, s9, v20
	v_mul_lo_u32 v15, s8, v15
	v_mad_u64_u32 v[20:21], s[0:1], s8, v20, v[0:1]
	v_add_co_u32_e32 v38, vcc, s2, v30
	v_add3_u32 v30, v17, v21, v15
	v_mul_lo_u32 v15, v30, s6
	v_mul_lo_u32 v17, v20, s7
	v_mad_u64_u32 v[32:33], s[0:1], v20, s6, 0
	v_add3_u32 v33, v33, v17, v15
	v_addc_co_u32_e32 v39, vcc, v3, v31, vcc
	v_lshlrev_b64 v[32:33], 1, v[32:33]
	v_add_co_u32_e32 v40, vcc, s2, v32
	v_addc_co_u32_e32 v41, vcc, v3, v33, vcc
	global_load_ushort v17, v[34:35], off
	global_load_ushort v3, v[36:37], off
	;; [unrolled: 1-line block ×6, first 2 shown]
	s_andn2_b64 vcc, exec, s[16:17]
	v_mov_b32_e32 v21, 0
	v_mov_b32_e32 v31, 0
	s_cbranch_vccnz .LBB26_9
; %bb.8:                                ;   in Loop: Header=BB26_3 Depth=1
	global_load_ushort v31, v[10:11], off
	s_waitcnt vmcnt(0)
	v_cvt_f32_f16_e32 v31, v31
.LBB26_9:                               ;   in Loop: Header=BB26_3 Depth=1
	s_andn2_b64 vcc, exec, s[18:19]
	s_cbranch_vccnz .LBB26_11
; %bb.10:                               ;   in Loop: Header=BB26_3 Depth=1
	global_load_ushort v21, v[12:13], off
	s_waitcnt vmcnt(0)
	v_cvt_f32_f16_e32 v21, v21
.LBB26_11:                              ;   in Loop: Header=BB26_3 Depth=1
	s_waitcnt vmcnt(0)
	v_cvt_f32_f16_e32 v32, v32
                                        ; implicit-def: $vgpr33
	v_cmp_nlt_f32_e64 s[0:1], |v32|, s41
	s_and_saveexec_b64 s[30:31], s[0:1]
	s_xor_b64 s[0:1], exec, s[30:31]
	s_cbranch_execz .LBB26_13
; %bb.12:                               ;   in Loop: Header=BB26_3 Depth=1
	v_add_f32_e64 v33, |v32|, |v32|
	v_mul_f32_e32 v34, 0x3fb8aa3b, v33
	v_rndne_f32_e32 v35, v34
	v_sub_f32_e32 v36, v34, v35
	v_fma_f32 v34, v33, s42, -v34
	v_fmac_f32_e32 v34, 0x32a5705f, v33
	v_add_f32_e32 v34, v36, v34
	v_cvt_i32_f32_e32 v35, v35
	v_exp_f32_e32 v34, v34
	v_cmp_ngt_f32_e32 vcc, s43, v33
	v_ldexp_f32 v34, v34, v35
	v_cndmask_b32_e32 v34, 0, v34, vcc
	v_cmp_nlt_f32_e32 vcc, s44, v33
	v_cndmask_b32_e32 v33, v25, v34, vcc
	v_add_f32_e32 v33, 1.0, v33
	v_rcp_f32_e32 v33, v33
	v_fma_f32 v33, v33, -2.0, 1.0
.LBB26_13:                              ;   in Loop: Header=BB26_3 Depth=1
	s_andn2_saveexec_b64 s[0:1], s[0:1]
	s_cbranch_execz .LBB26_2
; %bb.14:                               ;   in Loop: Header=BB26_3 Depth=1
	v_mul_f32_e32 v33, v32, v32
	v_mov_b32_e32 v34, 0x3ca908c9
	v_fmac_f32_e32 v34, 0xbbbac73d, v33
	v_fma_f32 v34, v33, v34, v22
	v_fma_f32 v34, v33, v34, v23
	;; [unrolled: 1-line block ×3, first 2 shown]
	v_mul_f32_e64 v34, |v32|, v34
	v_fma_f32 v33, v33, v34, |v32|
	s_branch .LBB26_2
.LBB26_15:
	s_endpgm
	.section	.rodata,"a",@progbits
	.p2align	6, 0x0
	.amdhsa_kernel _ZN2at6native12_GLOBAL__N_16kernel18lstm_cell_backwardIN3c104HalfEflLi1EEEvNS_4cuda6detail10TensorInfoIT_T1_EESB_SB_SB_SB_SB_SB_SA_SA_
		.amdhsa_group_segment_fixed_size 0
		.amdhsa_private_segment_fixed_size 0
		.amdhsa_kernarg_size 3184
		.amdhsa_user_sgpr_count 6
		.amdhsa_user_sgpr_private_segment_buffer 1
		.amdhsa_user_sgpr_dispatch_ptr 0
		.amdhsa_user_sgpr_queue_ptr 0
		.amdhsa_user_sgpr_kernarg_segment_ptr 1
		.amdhsa_user_sgpr_dispatch_id 0
		.amdhsa_user_sgpr_flat_scratch_init 0
		.amdhsa_user_sgpr_kernarg_preload_length 0
		.amdhsa_user_sgpr_kernarg_preload_offset 0
		.amdhsa_user_sgpr_private_segment_size 0
		.amdhsa_uses_dynamic_stack 0
		.amdhsa_system_sgpr_private_segment_wavefront_offset 0
		.amdhsa_system_sgpr_workgroup_id_x 1
		.amdhsa_system_sgpr_workgroup_id_y 0
		.amdhsa_system_sgpr_workgroup_id_z 0
		.amdhsa_system_sgpr_workgroup_info 0
		.amdhsa_system_vgpr_workitem_id 0
		.amdhsa_next_free_vgpr 42
		.amdhsa_next_free_sgpr 47
		.amdhsa_accum_offset 44
		.amdhsa_reserve_vcc 1
		.amdhsa_reserve_flat_scratch 0
		.amdhsa_float_round_mode_32 0
		.amdhsa_float_round_mode_16_64 0
		.amdhsa_float_denorm_mode_32 3
		.amdhsa_float_denorm_mode_16_64 3
		.amdhsa_dx10_clamp 1
		.amdhsa_ieee_mode 1
		.amdhsa_fp16_overflow 0
		.amdhsa_tg_split 0
		.amdhsa_exception_fp_ieee_invalid_op 0
		.amdhsa_exception_fp_denorm_src 0
		.amdhsa_exception_fp_ieee_div_zero 0
		.amdhsa_exception_fp_ieee_overflow 0
		.amdhsa_exception_fp_ieee_underflow 0
		.amdhsa_exception_fp_ieee_inexact 0
		.amdhsa_exception_int_div_zero 0
	.end_amdhsa_kernel
	.section	.text._ZN2at6native12_GLOBAL__N_16kernel18lstm_cell_backwardIN3c104HalfEflLi1EEEvNS_4cuda6detail10TensorInfoIT_T1_EESB_SB_SB_SB_SB_SB_SA_SA_,"axG",@progbits,_ZN2at6native12_GLOBAL__N_16kernel18lstm_cell_backwardIN3c104HalfEflLi1EEEvNS_4cuda6detail10TensorInfoIT_T1_EESB_SB_SB_SB_SB_SB_SA_SA_,comdat
.Lfunc_end26:
	.size	_ZN2at6native12_GLOBAL__N_16kernel18lstm_cell_backwardIN3c104HalfEflLi1EEEvNS_4cuda6detail10TensorInfoIT_T1_EESB_SB_SB_SB_SB_SB_SA_SA_, .Lfunc_end26-_ZN2at6native12_GLOBAL__N_16kernel18lstm_cell_backwardIN3c104HalfEflLi1EEEvNS_4cuda6detail10TensorInfoIT_T1_EESB_SB_SB_SB_SB_SB_SA_SA_
                                        ; -- End function
	.section	.AMDGPU.csdata,"",@progbits
; Kernel info:
; codeLenInByte = 2600
; NumSgprs: 51
; NumVgprs: 42
; NumAgprs: 0
; TotalNumVgprs: 42
; ScratchSize: 0
; MemoryBound: 0
; FloatMode: 240
; IeeeMode: 1
; LDSByteSize: 0 bytes/workgroup (compile time only)
; SGPRBlocks: 6
; VGPRBlocks: 5
; NumSGPRsForWavesPerEU: 51
; NumVGPRsForWavesPerEU: 42
; AccumOffset: 44
; Occupancy: 8
; WaveLimiterHint : 1
; COMPUTE_PGM_RSRC2:SCRATCH_EN: 0
; COMPUTE_PGM_RSRC2:USER_SGPR: 6
; COMPUTE_PGM_RSRC2:TRAP_HANDLER: 0
; COMPUTE_PGM_RSRC2:TGID_X_EN: 1
; COMPUTE_PGM_RSRC2:TGID_Y_EN: 0
; COMPUTE_PGM_RSRC2:TGID_Z_EN: 0
; COMPUTE_PGM_RSRC2:TIDIG_COMP_CNT: 0
; COMPUTE_PGM_RSRC3_GFX90A:ACCUM_OFFSET: 10
; COMPUTE_PGM_RSRC3_GFX90A:TG_SPLIT: 0
	.section	.text._ZN2at6native12_GLOBAL__N_16kernel18lstm_cell_backwardIN3c104HalfEflLi2EEEvNS_4cuda6detail10TensorInfoIT_T1_EESB_SB_SB_SB_SB_SB_SA_SA_,"axG",@progbits,_ZN2at6native12_GLOBAL__N_16kernel18lstm_cell_backwardIN3c104HalfEflLi2EEEvNS_4cuda6detail10TensorInfoIT_T1_EESB_SB_SB_SB_SB_SB_SA_SA_,comdat
	.globl	_ZN2at6native12_GLOBAL__N_16kernel18lstm_cell_backwardIN3c104HalfEflLi2EEEvNS_4cuda6detail10TensorInfoIT_T1_EESB_SB_SB_SB_SB_SB_SA_SA_ ; -- Begin function _ZN2at6native12_GLOBAL__N_16kernel18lstm_cell_backwardIN3c104HalfEflLi2EEEvNS_4cuda6detail10TensorInfoIT_T1_EESB_SB_SB_SB_SB_SB_SA_SA_
	.p2align	8
	.type	_ZN2at6native12_GLOBAL__N_16kernel18lstm_cell_backwardIN3c104HalfEflLi2EEEvNS_4cuda6detail10TensorInfoIT_T1_EESB_SB_SB_SB_SB_SB_SA_SA_,@function
_ZN2at6native12_GLOBAL__N_16kernel18lstm_cell_backwardIN3c104HalfEflLi2EEEvNS_4cuda6detail10TensorInfoIT_T1_EESB_SB_SB_SB_SB_SB_SA_SA_: ; @_ZN2at6native12_GLOBAL__N_16kernel18lstm_cell_backwardIN3c104HalfEflLi2EEEvNS_4cuda6detail10TensorInfoIT_T1_EESB_SB_SB_SB_SB_SB_SA_SA_
; %bb.0:
	s_load_dword s2, s[4:5], 0xb7c
	s_load_dwordx4 s[8:11], s[4:5], 0xb60
	s_add_u32 s0, s4, 0xb70
	s_addc_u32 s1, s5, 0
	v_mov_b32_e32 v2, 0
	s_waitcnt lgkmcnt(0)
	s_and_b32 s7, s2, 0xffff
	s_mul_i32 s6, s6, s7
	v_add_u32_e32 v0, s6, v0
	v_mov_b32_e32 v1, v2
	v_cmp_gt_i64_e32 vcc, s[10:11], v[0:1]
	s_and_saveexec_b64 s[2:3], vcc
	s_cbranch_execz .LBB27_68
; %bb.1:
	s_load_dwordx2 s[2:3], s[4:5], 0x0
	s_load_dwordx2 s[34:35], s[4:5], 0x10
	s_load_dwordx4 s[12:15], s[4:5], 0xd0
	s_load_dwordx2 s[40:41], s[4:5], 0x1a0
	s_load_dwordx2 s[42:43], s[4:5], 0x340
	;; [unrolled: 1-line block ×3, first 2 shown]
	s_load_dwordx4 s[16:19], s[4:5], 0x410
	s_load_dwordx2 s[46:47], s[4:5], 0x4e0
	s_load_dwordx2 s[48:49], s[4:5], 0x4f0
	s_load_dwordx4 s[20:23], s[4:5], 0x5b0
	s_load_dwordx2 s[50:51], s[4:5], 0x680
	s_load_dwordx2 s[52:53], s[4:5], 0x690
	;; [unrolled: 3-line block ×4, first 2 shown]
	s_nop 0
	s_load_dword s0, s[0:1], 0x0
	s_waitcnt lgkmcnt(0)
	s_cmp_lg_u64 s[50:51], 0
	v_cvt_f32_u32_e32 v3, s8
	s_cselect_b64 s[62:63], -1, 0
	s_cmp_lg_u64 s[54:55], 0
	s_mul_i32 s33, s0, s7
	s_mul_i32 s0, s9, 3
	s_mul_hi_u32 s1, s8, 3
	s_cselect_b64 s[64:65], -1, 0
	s_add_i32 s77, s1, s0
	s_sub_u32 s79, 0, s44
	s_subb_u32 s80, 0, s45
	v_rcp_iflag_f32_e32 v3, v3
	s_sub_u32 s81, 0, s48
	s_subb_u32 s82, 0, s49
	s_sub_u32 s83, 0, s60
	s_load_dwordx2 s[66:67], s[4:5], 0x1b0
	s_load_dwordx4 s[36:39], s[4:5], 0x270
	s_nop 0
	s_load_dwordx4 s[4:7], s[4:5], 0xa90
	s_subb_u32 s84, 0, s61
	v_mul_f32_e32 v3, 0x4f7ffffe, v3
	s_sub_u32 s85, 0, s52
	v_cvt_u32_f32_e32 v27, v3
	s_subb_u32 s86, 0, s53
	s_sub_u32 s87, 0, s56
	s_mov_b32 s76, 0
	s_mul_i32 s78, s8, 3
	s_subb_u32 s88, 0, s57
	s_mov_b32 s89, 0x3f200000
	s_mov_b32 s90, 0x3fb8aa3b
	;; [unrolled: 1-line block ×4, first 2 shown]
	v_mov_b32_e32 v24, 0xbd5c1c4e
	v_mov_b32_e32 v25, 0x3e088382
	;; [unrolled: 1-line block ×3, first 2 shown]
	s_brev_b32 s93, -2
	s_mov_b32 s94, 1.0
	v_mov_b32_e32 v28, 0x7f800000
	s_mov_b64 s[68:69], 0
	s_branch .LBB27_3
.LBB27_2:                               ;   in Loop: Header=BB27_3 Depth=1
	s_or_b64 exec, exec, s[0:1]
	v_mad_u64_u32 v[36:37], s[0:1], s83, v20, v[0:1]
	v_mul_lo_u32 v34, s83, v21
	v_mul_lo_u32 v38, s84, v20
	v_add3_u32 v34, v38, v37, v34
	v_mul_lo_u32 v38, v36, s7
	v_mul_lo_u32 v34, v34, s6
	v_mad_u64_u32 v[36:37], s[0:1], v36, s6, 0
	v_add3_u32 v37, v37, v38, v34
	v_mul_lo_u32 v34, v21, s4
	v_mul_lo_u32 v38, v20, s5
	v_mad_u64_u32 v[20:21], s[0:1], v20, s4, 0
	v_add3_u32 v21, v21, v38, v34
	v_lshlrev_b64 v[20:21], 1, v[20:21]
	v_mov_b32_e32 v34, s59
	v_add_co_u32_e32 v38, vcc, s58, v20
	v_addc_co_u32_e32 v34, vcc, v34, v21, vcc
	v_lshlrev_b64 v[20:21], 1, v[36:37]
	v_add_co_u32_e32 v20, vcc, v38, v20
	v_addc_co_u32_e32 v21, vcc, v34, v21, vcc
	v_mul_lo_u32 v34, v19, s66
	v_mul_lo_u32 v38, v18, s67
	v_mad_u64_u32 v[36:37], s[0:1], v18, s66, 0
	v_add3_u32 v34, v37, v38, v34
	v_sub_co_u32_e32 v10, vcc, v10, v36
	v_subb_co_u32_e32 v32, vcc, v32, v34, vcc
	v_add_co_u32_e32 v10, vcc, v0, v10
	v_addc_co_u32_e32 v32, vcc, v1, v32, vcc
	v_mul_lo_u32 v32, v32, s38
	v_mul_lo_u32 v34, v10, s39
	v_mad_u64_u32 v[36:37], s[0:1], v10, s38, 0
	v_add3_u32 v37, v37, v34, v32
	v_mul_lo_u32 v10, v19, s36
	v_mul_lo_u32 v32, v18, s37
	v_mad_u64_u32 v[18:19], s[0:1], v18, s36, 0
	v_add3_u32 v19, v19, v32, v10
	v_lshlrev_b64 v[18:19], 1, v[18:19]
	v_mov_b32_e32 v10, s41
	v_add_co_u32_e32 v32, vcc, s40, v18
	v_addc_co_u32_e32 v34, vcc, v10, v19, vcc
	v_lshlrev_b64 v[18:19], 1, v[36:37]
	v_add_co_u32_e32 v18, vcc, v32, v18
	v_addc_co_u32_e32 v19, vcc, v34, v19, vcc
	v_mul_lo_u32 v32, v17, s66
	v_mul_lo_u32 v34, v16, s67
	v_mad_u64_u32 v[36:37], s[0:1], v16, s66, 0
	v_add3_u32 v32, v37, v34, v32
	v_sub_co_u32_e32 v8, vcc, v8, v36
	v_subb_co_u32_e32 v31, vcc, v31, v32, vcc
	v_add_co_u32_e32 v8, vcc, v0, v8
	v_addc_co_u32_e32 v31, vcc, v1, v31, vcc
	v_mul_lo_u32 v31, v31, s38
	v_mul_lo_u32 v32, v8, s39
	v_mad_u64_u32 v[36:37], s[0:1], v8, s38, 0
	v_add3_u32 v37, v37, v32, v31
	v_mul_lo_u32 v8, v17, s36
	v_mul_lo_u32 v31, v16, s37
	v_mad_u64_u32 v[16:17], s[0:1], v16, s36, 0
	v_add3_u32 v17, v17, v31, v8
	v_lshlrev_b64 v[16:17], 1, v[16:17]
	v_add_co_u32_e32 v8, vcc, s40, v16
	v_addc_co_u32_e32 v31, vcc, v10, v17, vcc
	v_lshlrev_b64 v[16:17], 1, v[36:37]
	v_add_co_u32_e32 v16, vcc, v8, v16
	v_addc_co_u32_e32 v17, vcc, v31, v17, vcc
	v_mul_lo_u32 v8, v15, s66
	v_mul_lo_u32 v31, v14, s67
	v_mad_u64_u32 v[36:37], s[0:1], v14, s66, 0
	v_add3_u32 v8, v37, v31, v8
	v_sub_co_u32_e32 v6, vcc, v6, v36
	v_subb_co_u32_e32 v8, vcc, v30, v8, vcc
	v_add_co_u32_e32 v6, vcc, v0, v6
	v_addc_co_u32_e32 v8, vcc, v1, v8, vcc
	v_mul_lo_u32 v8, v8, s38
	v_mul_lo_u32 v32, v6, s39
	v_mad_u64_u32 v[30:31], s[0:1], v6, s38, 0
	v_add3_u32 v31, v31, v32, v8
	v_mul_lo_u32 v6, v15, s36
	v_mul_lo_u32 v8, v14, s37
	v_mad_u64_u32 v[14:15], s[0:1], v14, s36, 0
	v_add3_u32 v15, v15, v8, v6
	v_lshlrev_b64 v[14:15], 1, v[14:15]
	;; [unrolled: 22-line block ×3, first 2 shown]
	v_add_co_u32_e32 v4, vcc, s40, v12
	v_cvt_f32_f16_e32 v8, v11
	v_addc_co_u32_e32 v6, vcc, v10, v13, vcc
	v_lshlrev_b64 v[12:13], 1, v[30:31]
	v_add_co_u32_e32 v12, vcc, v4, v12
	v_bfi_b32 v4, s93, v23, v22
	v_cvt_f32_f16_e32 v22, v9
	v_cvt_f32_f16_e32 v23, v33
	v_addc_co_u32_e32 v13, vcc, v6, v13, vcc
	v_mul_f32_e32 v6, v35, v4
	v_mul_f32_e32 v10, v35, v8
	v_fma_f32 v4, -v4, v4, 1.0
	v_fmac_f32_e32 v3, v10, v4
	v_cvt_f32_f16_e32 v4, v5
	v_mul_f32_e32 v10, v3, v22
	v_mul_f32_e32 v22, v3, v23
	v_cvt_f32_f16_e32 v23, v7
	v_mul_f32_e32 v29, v3, v4
	v_sub_f32_e32 v4, 1.0, v4
	v_mul_f32_e32 v4, v4, v10
	v_sub_f32_e32 v10, 1.0, v23
	v_mul_f32_e32 v10, v10, v22
	v_fma_mixlo_f16 v4, v4, v5, 0 op_sel_hi:[0,1,0]
	v_fma_mix_f32 v9, -v9, v9, s94 op_sel_hi:[1,1,0]
	v_sub_f32_e32 v8, 1.0, v8
	global_store_short v[12:13], v4, off
	v_fma_mixlo_f16 v4, v10, v7, 0 op_sel_hi:[0,1,0]
	v_mul_f32_e32 v6, v8, v6
	global_store_short v[14:15], v4, off
	v_fma_mixlo_f16 v4, v9, v29, 0
	global_store_short v[16:17], v4, off
	v_fma_mixlo_f16 v4, v6, v11, 0 op_sel_hi:[0,1,0]
	global_store_short v[18:19], v4, off
	v_mov_b32_e32 v4, s76
	v_add_co_u32_e32 v0, vcc, s33, v0
	v_addc_co_u32_e32 v1, vcc, v1, v4, vcc
	v_cmp_le_i64_e32 vcc, s[10:11], v[0:1]
	v_fma_mixlo_f16 v3, v3, v7, 0 op_sel_hi:[0,1,0]
	s_or_b64 s[68:69], vcc, s[68:69]
	global_store_short v[20:21], v3, off
	s_andn2_b64 exec, exec, s[68:69]
	s_cbranch_execz .LBB27_68
.LBB27_3:                               ; =>This Inner Loop Header: Depth=1
	v_or_b32_e32 v3, s9, v1
	v_cmp_ne_u64_e32 vcc, 0, v[2:3]
                                        ; implicit-def: $vgpr8_vgpr9
	s_and_saveexec_b64 s[0:1], vcc
	s_xor_b64 s[70:71], exec, s[0:1]
	s_cbranch_execz .LBB27_5
; %bb.4:                                ;   in Loop: Header=BB27_3 Depth=1
	s_ashr_i32 s72, s9, 31
	s_add_u32 s0, s8, s72
	s_mov_b32 s73, s72
	s_addc_u32 s1, s9, s72
	s_xor_b64 s[74:75], s[0:1], s[72:73]
	v_cvt_f32_u32_e32 v3, s74
	v_cvt_f32_u32_e32 v4, s75
	s_sub_u32 s0, 0, s74
	s_subb_u32 s1, 0, s75
	v_mac_f32_e32 v3, 0x4f800000, v4
	v_rcp_f32_e32 v3, v3
	v_mul_f32_e32 v3, 0x5f7ffffc, v3
	v_mul_f32_e32 v4, 0x2f800000, v3
	v_trunc_f32_e32 v4, v4
	v_mac_f32_e32 v3, 0xcf800000, v4
	v_cvt_u32_f32_e32 v4, v4
	v_cvt_u32_f32_e32 v3, v3
	v_mul_lo_u32 v5, s0, v4
	v_mul_hi_u32 v7, s0, v3
	v_mul_lo_u32 v6, s1, v3
	v_add_u32_e32 v5, v7, v5
	v_mul_lo_u32 v8, s0, v3
	v_add_u32_e32 v5, v5, v6
	v_mul_lo_u32 v7, v3, v5
	v_mul_hi_u32 v9, v3, v8
	v_mul_hi_u32 v6, v3, v5
	v_add_co_u32_e32 v7, vcc, v9, v7
	v_addc_co_u32_e32 v6, vcc, 0, v6, vcc
	v_mul_hi_u32 v10, v4, v8
	v_mul_lo_u32 v8, v4, v8
	v_add_co_u32_e32 v7, vcc, v7, v8
	v_mul_hi_u32 v9, v4, v5
	v_addc_co_u32_e32 v6, vcc, v6, v10, vcc
	v_addc_co_u32_e32 v7, vcc, 0, v9, vcc
	v_mul_lo_u32 v5, v4, v5
	v_add_co_u32_e32 v5, vcc, v6, v5
	v_addc_co_u32_e32 v6, vcc, 0, v7, vcc
	v_add_co_u32_e32 v3, vcc, v3, v5
	v_addc_co_u32_e32 v4, vcc, v4, v6, vcc
	v_mul_lo_u32 v5, s0, v4
	v_mul_hi_u32 v6, s0, v3
	v_add_u32_e32 v5, v6, v5
	v_mul_lo_u32 v6, s1, v3
	v_add_u32_e32 v5, v5, v6
	v_mul_lo_u32 v7, s0, v3
	v_mul_hi_u32 v8, v4, v7
	v_mul_lo_u32 v9, v4, v7
	v_mul_lo_u32 v11, v3, v5
	v_mul_hi_u32 v7, v3, v7
	v_mul_hi_u32 v10, v3, v5
	v_add_co_u32_e32 v7, vcc, v7, v11
	v_addc_co_u32_e32 v10, vcc, 0, v10, vcc
	v_add_co_u32_e32 v7, vcc, v7, v9
	v_mul_hi_u32 v6, v4, v5
	v_addc_co_u32_e32 v7, vcc, v10, v8, vcc
	v_addc_co_u32_e32 v6, vcc, 0, v6, vcc
	v_mul_lo_u32 v5, v4, v5
	v_add_co_u32_e32 v5, vcc, v7, v5
	v_addc_co_u32_e32 v6, vcc, 0, v6, vcc
	v_add_co_u32_e32 v3, vcc, v3, v5
	v_addc_co_u32_e32 v6, vcc, v4, v6, vcc
	v_ashrrev_i32_e32 v8, 31, v1
	v_add_co_u32_e32 v4, vcc, v0, v8
	v_addc_co_u32_e32 v5, vcc, v1, v8, vcc
	v_xor_b32_e32 v10, v4, v8
	v_xor_b32_e32 v9, v5, v8
	v_mad_u64_u32 v[4:5], s[0:1], v10, v6, 0
	v_mul_hi_u32 v7, v10, v3
	v_add_co_u32_e32 v11, vcc, v7, v4
	v_addc_co_u32_e32 v12, vcc, 0, v5, vcc
	v_mad_u64_u32 v[4:5], s[0:1], v9, v6, 0
	v_mad_u64_u32 v[6:7], s[0:1], v9, v3, 0
	v_add_co_u32_e32 v3, vcc, v11, v6
	v_addc_co_u32_e32 v3, vcc, v12, v7, vcc
	v_addc_co_u32_e32 v5, vcc, 0, v5, vcc
	v_add_co_u32_e32 v3, vcc, v3, v4
	v_addc_co_u32_e32 v6, vcc, 0, v5, vcc
	v_mul_lo_u32 v7, s75, v3
	v_mul_lo_u32 v11, s74, v6
	v_mad_u64_u32 v[4:5], s[0:1], s74, v3, 0
	v_add3_u32 v5, v5, v11, v7
	v_sub_u32_e32 v7, v9, v5
	v_mov_b32_e32 v11, s75
	v_sub_co_u32_e32 v4, vcc, v10, v4
	v_subb_co_u32_e64 v7, s[0:1], v7, v11, vcc
	v_subrev_co_u32_e64 v10, s[0:1], s74, v4
	v_subbrev_co_u32_e64 v7, s[0:1], 0, v7, s[0:1]
	v_cmp_le_u32_e64 s[0:1], s75, v7
	v_cndmask_b32_e64 v11, 0, -1, s[0:1]
	v_cmp_le_u32_e64 s[0:1], s74, v10
	v_cndmask_b32_e64 v10, 0, -1, s[0:1]
	v_cmp_eq_u32_e64 s[0:1], s75, v7
	v_cndmask_b32_e64 v7, v11, v10, s[0:1]
	v_add_co_u32_e64 v10, s[0:1], 2, v3
	v_subb_co_u32_e32 v5, vcc, v9, v5, vcc
	v_addc_co_u32_e64 v11, s[0:1], 0, v6, s[0:1]
	v_cmp_le_u32_e32 vcc, s75, v5
	v_add_co_u32_e64 v12, s[0:1], 1, v3
	v_cndmask_b32_e64 v9, 0, -1, vcc
	v_cmp_le_u32_e32 vcc, s74, v4
	v_addc_co_u32_e64 v13, s[0:1], 0, v6, s[0:1]
	v_cndmask_b32_e64 v4, 0, -1, vcc
	v_cmp_eq_u32_e32 vcc, s75, v5
	v_cmp_ne_u32_e64 s[0:1], 0, v7
	v_cndmask_b32_e32 v4, v9, v4, vcc
	v_cmp_ne_u32_e32 vcc, 0, v4
	v_cndmask_b32_e64 v5, v12, v10, s[0:1]
	v_cndmask_b32_e64 v7, v13, v11, s[0:1]
	v_cndmask_b32_e32 v3, v3, v5, vcc
	v_xor_b32_e32 v5, s72, v8
	v_cndmask_b32_e32 v4, v6, v7, vcc
	v_xor_b32_e32 v3, v3, v5
	v_xor_b32_e32 v4, v4, v5
	v_sub_co_u32_e32 v8, vcc, v3, v5
	v_subb_co_u32_e32 v9, vcc, v4, v5, vcc
.LBB27_5:                               ;   in Loop: Header=BB27_3 Depth=1
	s_andn2_saveexec_b64 s[0:1], s[70:71]
	s_cbranch_execz .LBB27_7
; %bb.6:                                ;   in Loop: Header=BB27_3 Depth=1
	s_sub_i32 s70, 0, s8
	v_mul_lo_u32 v3, s70, v27
	v_mul_hi_u32 v3, v27, v3
	v_add_u32_e32 v3, v27, v3
	v_mul_hi_u32 v3, v0, v3
	v_mul_lo_u32 v4, v3, s8
	v_sub_u32_e32 v4, v0, v4
	v_subrev_u32_e32 v5, s8, v4
	v_cmp_le_u32_e32 vcc, s8, v4
	v_cndmask_b32_e32 v4, v4, v5, vcc
	v_add_u32_e32 v5, 1, v3
	v_cndmask_b32_e32 v3, v3, v5, vcc
	v_add_u32_e32 v5, 1, v3
	v_cmp_le_u32_e32 vcc, s8, v4
	v_cndmask_b32_e32 v8, v3, v5, vcc
	v_mov_b32_e32 v9, v2
.LBB27_7:                               ;   in Loop: Header=BB27_3 Depth=1
	s_or_b64 exec, exec, s[0:1]
	v_mul_lo_u32 v10, s77, v8
	v_mul_lo_u32 v11, s78, v9
	v_mad_u64_u32 v[14:15], s[0:1], s78, v8, v[0:1]
	v_add3_u32 v15, v10, v15, v11
	v_or_b32_e32 v3, s35, v15
	v_cmp_ne_u64_e32 vcc, 0, v[2:3]
	v_ashrrev_i32_e32 v22, 31, v15
                                        ; implicit-def: $vgpr6_vgpr7
	s_and_saveexec_b64 s[0:1], vcc
	s_xor_b64 s[70:71], exec, s[0:1]
	s_cbranch_execz .LBB27_9
; %bb.8:                                ;   in Loop: Header=BB27_3 Depth=1
	s_ashr_i32 s72, s35, 31
	s_add_u32 s0, s34, s72
	s_mov_b32 s73, s72
	s_addc_u32 s1, s35, s72
	s_xor_b64 s[74:75], s[0:1], s[72:73]
	v_cvt_f32_u32_e32 v3, s74
	v_cvt_f32_u32_e32 v4, s75
	s_sub_u32 s0, 0, s74
	s_subb_u32 s1, 0, s75
	v_mac_f32_e32 v3, 0x4f800000, v4
	v_rcp_f32_e32 v3, v3
	v_mul_f32_e32 v3, 0x5f7ffffc, v3
	v_mul_f32_e32 v4, 0x2f800000, v3
	v_trunc_f32_e32 v4, v4
	v_mac_f32_e32 v3, 0xcf800000, v4
	v_cvt_u32_f32_e32 v4, v4
	v_cvt_u32_f32_e32 v3, v3
	v_mul_lo_u32 v5, s0, v4
	v_mul_hi_u32 v7, s0, v3
	v_mul_lo_u32 v6, s1, v3
	v_add_u32_e32 v5, v7, v5
	v_mul_lo_u32 v12, s0, v3
	v_add_u32_e32 v5, v5, v6
	v_mul_lo_u32 v7, v3, v5
	v_mul_hi_u32 v13, v3, v12
	v_mul_hi_u32 v6, v3, v5
	v_add_co_u32_e32 v7, vcc, v13, v7
	v_addc_co_u32_e32 v6, vcc, 0, v6, vcc
	v_mul_hi_u32 v16, v4, v12
	v_mul_lo_u32 v12, v4, v12
	v_add_co_u32_e32 v7, vcc, v7, v12
	v_mul_hi_u32 v13, v4, v5
	v_addc_co_u32_e32 v6, vcc, v6, v16, vcc
	v_addc_co_u32_e32 v7, vcc, 0, v13, vcc
	v_mul_lo_u32 v5, v4, v5
	v_add_co_u32_e32 v5, vcc, v6, v5
	v_addc_co_u32_e32 v6, vcc, 0, v7, vcc
	v_add_co_u32_e32 v3, vcc, v3, v5
	v_addc_co_u32_e32 v4, vcc, v4, v6, vcc
	v_mul_lo_u32 v5, s0, v4
	v_mul_hi_u32 v6, s0, v3
	v_add_u32_e32 v5, v6, v5
	v_mul_lo_u32 v6, s1, v3
	v_add_u32_e32 v5, v5, v6
	v_mul_lo_u32 v7, s0, v3
	v_mul_hi_u32 v12, v4, v7
	v_mul_lo_u32 v13, v4, v7
	v_mul_lo_u32 v17, v3, v5
	v_mul_hi_u32 v7, v3, v7
	v_mul_hi_u32 v16, v3, v5
	v_add_co_u32_e32 v7, vcc, v7, v17
	v_addc_co_u32_e32 v16, vcc, 0, v16, vcc
	v_add_co_u32_e32 v7, vcc, v7, v13
	v_mul_hi_u32 v6, v4, v5
	v_addc_co_u32_e32 v7, vcc, v16, v12, vcc
	v_addc_co_u32_e32 v6, vcc, 0, v6, vcc
	v_mul_lo_u32 v5, v4, v5
	v_add_co_u32_e32 v5, vcc, v7, v5
	v_addc_co_u32_e32 v6, vcc, 0, v6, vcc
	v_add_co_u32_e32 v3, vcc, v3, v5
	v_addc_co_u32_e32 v6, vcc, v4, v6, vcc
	;; [unrolled: 2-line block ×3, first 2 shown]
	v_xor_b32_e32 v13, v4, v22
	v_xor_b32_e32 v12, v5, v22
	v_mad_u64_u32 v[4:5], s[0:1], v13, v6, 0
	v_mul_hi_u32 v7, v13, v3
	v_add_co_u32_e32 v16, vcc, v7, v4
	v_addc_co_u32_e32 v17, vcc, 0, v5, vcc
	v_mad_u64_u32 v[4:5], s[0:1], v12, v6, 0
	v_mad_u64_u32 v[6:7], s[0:1], v12, v3, 0
	v_add_co_u32_e32 v3, vcc, v16, v6
	v_addc_co_u32_e32 v3, vcc, v17, v7, vcc
	v_addc_co_u32_e32 v5, vcc, 0, v5, vcc
	v_add_co_u32_e32 v3, vcc, v3, v4
	v_addc_co_u32_e32 v6, vcc, 0, v5, vcc
	v_mul_lo_u32 v7, s75, v3
	v_mul_lo_u32 v16, s74, v6
	v_mad_u64_u32 v[4:5], s[0:1], s74, v3, 0
	v_add3_u32 v5, v5, v16, v7
	v_sub_u32_e32 v7, v12, v5
	v_mov_b32_e32 v16, s75
	v_sub_co_u32_e32 v4, vcc, v13, v4
	v_subb_co_u32_e64 v7, s[0:1], v7, v16, vcc
	v_subrev_co_u32_e64 v13, s[0:1], s74, v4
	v_subbrev_co_u32_e64 v7, s[0:1], 0, v7, s[0:1]
	v_cmp_le_u32_e64 s[0:1], s75, v7
	v_cndmask_b32_e64 v16, 0, -1, s[0:1]
	v_cmp_le_u32_e64 s[0:1], s74, v13
	v_cndmask_b32_e64 v13, 0, -1, s[0:1]
	v_cmp_eq_u32_e64 s[0:1], s75, v7
	v_cndmask_b32_e64 v7, v16, v13, s[0:1]
	v_add_co_u32_e64 v13, s[0:1], 2, v3
	v_subb_co_u32_e32 v5, vcc, v12, v5, vcc
	v_addc_co_u32_e64 v16, s[0:1], 0, v6, s[0:1]
	v_cmp_le_u32_e32 vcc, s75, v5
	v_add_co_u32_e64 v17, s[0:1], 1, v3
	v_cndmask_b32_e64 v12, 0, -1, vcc
	v_cmp_le_u32_e32 vcc, s74, v4
	v_addc_co_u32_e64 v18, s[0:1], 0, v6, s[0:1]
	v_cndmask_b32_e64 v4, 0, -1, vcc
	v_cmp_eq_u32_e32 vcc, s75, v5
	v_cmp_ne_u32_e64 s[0:1], 0, v7
	v_cndmask_b32_e32 v4, v12, v4, vcc
	v_cmp_ne_u32_e32 vcc, 0, v4
	v_cndmask_b32_e64 v5, v17, v13, s[0:1]
	v_cndmask_b32_e64 v7, v18, v16, s[0:1]
	v_cndmask_b32_e32 v3, v3, v5, vcc
	v_xor_b32_e32 v5, s72, v22
	v_cndmask_b32_e32 v4, v6, v7, vcc
	v_xor_b32_e32 v3, v3, v5
	v_xor_b32_e32 v4, v4, v5
	v_sub_co_u32_e32 v6, vcc, v3, v5
	v_subb_co_u32_e32 v7, vcc, v4, v5, vcc
.LBB27_9:                               ;   in Loop: Header=BB27_3 Depth=1
	s_or_saveexec_b64 s[0:1], s[70:71]
	v_cvt_f32_u32_e32 v32, s34
	s_xor_b64 exec, exec, s[0:1]
	s_cbranch_execz .LBB27_11
; %bb.10:                               ;   in Loop: Header=BB27_3 Depth=1
	v_rcp_iflag_f32_e32 v3, v32
	s_sub_i32 s70, 0, s34
	v_mov_b32_e32 v7, v2
	v_mul_f32_e32 v3, 0x4f7ffffe, v3
	v_cvt_u32_f32_e32 v3, v3
	v_mul_lo_u32 v4, s70, v3
	v_mul_hi_u32 v4, v3, v4
	v_add_u32_e32 v3, v3, v4
	v_mul_hi_u32 v3, v14, v3
	v_mul_lo_u32 v4, v3, s34
	v_sub_u32_e32 v4, v14, v4
	v_add_u32_e32 v5, 1, v3
	v_subrev_u32_e32 v6, s34, v4
	v_cmp_le_u32_e32 vcc, s34, v4
	v_cndmask_b32_e32 v4, v4, v6, vcc
	v_cndmask_b32_e32 v3, v3, v5, vcc
	v_add_u32_e32 v5, 1, v3
	v_cmp_le_u32_e32 vcc, s34, v4
	v_cndmask_b32_e32 v6, v3, v5, vcc
.LBB27_11:                              ;   in Loop: Header=BB27_3 Depth=1
	s_or_b64 exec, exec, s[0:1]
	v_mad_u64_u32 v[4:5], s[0:1], s78, v8, 0
	v_add3_u32 v29, v5, v11, v10
	v_mul_lo_u32 v3, v7, s34
	v_mul_lo_u32 v5, v6, s35
	v_mad_u64_u32 v[10:11], s[0:1], v6, s34, 0
	v_add3_u32 v3, v11, v5, v3
	v_sub_co_u32_e32 v5, vcc, v4, v10
	v_subb_co_u32_e32 v3, vcc, v29, v3, vcc
	v_add_co_u32_e32 v5, vcc, v0, v5
	v_addc_co_u32_e32 v3, vcc, v1, v3, vcc
	v_mul_lo_u32 v3, v3, s14
	v_mul_lo_u32 v12, v5, s15
	v_mad_u64_u32 v[10:11], s[0:1], v5, s14, 0
	v_add3_u32 v11, v11, v12, v3
	v_mul_lo_u32 v3, v7, s12
	v_mul_lo_u32 v5, v6, s13
	v_mad_u64_u32 v[6:7], s[0:1], v6, s12, 0
	v_add3_u32 v7, v7, v5, v3
	v_lshlrev_b64 v[6:7], 1, v[6:7]
	v_mov_b32_e32 v3, s3
	v_add_co_u32_e32 v5, vcc, s2, v6
	v_addc_co_u32_e32 v3, vcc, v3, v7, vcc
	v_lshlrev_b64 v[6:7], 1, v[10:11]
	v_add_co_u32_e32 v6, vcc, v5, v6
	v_addc_co_u32_e32 v7, vcc, v3, v7, vcc
	global_load_ushort v5, v[6:7], off
	v_lshl_add_u32 v9, v9, 1, v9
	v_mad_u64_u32 v[6:7], s[0:1], v8, 3, 1
	v_add_u32_e32 v3, v9, v7
	v_mul_lo_u32 v12, s9, v6
	v_mul_lo_u32 v13, s8, v3
	v_mad_u64_u32 v[16:17], s[0:1], s8, v6, v[0:1]
	v_add3_u32 v17, v12, v17, v13
	v_or_b32_e32 v3, s35, v17
	v_cmp_ne_u64_e32 vcc, 0, v[2:3]
	v_ashrrev_i32_e32 v23, 31, v17
                                        ; implicit-def: $vgpr10_vgpr11
	s_and_saveexec_b64 s[0:1], vcc
	s_xor_b64 s[70:71], exec, s[0:1]
	s_cbranch_execz .LBB27_13
; %bb.12:                               ;   in Loop: Header=BB27_3 Depth=1
	s_ashr_i32 s72, s35, 31
	s_add_u32 s0, s34, s72
	s_mov_b32 s73, s72
	s_addc_u32 s1, s35, s72
	s_xor_b64 s[74:75], s[0:1], s[72:73]
	v_cvt_f32_u32_e32 v3, s74
	v_cvt_f32_u32_e32 v7, s75
	s_sub_u32 s0, 0, s74
	s_subb_u32 s1, 0, s75
	v_mac_f32_e32 v3, 0x4f800000, v7
	v_rcp_f32_e32 v3, v3
	v_mul_f32_e32 v3, 0x5f7ffffc, v3
	v_mul_f32_e32 v7, 0x2f800000, v3
	v_trunc_f32_e32 v7, v7
	v_mac_f32_e32 v3, 0xcf800000, v7
	v_cvt_u32_f32_e32 v7, v7
	v_cvt_u32_f32_e32 v3, v3
	v_mul_lo_u32 v10, s0, v7
	v_mul_hi_u32 v18, s0, v3
	v_mul_lo_u32 v11, s1, v3
	v_add_u32_e32 v10, v18, v10
	v_mul_lo_u32 v19, s0, v3
	v_add_u32_e32 v10, v10, v11
	v_mul_lo_u32 v18, v3, v10
	v_mul_hi_u32 v20, v3, v19
	v_mul_hi_u32 v11, v3, v10
	v_add_co_u32_e32 v18, vcc, v20, v18
	v_addc_co_u32_e32 v11, vcc, 0, v11, vcc
	v_mul_hi_u32 v21, v7, v19
	v_mul_lo_u32 v19, v7, v19
	v_add_co_u32_e32 v18, vcc, v18, v19
	v_mul_hi_u32 v20, v7, v10
	v_addc_co_u32_e32 v11, vcc, v11, v21, vcc
	v_addc_co_u32_e32 v18, vcc, 0, v20, vcc
	v_mul_lo_u32 v10, v7, v10
	v_add_co_u32_e32 v10, vcc, v11, v10
	v_addc_co_u32_e32 v11, vcc, 0, v18, vcc
	v_add_co_u32_e32 v3, vcc, v3, v10
	v_addc_co_u32_e32 v7, vcc, v7, v11, vcc
	v_mul_lo_u32 v10, s0, v7
	v_mul_hi_u32 v11, s0, v3
	v_add_u32_e32 v10, v11, v10
	v_mul_lo_u32 v11, s1, v3
	v_add_u32_e32 v10, v10, v11
	v_mul_lo_u32 v18, s0, v3
	v_mul_hi_u32 v19, v7, v18
	v_mul_lo_u32 v20, v7, v18
	v_mul_lo_u32 v30, v3, v10
	v_mul_hi_u32 v18, v3, v18
	v_mul_hi_u32 v21, v3, v10
	v_add_co_u32_e32 v18, vcc, v18, v30
	v_addc_co_u32_e32 v21, vcc, 0, v21, vcc
	v_add_co_u32_e32 v18, vcc, v18, v20
	v_mul_hi_u32 v11, v7, v10
	v_addc_co_u32_e32 v18, vcc, v21, v19, vcc
	v_addc_co_u32_e32 v11, vcc, 0, v11, vcc
	v_mul_lo_u32 v10, v7, v10
	v_add_co_u32_e32 v10, vcc, v18, v10
	v_addc_co_u32_e32 v11, vcc, 0, v11, vcc
	v_add_co_u32_e32 v3, vcc, v3, v10
	v_addc_co_u32_e32 v7, vcc, v7, v11, vcc
	;; [unrolled: 2-line block ×3, first 2 shown]
	v_xor_b32_e32 v21, v10, v23
	v_xor_b32_e32 v20, v11, v23
	v_mad_u64_u32 v[10:11], s[0:1], v21, v7, 0
	v_mul_hi_u32 v18, v21, v3
	v_add_co_u32_e32 v30, vcc, v18, v10
	v_addc_co_u32_e32 v31, vcc, 0, v11, vcc
	v_mad_u64_u32 v[18:19], s[0:1], v20, v3, 0
	v_add_co_u32_e32 v3, vcc, v30, v18
	v_mad_u64_u32 v[10:11], s[0:1], v20, v7, 0
	v_addc_co_u32_e32 v3, vcc, v31, v19, vcc
	v_addc_co_u32_e32 v7, vcc, 0, v11, vcc
	v_add_co_u32_e32 v3, vcc, v3, v10
	v_addc_co_u32_e32 v7, vcc, 0, v7, vcc
	v_mul_lo_u32 v18, s75, v3
	v_mul_lo_u32 v19, s74, v7
	v_mad_u64_u32 v[10:11], s[0:1], s74, v3, 0
	v_add3_u32 v11, v11, v19, v18
	v_sub_u32_e32 v18, v20, v11
	v_mov_b32_e32 v19, s75
	v_sub_co_u32_e32 v10, vcc, v21, v10
	v_subb_co_u32_e64 v18, s[0:1], v18, v19, vcc
	v_subrev_co_u32_e64 v19, s[0:1], s74, v10
	v_subbrev_co_u32_e64 v18, s[0:1], 0, v18, s[0:1]
	v_cmp_le_u32_e64 s[0:1], s75, v18
	v_cndmask_b32_e64 v21, 0, -1, s[0:1]
	v_cmp_le_u32_e64 s[0:1], s74, v19
	v_cndmask_b32_e64 v19, 0, -1, s[0:1]
	v_cmp_eq_u32_e64 s[0:1], s75, v18
	v_cndmask_b32_e64 v18, v21, v19, s[0:1]
	v_add_co_u32_e64 v19, s[0:1], 2, v3
	v_subb_co_u32_e32 v11, vcc, v20, v11, vcc
	v_addc_co_u32_e64 v21, s[0:1], 0, v7, s[0:1]
	v_cmp_le_u32_e32 vcc, s75, v11
	v_add_co_u32_e64 v30, s[0:1], 1, v3
	v_cndmask_b32_e64 v20, 0, -1, vcc
	v_cmp_le_u32_e32 vcc, s74, v10
	v_addc_co_u32_e64 v31, s[0:1], 0, v7, s[0:1]
	v_cndmask_b32_e64 v10, 0, -1, vcc
	v_cmp_eq_u32_e32 vcc, s75, v11
	v_cmp_ne_u32_e64 s[0:1], 0, v18
	v_cndmask_b32_e32 v10, v20, v10, vcc
	v_cmp_ne_u32_e32 vcc, 0, v10
	v_cndmask_b32_e64 v10, v30, v19, s[0:1]
	v_cndmask_b32_e64 v18, v31, v21, s[0:1]
	v_cndmask_b32_e32 v3, v3, v10, vcc
	v_xor_b32_e32 v11, s72, v23
	v_cndmask_b32_e32 v7, v7, v18, vcc
	v_xor_b32_e32 v3, v3, v11
	v_xor_b32_e32 v7, v7, v11
	v_sub_co_u32_e32 v10, vcc, v3, v11
	v_subb_co_u32_e32 v11, vcc, v7, v11, vcc
.LBB27_13:                              ;   in Loop: Header=BB27_3 Depth=1
	s_andn2_saveexec_b64 s[0:1], s[70:71]
	s_cbranch_execz .LBB27_15
; %bb.14:                               ;   in Loop: Header=BB27_3 Depth=1
	v_rcp_iflag_f32_e32 v3, v32
	s_sub_i32 s70, 0, s34
	v_mul_f32_e32 v3, 0x4f7ffffe, v3
	v_cvt_u32_f32_e32 v3, v3
	v_mul_lo_u32 v7, s70, v3
	v_mul_hi_u32 v7, v3, v7
	v_add_u32_e32 v3, v3, v7
	v_mul_hi_u32 v3, v16, v3
	v_mul_lo_u32 v7, v3, s34
	v_sub_u32_e32 v7, v16, v7
	v_add_u32_e32 v10, 1, v3
	v_subrev_u32_e32 v11, s34, v7
	v_cmp_le_u32_e32 vcc, s34, v7
	v_cndmask_b32_e32 v7, v7, v11, vcc
	v_cndmask_b32_e32 v3, v3, v10, vcc
	v_add_u32_e32 v10, 1, v3
	v_cmp_le_u32_e32 vcc, s34, v7
	v_cndmask_b32_e32 v10, v3, v10, vcc
	v_mov_b32_e32 v11, v2
.LBB27_15:                              ;   in Loop: Header=BB27_3 Depth=1
	s_or_b64 exec, exec, s[0:1]
	v_mad_u64_u32 v[6:7], s[0:1], s8, v6, 0
	v_add3_u32 v30, v7, v13, v12
	v_mul_lo_u32 v3, v11, s34
	v_mul_lo_u32 v7, v10, s35
	v_mad_u64_u32 v[12:13], s[0:1], v10, s34, 0
	v_add3_u32 v3, v13, v7, v3
	v_sub_co_u32_e32 v7, vcc, v6, v12
	v_subb_co_u32_e32 v3, vcc, v30, v3, vcc
	v_add_co_u32_e32 v7, vcc, v0, v7
	v_addc_co_u32_e32 v3, vcc, v1, v3, vcc
	v_mul_lo_u32 v3, v3, s14
	v_mul_lo_u32 v18, v7, s15
	v_mad_u64_u32 v[12:13], s[0:1], v7, s14, 0
	v_add3_u32 v13, v13, v18, v3
	v_mul_lo_u32 v3, v11, s12
	v_mul_lo_u32 v7, v10, s13
	v_mad_u64_u32 v[10:11], s[0:1], v10, s12, 0
	v_add3_u32 v11, v11, v7, v3
	v_lshlrev_b64 v[10:11], 1, v[10:11]
	v_mov_b32_e32 v3, s3
	v_add_co_u32_e32 v7, vcc, s2, v10
	v_addc_co_u32_e32 v3, vcc, v3, v11, vcc
	v_lshlrev_b64 v[10:11], 1, v[12:13]
	v_add_co_u32_e32 v10, vcc, v7, v10
	v_addc_co_u32_e32 v11, vcc, v3, v11, vcc
	global_load_ushort v7, v[10:11], off
	v_mad_u64_u32 v[10:11], s[0:1], v8, 3, 0
	v_add_u32_e32 v11, v11, v9
	v_add_co_u32_e32 v8, vcc, 2, v10
	v_addc_co_u32_e32 v3, vcc, 0, v11, vcc
	v_mul_lo_u32 v20, s9, v8
	v_mul_lo_u32 v21, s8, v3
	v_mad_u64_u32 v[18:19], s[0:1], s8, v8, v[0:1]
	v_add3_u32 v19, v20, v19, v21
	v_or_b32_e32 v3, s35, v19
	v_cmp_ne_u64_e32 vcc, 0, v[2:3]
	v_ashrrev_i32_e32 v33, 31, v19
                                        ; implicit-def: $vgpr12_vgpr13
	s_and_saveexec_b64 s[0:1], vcc
	s_xor_b64 s[70:71], exec, s[0:1]
	s_cbranch_execz .LBB27_17
; %bb.16:                               ;   in Loop: Header=BB27_3 Depth=1
	s_ashr_i32 s72, s35, 31
	s_add_u32 s0, s34, s72
	s_mov_b32 s73, s72
	s_addc_u32 s1, s35, s72
	s_xor_b64 s[74:75], s[0:1], s[72:73]
	v_cvt_f32_u32_e32 v3, s74
	v_cvt_f32_u32_e32 v9, s75
	s_sub_u32 s0, 0, s74
	s_subb_u32 s1, 0, s75
	v_mac_f32_e32 v3, 0x4f800000, v9
	v_rcp_f32_e32 v3, v3
	v_mul_f32_e32 v3, 0x5f7ffffc, v3
	v_mul_f32_e32 v9, 0x2f800000, v3
	v_trunc_f32_e32 v9, v9
	v_mac_f32_e32 v3, 0xcf800000, v9
	v_cvt_u32_f32_e32 v9, v9
	v_cvt_u32_f32_e32 v3, v3
	v_mul_lo_u32 v12, s0, v9
	v_mul_hi_u32 v31, s0, v3
	v_mul_lo_u32 v13, s1, v3
	v_add_u32_e32 v12, v31, v12
	v_mul_lo_u32 v34, s0, v3
	v_add_u32_e32 v12, v12, v13
	v_mul_lo_u32 v31, v3, v12
	v_mul_hi_u32 v35, v3, v34
	v_mul_hi_u32 v13, v3, v12
	v_add_co_u32_e32 v31, vcc, v35, v31
	v_addc_co_u32_e32 v13, vcc, 0, v13, vcc
	v_mul_hi_u32 v36, v9, v34
	v_mul_lo_u32 v34, v9, v34
	v_add_co_u32_e32 v31, vcc, v31, v34
	v_mul_hi_u32 v35, v9, v12
	v_addc_co_u32_e32 v13, vcc, v13, v36, vcc
	v_addc_co_u32_e32 v31, vcc, 0, v35, vcc
	v_mul_lo_u32 v12, v9, v12
	v_add_co_u32_e32 v12, vcc, v13, v12
	v_addc_co_u32_e32 v13, vcc, 0, v31, vcc
	v_add_co_u32_e32 v3, vcc, v3, v12
	v_addc_co_u32_e32 v9, vcc, v9, v13, vcc
	v_mul_lo_u32 v12, s0, v9
	v_mul_hi_u32 v13, s0, v3
	v_add_u32_e32 v12, v13, v12
	v_mul_lo_u32 v13, s1, v3
	v_add_u32_e32 v12, v12, v13
	v_mul_lo_u32 v31, s0, v3
	v_mul_hi_u32 v34, v9, v31
	v_mul_lo_u32 v35, v9, v31
	v_mul_lo_u32 v37, v3, v12
	v_mul_hi_u32 v31, v3, v31
	v_mul_hi_u32 v36, v3, v12
	v_add_co_u32_e32 v31, vcc, v31, v37
	v_addc_co_u32_e32 v36, vcc, 0, v36, vcc
	v_add_co_u32_e32 v31, vcc, v31, v35
	v_mul_hi_u32 v13, v9, v12
	v_addc_co_u32_e32 v31, vcc, v36, v34, vcc
	v_addc_co_u32_e32 v13, vcc, 0, v13, vcc
	v_mul_lo_u32 v12, v9, v12
	v_add_co_u32_e32 v12, vcc, v31, v12
	v_addc_co_u32_e32 v13, vcc, 0, v13, vcc
	v_add_co_u32_e32 v3, vcc, v3, v12
	v_addc_co_u32_e32 v9, vcc, v9, v13, vcc
	;; [unrolled: 2-line block ×3, first 2 shown]
	v_xor_b32_e32 v36, v12, v33
	v_xor_b32_e32 v31, v13, v33
	v_mad_u64_u32 v[12:13], s[0:1], v36, v9, 0
	v_mul_hi_u32 v34, v36, v3
	v_add_co_u32_e32 v37, vcc, v34, v12
	v_addc_co_u32_e32 v38, vcc, 0, v13, vcc
	v_mad_u64_u32 v[34:35], s[0:1], v31, v3, 0
	v_add_co_u32_e32 v3, vcc, v37, v34
	v_mad_u64_u32 v[12:13], s[0:1], v31, v9, 0
	v_addc_co_u32_e32 v3, vcc, v38, v35, vcc
	v_addc_co_u32_e32 v9, vcc, 0, v13, vcc
	v_add_co_u32_e32 v3, vcc, v3, v12
	v_addc_co_u32_e32 v9, vcc, 0, v9, vcc
	v_mul_lo_u32 v34, s75, v3
	v_mul_lo_u32 v35, s74, v9
	v_mad_u64_u32 v[12:13], s[0:1], s74, v3, 0
	v_add3_u32 v13, v13, v35, v34
	v_sub_u32_e32 v34, v31, v13
	v_mov_b32_e32 v35, s75
	v_sub_co_u32_e32 v12, vcc, v36, v12
	v_subb_co_u32_e64 v34, s[0:1], v34, v35, vcc
	v_subrev_co_u32_e64 v35, s[0:1], s74, v12
	v_subbrev_co_u32_e64 v34, s[0:1], 0, v34, s[0:1]
	v_cmp_le_u32_e64 s[0:1], s75, v34
	v_cndmask_b32_e64 v36, 0, -1, s[0:1]
	v_cmp_le_u32_e64 s[0:1], s74, v35
	v_cndmask_b32_e64 v35, 0, -1, s[0:1]
	v_cmp_eq_u32_e64 s[0:1], s75, v34
	v_cndmask_b32_e64 v34, v36, v35, s[0:1]
	v_add_co_u32_e64 v35, s[0:1], 2, v3
	v_subb_co_u32_e32 v13, vcc, v31, v13, vcc
	v_addc_co_u32_e64 v36, s[0:1], 0, v9, s[0:1]
	v_cmp_le_u32_e32 vcc, s75, v13
	v_add_co_u32_e64 v37, s[0:1], 1, v3
	v_cndmask_b32_e64 v31, 0, -1, vcc
	v_cmp_le_u32_e32 vcc, s74, v12
	v_addc_co_u32_e64 v38, s[0:1], 0, v9, s[0:1]
	v_cndmask_b32_e64 v12, 0, -1, vcc
	v_cmp_eq_u32_e32 vcc, s75, v13
	v_cmp_ne_u32_e64 s[0:1], 0, v34
	v_cndmask_b32_e32 v12, v31, v12, vcc
	v_cmp_ne_u32_e32 vcc, 0, v12
	v_cndmask_b32_e64 v12, v37, v35, s[0:1]
	v_cndmask_b32_e64 v34, v38, v36, s[0:1]
	v_cndmask_b32_e32 v3, v3, v12, vcc
	v_xor_b32_e32 v13, s72, v33
	v_cndmask_b32_e32 v9, v9, v34, vcc
	v_xor_b32_e32 v3, v3, v13
	v_xor_b32_e32 v9, v9, v13
	v_sub_co_u32_e32 v12, vcc, v3, v13
	v_subb_co_u32_e32 v13, vcc, v9, v13, vcc
.LBB27_17:                              ;   in Loop: Header=BB27_3 Depth=1
	s_andn2_saveexec_b64 s[0:1], s[70:71]
	s_cbranch_execz .LBB27_19
; %bb.18:                               ;   in Loop: Header=BB27_3 Depth=1
	v_rcp_iflag_f32_e32 v3, v32
	s_sub_i32 s70, 0, s34
	v_mul_f32_e32 v3, 0x4f7ffffe, v3
	v_cvt_u32_f32_e32 v3, v3
	v_mul_lo_u32 v9, s70, v3
	v_mul_hi_u32 v9, v3, v9
	v_add_u32_e32 v3, v3, v9
	v_mul_hi_u32 v3, v18, v3
	v_mul_lo_u32 v9, v3, s34
	v_sub_u32_e32 v9, v18, v9
	v_add_u32_e32 v12, 1, v3
	v_subrev_u32_e32 v13, s34, v9
	v_cmp_le_u32_e32 vcc, s34, v9
	v_cndmask_b32_e32 v9, v9, v13, vcc
	v_cndmask_b32_e32 v3, v3, v12, vcc
	v_add_u32_e32 v12, 1, v3
	v_cmp_le_u32_e32 vcc, s34, v9
	v_cndmask_b32_e32 v12, v3, v12, vcc
	v_mov_b32_e32 v13, v2
.LBB27_19:                              ;   in Loop: Header=BB27_3 Depth=1
	s_or_b64 exec, exec, s[0:1]
	v_mad_u64_u32 v[8:9], s[0:1], s8, v8, 0
	v_add3_u32 v31, v9, v21, v20
	v_mul_lo_u32 v3, v13, s34
	v_mul_lo_u32 v9, v12, s35
	v_mad_u64_u32 v[20:21], s[0:1], v12, s34, 0
	v_add3_u32 v3, v21, v9, v3
	v_sub_co_u32_e32 v9, vcc, v8, v20
	v_subb_co_u32_e32 v3, vcc, v31, v3, vcc
	v_add_co_u32_e32 v9, vcc, v0, v9
	v_addc_co_u32_e32 v3, vcc, v1, v3, vcc
	v_mul_lo_u32 v3, v3, s14
	v_mul_lo_u32 v34, v9, s15
	v_mad_u64_u32 v[20:21], s[0:1], v9, s14, 0
	v_add3_u32 v21, v21, v34, v3
	v_mul_lo_u32 v3, v13, s12
	v_mul_lo_u32 v9, v12, s13
	v_mad_u64_u32 v[12:13], s[0:1], v12, s12, 0
	v_add3_u32 v13, v13, v9, v3
	v_lshlrev_b64 v[12:13], 1, v[12:13]
	v_mov_b32_e32 v3, s3
	v_add_co_u32_e32 v9, vcc, s2, v12
	v_addc_co_u32_e32 v3, vcc, v3, v13, vcc
	v_lshlrev_b64 v[12:13], 1, v[20:21]
	v_add_co_u32_e32 v12, vcc, v9, v12
	v_addc_co_u32_e32 v13, vcc, v3, v13, vcc
	global_load_ushort v9, v[12:13], off
	v_add_co_u32_e32 v10, vcc, 3, v10
	v_addc_co_u32_e32 v3, vcc, 0, v11, vcc
	v_mul_lo_u32 v35, s9, v10
	v_mul_lo_u32 v36, s8, v3
	v_mad_u64_u32 v[20:21], s[0:1], s8, v10, v[0:1]
	v_add3_u32 v21, v35, v21, v36
	v_or_b32_e32 v3, s35, v21
	v_cmp_ne_u64_e32 vcc, 0, v[2:3]
	v_ashrrev_i32_e32 v34, 31, v21
                                        ; implicit-def: $vgpr12_vgpr13
	s_and_saveexec_b64 s[0:1], vcc
	s_xor_b64 s[70:71], exec, s[0:1]
	s_cbranch_execz .LBB27_21
; %bb.20:                               ;   in Loop: Header=BB27_3 Depth=1
	s_ashr_i32 s72, s35, 31
	s_add_u32 s0, s34, s72
	s_mov_b32 s73, s72
	s_addc_u32 s1, s35, s72
	s_xor_b64 s[74:75], s[0:1], s[72:73]
	v_cvt_f32_u32_e32 v3, s74
	v_cvt_f32_u32_e32 v11, s75
	s_sub_u32 s0, 0, s74
	s_subb_u32 s1, 0, s75
	v_mac_f32_e32 v3, 0x4f800000, v11
	v_rcp_f32_e32 v3, v3
	v_mul_f32_e32 v3, 0x5f7ffffc, v3
	v_mul_f32_e32 v11, 0x2f800000, v3
	v_trunc_f32_e32 v11, v11
	v_mac_f32_e32 v3, 0xcf800000, v11
	v_cvt_u32_f32_e32 v11, v11
	v_cvt_u32_f32_e32 v3, v3
	v_mul_lo_u32 v12, s0, v11
	v_mul_hi_u32 v32, s0, v3
	v_mul_lo_u32 v13, s1, v3
	v_add_u32_e32 v12, v32, v12
	v_mul_lo_u32 v37, s0, v3
	v_add_u32_e32 v12, v12, v13
	v_mul_lo_u32 v32, v3, v12
	v_mul_hi_u32 v38, v3, v37
	v_mul_hi_u32 v13, v3, v12
	v_add_co_u32_e32 v32, vcc, v38, v32
	v_addc_co_u32_e32 v13, vcc, 0, v13, vcc
	v_mul_hi_u32 v39, v11, v37
	v_mul_lo_u32 v37, v11, v37
	v_add_co_u32_e32 v32, vcc, v32, v37
	v_mul_hi_u32 v38, v11, v12
	v_addc_co_u32_e32 v13, vcc, v13, v39, vcc
	v_addc_co_u32_e32 v32, vcc, 0, v38, vcc
	v_mul_lo_u32 v12, v11, v12
	v_add_co_u32_e32 v12, vcc, v13, v12
	v_addc_co_u32_e32 v13, vcc, 0, v32, vcc
	v_add_co_u32_e32 v3, vcc, v3, v12
	v_addc_co_u32_e32 v11, vcc, v11, v13, vcc
	v_mul_lo_u32 v12, s0, v11
	v_mul_hi_u32 v13, s0, v3
	v_add_u32_e32 v12, v13, v12
	v_mul_lo_u32 v13, s1, v3
	v_add_u32_e32 v12, v12, v13
	v_mul_lo_u32 v32, s0, v3
	v_mul_hi_u32 v37, v11, v32
	v_mul_lo_u32 v38, v11, v32
	v_mul_lo_u32 v40, v3, v12
	v_mul_hi_u32 v32, v3, v32
	v_mul_hi_u32 v39, v3, v12
	v_add_co_u32_e32 v32, vcc, v32, v40
	v_addc_co_u32_e32 v39, vcc, 0, v39, vcc
	v_add_co_u32_e32 v32, vcc, v32, v38
	v_mul_hi_u32 v13, v11, v12
	v_addc_co_u32_e32 v32, vcc, v39, v37, vcc
	v_addc_co_u32_e32 v13, vcc, 0, v13, vcc
	v_mul_lo_u32 v12, v11, v12
	v_add_co_u32_e32 v12, vcc, v32, v12
	v_addc_co_u32_e32 v13, vcc, 0, v13, vcc
	v_add_co_u32_e32 v3, vcc, v3, v12
	v_addc_co_u32_e32 v11, vcc, v11, v13, vcc
	v_add_co_u32_e32 v12, vcc, v20, v34
	v_addc_co_u32_e32 v13, vcc, v21, v34, vcc
	v_xor_b32_e32 v37, v12, v34
	v_xor_b32_e32 v32, v13, v34
	v_mad_u64_u32 v[12:13], s[0:1], v37, v11, 0
	v_mul_hi_u32 v38, v37, v3
	v_add_co_u32_e32 v40, vcc, v38, v12
	v_addc_co_u32_e32 v41, vcc, 0, v13, vcc
	v_mad_u64_u32 v[38:39], s[0:1], v32, v3, 0
	v_add_co_u32_e32 v3, vcc, v40, v38
	v_mad_u64_u32 v[12:13], s[0:1], v32, v11, 0
	v_addc_co_u32_e32 v3, vcc, v41, v39, vcc
	v_addc_co_u32_e32 v11, vcc, 0, v13, vcc
	v_add_co_u32_e32 v3, vcc, v3, v12
	v_addc_co_u32_e32 v11, vcc, 0, v11, vcc
	v_mul_lo_u32 v38, s75, v3
	v_mul_lo_u32 v39, s74, v11
	v_mad_u64_u32 v[12:13], s[0:1], s74, v3, 0
	v_add3_u32 v13, v13, v39, v38
	v_sub_u32_e32 v38, v32, v13
	v_mov_b32_e32 v39, s75
	v_sub_co_u32_e32 v12, vcc, v37, v12
	v_subb_co_u32_e64 v37, s[0:1], v38, v39, vcc
	v_subrev_co_u32_e64 v38, s[0:1], s74, v12
	v_subbrev_co_u32_e64 v37, s[0:1], 0, v37, s[0:1]
	v_cmp_le_u32_e64 s[0:1], s75, v37
	v_cndmask_b32_e64 v39, 0, -1, s[0:1]
	v_cmp_le_u32_e64 s[0:1], s74, v38
	v_cndmask_b32_e64 v38, 0, -1, s[0:1]
	v_cmp_eq_u32_e64 s[0:1], s75, v37
	v_cndmask_b32_e64 v37, v39, v38, s[0:1]
	v_add_co_u32_e64 v38, s[0:1], 2, v3
	v_subb_co_u32_e32 v13, vcc, v32, v13, vcc
	v_addc_co_u32_e64 v39, s[0:1], 0, v11, s[0:1]
	v_cmp_le_u32_e32 vcc, s75, v13
	v_add_co_u32_e64 v40, s[0:1], 1, v3
	v_cndmask_b32_e64 v32, 0, -1, vcc
	v_cmp_le_u32_e32 vcc, s74, v12
	v_addc_co_u32_e64 v41, s[0:1], 0, v11, s[0:1]
	v_cndmask_b32_e64 v12, 0, -1, vcc
	v_cmp_eq_u32_e32 vcc, s75, v13
	v_cmp_ne_u32_e64 s[0:1], 0, v37
	v_cndmask_b32_e32 v12, v32, v12, vcc
	v_cmp_ne_u32_e32 vcc, 0, v12
	v_cndmask_b32_e64 v12, v40, v38, s[0:1]
	v_cndmask_b32_e64 v37, v41, v39, s[0:1]
	v_cndmask_b32_e32 v3, v3, v12, vcc
	v_xor_b32_e32 v13, s72, v34
	v_cndmask_b32_e32 v11, v11, v37, vcc
	v_xor_b32_e32 v3, v3, v13
	v_xor_b32_e32 v11, v11, v13
	v_sub_co_u32_e32 v12, vcc, v3, v13
	v_subb_co_u32_e32 v13, vcc, v11, v13, vcc
                                        ; implicit-def: $vgpr32
.LBB27_21:                              ;   in Loop: Header=BB27_3 Depth=1
	s_andn2_saveexec_b64 s[0:1], s[70:71]
	s_cbranch_execz .LBB27_23
; %bb.22:                               ;   in Loop: Header=BB27_3 Depth=1
	v_rcp_iflag_f32_e32 v3, v32
	s_sub_i32 s70, 0, s34
	v_mul_f32_e32 v3, 0x4f7ffffe, v3
	v_cvt_u32_f32_e32 v3, v3
	v_mul_lo_u32 v11, s70, v3
	v_mul_hi_u32 v11, v3, v11
	v_add_u32_e32 v3, v3, v11
	v_mul_hi_u32 v3, v20, v3
	v_mul_lo_u32 v11, v3, s34
	v_sub_u32_e32 v11, v20, v11
	v_add_u32_e32 v12, 1, v3
	v_subrev_u32_e32 v13, s34, v11
	v_cmp_le_u32_e32 vcc, s34, v11
	v_cndmask_b32_e32 v11, v11, v13, vcc
	v_cndmask_b32_e32 v3, v3, v12, vcc
	v_add_u32_e32 v12, 1, v3
	v_cmp_le_u32_e32 vcc, s34, v11
	v_cndmask_b32_e32 v12, v3, v12, vcc
	v_mov_b32_e32 v13, v2
.LBB27_23:                              ;   in Loop: Header=BB27_3 Depth=1
	s_or_b64 exec, exec, s[0:1]
	v_mad_u64_u32 v[10:11], s[0:1], s8, v10, 0
	v_add3_u32 v32, v11, v36, v35
	v_mul_lo_u32 v3, v13, s34
	v_mul_lo_u32 v11, v12, s35
	v_mad_u64_u32 v[36:37], s[0:1], v12, s34, 0
	v_add3_u32 v3, v37, v11, v3
	v_sub_co_u32_e32 v11, vcc, v10, v36
	v_subb_co_u32_e32 v3, vcc, v32, v3, vcc
	v_add_co_u32_e32 v11, vcc, v0, v11
	v_addc_co_u32_e32 v3, vcc, v1, v3, vcc
	v_mul_lo_u32 v3, v3, s14
	v_mul_lo_u32 v35, v11, s15
	v_mad_u64_u32 v[36:37], s[0:1], v11, s14, 0
	v_add3_u32 v37, v37, v35, v3
	v_mul_lo_u32 v3, v13, s12
	v_mul_lo_u32 v11, v12, s13
	v_mad_u64_u32 v[12:13], s[0:1], v12, s12, 0
	v_add3_u32 v13, v13, v11, v3
	v_lshlrev_b64 v[12:13], 1, v[12:13]
	v_mov_b32_e32 v3, s3
	v_add_co_u32_e32 v11, vcc, s2, v12
	v_addc_co_u32_e32 v3, vcc, v3, v13, vcc
	v_lshlrev_b64 v[12:13], 1, v[36:37]
	v_add_co_u32_e32 v12, vcc, v11, v12
	v_addc_co_u32_e32 v13, vcc, v3, v13, vcc
	global_load_ushort v11, v[12:13], off
	s_waitcnt lgkmcnt(0)
	v_or_b32_e32 v3, s67, v15
	v_cmp_ne_u64_e32 vcc, 0, v[2:3]
                                        ; implicit-def: $vgpr12_vgpr13
	s_and_saveexec_b64 s[0:1], vcc
	s_xor_b64 s[70:71], exec, s[0:1]
	s_cbranch_execz .LBB27_25
; %bb.24:                               ;   in Loop: Header=BB27_3 Depth=1
	s_ashr_i32 s72, s67, 31
	s_add_u32 s0, s66, s72
	s_mov_b32 s73, s72
	s_addc_u32 s1, s67, s72
	s_xor_b64 s[74:75], s[0:1], s[72:73]
	v_cvt_f32_u32_e32 v3, s74
	v_cvt_f32_u32_e32 v12, s75
	s_sub_u32 s0, 0, s74
	s_subb_u32 s1, 0, s75
	v_mac_f32_e32 v3, 0x4f800000, v12
	v_rcp_f32_e32 v3, v3
	v_mul_f32_e32 v3, 0x5f7ffffc, v3
	v_mul_f32_e32 v12, 0x2f800000, v3
	v_trunc_f32_e32 v12, v12
	v_mac_f32_e32 v3, 0xcf800000, v12
	v_cvt_u32_f32_e32 v12, v12
	v_cvt_u32_f32_e32 v3, v3
	v_mul_lo_u32 v13, s0, v12
	v_mul_hi_u32 v36, s0, v3
	v_mul_lo_u32 v35, s1, v3
	v_add_u32_e32 v13, v36, v13
	v_mul_lo_u32 v37, s0, v3
	v_add_u32_e32 v13, v13, v35
	v_mul_lo_u32 v36, v3, v13
	v_mul_hi_u32 v38, v3, v37
	v_mul_hi_u32 v35, v3, v13
	v_add_co_u32_e32 v36, vcc, v38, v36
	v_addc_co_u32_e32 v35, vcc, 0, v35, vcc
	v_mul_hi_u32 v39, v12, v37
	v_mul_lo_u32 v37, v12, v37
	v_add_co_u32_e32 v36, vcc, v36, v37
	v_mul_hi_u32 v38, v12, v13
	v_addc_co_u32_e32 v35, vcc, v35, v39, vcc
	v_addc_co_u32_e32 v36, vcc, 0, v38, vcc
	v_mul_lo_u32 v13, v12, v13
	v_add_co_u32_e32 v13, vcc, v35, v13
	v_addc_co_u32_e32 v35, vcc, 0, v36, vcc
	v_add_co_u32_e32 v3, vcc, v3, v13
	v_addc_co_u32_e32 v12, vcc, v12, v35, vcc
	v_mul_lo_u32 v13, s0, v12
	v_mul_hi_u32 v35, s0, v3
	v_add_u32_e32 v13, v35, v13
	v_mul_lo_u32 v35, s1, v3
	v_add_u32_e32 v13, v13, v35
	v_mul_lo_u32 v36, s0, v3
	v_mul_hi_u32 v37, v12, v36
	v_mul_lo_u32 v38, v12, v36
	v_mul_lo_u32 v40, v3, v13
	v_mul_hi_u32 v36, v3, v36
	v_mul_hi_u32 v39, v3, v13
	v_add_co_u32_e32 v36, vcc, v36, v40
	v_addc_co_u32_e32 v39, vcc, 0, v39, vcc
	v_add_co_u32_e32 v36, vcc, v36, v38
	v_mul_hi_u32 v35, v12, v13
	v_addc_co_u32_e32 v36, vcc, v39, v37, vcc
	v_addc_co_u32_e32 v35, vcc, 0, v35, vcc
	v_mul_lo_u32 v13, v12, v13
	v_add_co_u32_e32 v13, vcc, v36, v13
	v_addc_co_u32_e32 v35, vcc, 0, v35, vcc
	v_add_co_u32_e32 v3, vcc, v3, v13
	v_addc_co_u32_e32 v35, vcc, v12, v35, vcc
	;; [unrolled: 2-line block ×3, first 2 shown]
	v_xor_b32_e32 v37, v12, v22
	v_xor_b32_e32 v36, v13, v22
	v_mad_u64_u32 v[12:13], s[0:1], v37, v35, 0
	v_mul_hi_u32 v14, v37, v3
	v_add_co_u32_e32 v38, vcc, v14, v12
	v_addc_co_u32_e32 v39, vcc, 0, v13, vcc
	v_mad_u64_u32 v[14:15], s[0:1], v36, v3, 0
	v_add_co_u32_e32 v3, vcc, v38, v14
	v_mad_u64_u32 v[12:13], s[0:1], v36, v35, 0
	v_addc_co_u32_e32 v3, vcc, v39, v15, vcc
	v_addc_co_u32_e32 v13, vcc, 0, v13, vcc
	v_add_co_u32_e32 v3, vcc, v3, v12
	v_addc_co_u32_e32 v14, vcc, 0, v13, vcc
	v_mul_lo_u32 v15, s75, v3
	v_mul_lo_u32 v35, s74, v14
	v_mad_u64_u32 v[12:13], s[0:1], s74, v3, 0
	v_add3_u32 v13, v13, v35, v15
	v_sub_u32_e32 v15, v36, v13
	v_mov_b32_e32 v35, s75
	v_sub_co_u32_e32 v12, vcc, v37, v12
	v_subb_co_u32_e64 v15, s[0:1], v15, v35, vcc
	v_subrev_co_u32_e64 v35, s[0:1], s74, v12
	v_subbrev_co_u32_e64 v15, s[0:1], 0, v15, s[0:1]
	v_cmp_le_u32_e64 s[0:1], s75, v15
	v_cndmask_b32_e64 v37, 0, -1, s[0:1]
	v_cmp_le_u32_e64 s[0:1], s74, v35
	v_cndmask_b32_e64 v35, 0, -1, s[0:1]
	v_cmp_eq_u32_e64 s[0:1], s75, v15
	v_cndmask_b32_e64 v15, v37, v35, s[0:1]
	v_add_co_u32_e64 v35, s[0:1], 2, v3
	v_subb_co_u32_e32 v13, vcc, v36, v13, vcc
	v_addc_co_u32_e64 v37, s[0:1], 0, v14, s[0:1]
	v_cmp_le_u32_e32 vcc, s75, v13
	v_add_co_u32_e64 v38, s[0:1], 1, v3
	v_cndmask_b32_e64 v36, 0, -1, vcc
	v_cmp_le_u32_e32 vcc, s74, v12
	v_addc_co_u32_e64 v39, s[0:1], 0, v14, s[0:1]
	v_cndmask_b32_e64 v12, 0, -1, vcc
	v_cmp_eq_u32_e32 vcc, s75, v13
	v_cmp_ne_u32_e64 s[0:1], 0, v15
	v_cndmask_b32_e32 v12, v36, v12, vcc
	v_cmp_ne_u32_e32 vcc, 0, v12
	v_cndmask_b32_e64 v13, v38, v35, s[0:1]
	v_cndmask_b32_e64 v15, v39, v37, s[0:1]
	v_cndmask_b32_e32 v3, v3, v13, vcc
	v_xor_b32_e32 v13, s72, v22
	v_cndmask_b32_e32 v12, v14, v15, vcc
	v_xor_b32_e32 v3, v3, v13
	v_xor_b32_e32 v14, v12, v13
	v_sub_co_u32_e32 v12, vcc, v3, v13
	v_subb_co_u32_e32 v13, vcc, v14, v13, vcc
                                        ; implicit-def: $vgpr14_vgpr15
.LBB27_25:                              ;   in Loop: Header=BB27_3 Depth=1
	s_or_saveexec_b64 s[0:1], s[70:71]
	v_cvt_f32_u32_e32 v22, s66
	s_xor_b64 exec, exec, s[0:1]
	s_cbranch_execz .LBB27_27
; %bb.26:                               ;   in Loop: Header=BB27_3 Depth=1
	v_rcp_iflag_f32_e32 v3, v22
	s_sub_i32 s70, 0, s66
	v_mul_f32_e32 v3, 0x4f7ffffe, v3
	v_cvt_u32_f32_e32 v3, v3
	v_mul_lo_u32 v12, s70, v3
	v_mul_hi_u32 v12, v3, v12
	v_add_u32_e32 v3, v3, v12
	v_mul_hi_u32 v3, v14, v3
	v_mul_lo_u32 v12, v3, s66
	v_sub_u32_e32 v12, v14, v12
	v_add_u32_e32 v13, 1, v3
	v_subrev_u32_e32 v14, s66, v12
	v_cmp_le_u32_e32 vcc, s66, v12
	v_cndmask_b32_e32 v12, v12, v14, vcc
	v_cndmask_b32_e32 v3, v3, v13, vcc
	v_add_u32_e32 v13, 1, v3
	v_cmp_le_u32_e32 vcc, s66, v12
	v_cndmask_b32_e32 v12, v3, v13, vcc
	v_mov_b32_e32 v13, v2
.LBB27_27:                              ;   in Loop: Header=BB27_3 Depth=1
	s_or_b64 exec, exec, s[0:1]
	v_or_b32_e32 v3, s67, v17
	v_cmp_ne_u64_e32 vcc, 0, v[2:3]
                                        ; implicit-def: $vgpr14_vgpr15
	s_and_saveexec_b64 s[0:1], vcc
	s_xor_b64 s[70:71], exec, s[0:1]
	s_cbranch_execz .LBB27_29
; %bb.28:                               ;   in Loop: Header=BB27_3 Depth=1
	s_ashr_i32 s72, s67, 31
	s_add_u32 s0, s66, s72
	s_mov_b32 s73, s72
	s_addc_u32 s1, s67, s72
	s_xor_b64 s[74:75], s[0:1], s[72:73]
	v_cvt_f32_u32_e32 v3, s74
	v_cvt_f32_u32_e32 v14, s75
	s_sub_u32 s0, 0, s74
	s_subb_u32 s1, 0, s75
	v_mac_f32_e32 v3, 0x4f800000, v14
	v_rcp_f32_e32 v3, v3
	v_mul_f32_e32 v3, 0x5f7ffffc, v3
	v_mul_f32_e32 v14, 0x2f800000, v3
	v_trunc_f32_e32 v14, v14
	v_mac_f32_e32 v3, 0xcf800000, v14
	v_cvt_u32_f32_e32 v14, v14
	v_cvt_u32_f32_e32 v3, v3
	v_mul_lo_u32 v15, s0, v14
	v_mul_hi_u32 v36, s0, v3
	v_mul_lo_u32 v35, s1, v3
	v_add_u32_e32 v15, v36, v15
	v_mul_lo_u32 v37, s0, v3
	v_add_u32_e32 v15, v15, v35
	v_mul_lo_u32 v36, v3, v15
	v_mul_hi_u32 v38, v3, v37
	v_mul_hi_u32 v35, v3, v15
	v_add_co_u32_e32 v36, vcc, v38, v36
	v_addc_co_u32_e32 v35, vcc, 0, v35, vcc
	v_mul_hi_u32 v39, v14, v37
	v_mul_lo_u32 v37, v14, v37
	v_add_co_u32_e32 v36, vcc, v36, v37
	v_mul_hi_u32 v38, v14, v15
	v_addc_co_u32_e32 v35, vcc, v35, v39, vcc
	v_addc_co_u32_e32 v36, vcc, 0, v38, vcc
	v_mul_lo_u32 v15, v14, v15
	v_add_co_u32_e32 v15, vcc, v35, v15
	v_addc_co_u32_e32 v35, vcc, 0, v36, vcc
	v_add_co_u32_e32 v3, vcc, v3, v15
	v_addc_co_u32_e32 v14, vcc, v14, v35, vcc
	v_mul_lo_u32 v15, s0, v14
	v_mul_hi_u32 v35, s0, v3
	v_add_u32_e32 v15, v35, v15
	v_mul_lo_u32 v35, s1, v3
	v_add_u32_e32 v15, v15, v35
	v_mul_lo_u32 v36, s0, v3
	v_mul_hi_u32 v37, v14, v36
	v_mul_lo_u32 v38, v14, v36
	v_mul_lo_u32 v40, v3, v15
	v_mul_hi_u32 v36, v3, v36
	v_mul_hi_u32 v39, v3, v15
	v_add_co_u32_e32 v36, vcc, v36, v40
	v_addc_co_u32_e32 v39, vcc, 0, v39, vcc
	v_add_co_u32_e32 v36, vcc, v36, v38
	v_mul_hi_u32 v35, v14, v15
	v_addc_co_u32_e32 v36, vcc, v39, v37, vcc
	v_addc_co_u32_e32 v35, vcc, 0, v35, vcc
	v_mul_lo_u32 v15, v14, v15
	v_add_co_u32_e32 v15, vcc, v36, v15
	v_addc_co_u32_e32 v35, vcc, 0, v35, vcc
	v_add_co_u32_e32 v3, vcc, v3, v15
	v_addc_co_u32_e32 v35, vcc, v14, v35, vcc
	;; [unrolled: 2-line block ×3, first 2 shown]
	v_xor_b32_e32 v37, v14, v23
	v_xor_b32_e32 v36, v15, v23
	v_mad_u64_u32 v[14:15], s[0:1], v37, v35, 0
	v_mul_hi_u32 v16, v37, v3
	v_add_co_u32_e32 v38, vcc, v16, v14
	v_addc_co_u32_e32 v39, vcc, 0, v15, vcc
	v_mad_u64_u32 v[16:17], s[0:1], v36, v3, 0
	v_add_co_u32_e32 v3, vcc, v38, v16
	v_mad_u64_u32 v[14:15], s[0:1], v36, v35, 0
	v_addc_co_u32_e32 v3, vcc, v39, v17, vcc
	v_addc_co_u32_e32 v15, vcc, 0, v15, vcc
	v_add_co_u32_e32 v3, vcc, v3, v14
	v_addc_co_u32_e32 v16, vcc, 0, v15, vcc
	v_mul_lo_u32 v17, s75, v3
	v_mul_lo_u32 v35, s74, v16
	v_mad_u64_u32 v[14:15], s[0:1], s74, v3, 0
	v_add3_u32 v15, v15, v35, v17
	v_sub_u32_e32 v17, v36, v15
	v_mov_b32_e32 v35, s75
	v_sub_co_u32_e32 v14, vcc, v37, v14
	v_subb_co_u32_e64 v17, s[0:1], v17, v35, vcc
	v_subrev_co_u32_e64 v35, s[0:1], s74, v14
	v_subbrev_co_u32_e64 v17, s[0:1], 0, v17, s[0:1]
	v_cmp_le_u32_e64 s[0:1], s75, v17
	v_cndmask_b32_e64 v37, 0, -1, s[0:1]
	v_cmp_le_u32_e64 s[0:1], s74, v35
	v_cndmask_b32_e64 v35, 0, -1, s[0:1]
	v_cmp_eq_u32_e64 s[0:1], s75, v17
	v_cndmask_b32_e64 v17, v37, v35, s[0:1]
	v_add_co_u32_e64 v35, s[0:1], 2, v3
	v_subb_co_u32_e32 v15, vcc, v36, v15, vcc
	v_addc_co_u32_e64 v37, s[0:1], 0, v16, s[0:1]
	v_cmp_le_u32_e32 vcc, s75, v15
	v_add_co_u32_e64 v38, s[0:1], 1, v3
	v_cndmask_b32_e64 v36, 0, -1, vcc
	v_cmp_le_u32_e32 vcc, s74, v14
	v_addc_co_u32_e64 v39, s[0:1], 0, v16, s[0:1]
	v_cndmask_b32_e64 v14, 0, -1, vcc
	v_cmp_eq_u32_e32 vcc, s75, v15
	v_cmp_ne_u32_e64 s[0:1], 0, v17
	v_cndmask_b32_e32 v14, v36, v14, vcc
	v_cmp_ne_u32_e32 vcc, 0, v14
	v_cndmask_b32_e64 v15, v38, v35, s[0:1]
	v_cndmask_b32_e64 v17, v39, v37, s[0:1]
	v_cndmask_b32_e32 v3, v3, v15, vcc
	v_xor_b32_e32 v15, s72, v23
	v_cndmask_b32_e32 v14, v16, v17, vcc
	v_xor_b32_e32 v3, v3, v15
	v_xor_b32_e32 v16, v14, v15
	v_sub_co_u32_e32 v14, vcc, v3, v15
	v_subb_co_u32_e32 v15, vcc, v16, v15, vcc
                                        ; implicit-def: $vgpr16_vgpr17
.LBB27_29:                              ;   in Loop: Header=BB27_3 Depth=1
	s_andn2_saveexec_b64 s[0:1], s[70:71]
	s_cbranch_execz .LBB27_31
; %bb.30:                               ;   in Loop: Header=BB27_3 Depth=1
	v_rcp_iflag_f32_e32 v3, v22
	s_sub_i32 s70, 0, s66
	v_mul_f32_e32 v3, 0x4f7ffffe, v3
	v_cvt_u32_f32_e32 v3, v3
	v_mul_lo_u32 v14, s70, v3
	v_mul_hi_u32 v14, v3, v14
	v_add_u32_e32 v3, v3, v14
	v_mul_hi_u32 v3, v16, v3
	v_mul_lo_u32 v14, v3, s66
	v_sub_u32_e32 v14, v16, v14
	v_add_u32_e32 v15, 1, v3
	v_subrev_u32_e32 v16, s66, v14
	v_cmp_le_u32_e32 vcc, s66, v14
	v_cndmask_b32_e32 v14, v14, v16, vcc
	v_cndmask_b32_e32 v3, v3, v15, vcc
	v_add_u32_e32 v15, 1, v3
	v_cmp_le_u32_e32 vcc, s66, v14
	v_cndmask_b32_e32 v14, v3, v15, vcc
	v_mov_b32_e32 v15, v2
.LBB27_31:                              ;   in Loop: Header=BB27_3 Depth=1
	s_or_b64 exec, exec, s[0:1]
	v_or_b32_e32 v3, s67, v19
	v_cmp_ne_u64_e32 vcc, 0, v[2:3]
                                        ; implicit-def: $vgpr16_vgpr17
	s_and_saveexec_b64 s[0:1], vcc
	s_xor_b64 s[70:71], exec, s[0:1]
	s_cbranch_execz .LBB27_33
; %bb.32:                               ;   in Loop: Header=BB27_3 Depth=1
	s_ashr_i32 s72, s67, 31
	s_add_u32 s0, s66, s72
	s_mov_b32 s73, s72
	s_addc_u32 s1, s67, s72
	s_xor_b64 s[74:75], s[0:1], s[72:73]
	v_cvt_f32_u32_e32 v3, s74
	v_cvt_f32_u32_e32 v16, s75
	s_sub_u32 s0, 0, s74
	s_subb_u32 s1, 0, s75
	v_mac_f32_e32 v3, 0x4f800000, v16
	v_rcp_f32_e32 v3, v3
	v_mul_f32_e32 v3, 0x5f7ffffc, v3
	v_mul_f32_e32 v16, 0x2f800000, v3
	v_trunc_f32_e32 v16, v16
	v_mac_f32_e32 v3, 0xcf800000, v16
	v_cvt_u32_f32_e32 v16, v16
	v_cvt_u32_f32_e32 v3, v3
	v_mul_lo_u32 v17, s0, v16
	v_mul_hi_u32 v35, s0, v3
	v_mul_lo_u32 v23, s1, v3
	v_add_u32_e32 v17, v35, v17
	v_mul_lo_u32 v36, s0, v3
	v_add_u32_e32 v17, v17, v23
	v_mul_lo_u32 v35, v3, v17
	v_mul_hi_u32 v37, v3, v36
	v_mul_hi_u32 v23, v3, v17
	v_add_co_u32_e32 v35, vcc, v37, v35
	v_addc_co_u32_e32 v23, vcc, 0, v23, vcc
	v_mul_hi_u32 v38, v16, v36
	v_mul_lo_u32 v36, v16, v36
	v_add_co_u32_e32 v35, vcc, v35, v36
	v_mul_hi_u32 v37, v16, v17
	v_addc_co_u32_e32 v23, vcc, v23, v38, vcc
	v_addc_co_u32_e32 v35, vcc, 0, v37, vcc
	v_mul_lo_u32 v17, v16, v17
	v_add_co_u32_e32 v17, vcc, v23, v17
	v_addc_co_u32_e32 v23, vcc, 0, v35, vcc
	v_add_co_u32_e32 v3, vcc, v3, v17
	v_addc_co_u32_e32 v16, vcc, v16, v23, vcc
	v_mul_lo_u32 v17, s0, v16
	v_mul_hi_u32 v23, s0, v3
	v_add_u32_e32 v17, v23, v17
	v_mul_lo_u32 v23, s1, v3
	v_add_u32_e32 v17, v17, v23
	v_mul_lo_u32 v35, s0, v3
	v_mul_hi_u32 v36, v16, v35
	v_mul_lo_u32 v37, v16, v35
	v_mul_lo_u32 v39, v3, v17
	v_mul_hi_u32 v35, v3, v35
	v_mul_hi_u32 v38, v3, v17
	v_add_co_u32_e32 v35, vcc, v35, v39
	v_addc_co_u32_e32 v38, vcc, 0, v38, vcc
	v_add_co_u32_e32 v35, vcc, v35, v37
	v_mul_hi_u32 v23, v16, v17
	v_addc_co_u32_e32 v35, vcc, v38, v36, vcc
	v_addc_co_u32_e32 v23, vcc, 0, v23, vcc
	v_mul_lo_u32 v17, v16, v17
	v_add_co_u32_e32 v17, vcc, v35, v17
	v_addc_co_u32_e32 v23, vcc, 0, v23, vcc
	v_add_co_u32_e32 v3, vcc, v3, v17
	v_addc_co_u32_e32 v23, vcc, v16, v23, vcc
	;; [unrolled: 2-line block ×3, first 2 shown]
	v_xor_b32_e32 v36, v16, v33
	v_xor_b32_e32 v35, v17, v33
	v_mad_u64_u32 v[16:17], s[0:1], v36, v23, 0
	v_mul_hi_u32 v18, v36, v3
	v_add_co_u32_e32 v37, vcc, v18, v16
	v_addc_co_u32_e32 v38, vcc, 0, v17, vcc
	v_mad_u64_u32 v[18:19], s[0:1], v35, v3, 0
	v_add_co_u32_e32 v3, vcc, v37, v18
	v_mad_u64_u32 v[16:17], s[0:1], v35, v23, 0
	v_addc_co_u32_e32 v3, vcc, v38, v19, vcc
	v_addc_co_u32_e32 v17, vcc, 0, v17, vcc
	v_add_co_u32_e32 v3, vcc, v3, v16
	v_addc_co_u32_e32 v18, vcc, 0, v17, vcc
	v_mul_lo_u32 v19, s75, v3
	v_mul_lo_u32 v23, s74, v18
	v_mad_u64_u32 v[16:17], s[0:1], s74, v3, 0
	v_add3_u32 v17, v17, v23, v19
	v_sub_u32_e32 v19, v35, v17
	v_mov_b32_e32 v23, s75
	v_sub_co_u32_e32 v16, vcc, v36, v16
	v_subb_co_u32_e64 v19, s[0:1], v19, v23, vcc
	v_subrev_co_u32_e64 v23, s[0:1], s74, v16
	v_subbrev_co_u32_e64 v19, s[0:1], 0, v19, s[0:1]
	v_cmp_le_u32_e64 s[0:1], s75, v19
	v_cndmask_b32_e64 v36, 0, -1, s[0:1]
	v_cmp_le_u32_e64 s[0:1], s74, v23
	v_cndmask_b32_e64 v23, 0, -1, s[0:1]
	v_cmp_eq_u32_e64 s[0:1], s75, v19
	v_cndmask_b32_e64 v19, v36, v23, s[0:1]
	v_add_co_u32_e64 v23, s[0:1], 2, v3
	v_subb_co_u32_e32 v17, vcc, v35, v17, vcc
	v_addc_co_u32_e64 v36, s[0:1], 0, v18, s[0:1]
	v_cmp_le_u32_e32 vcc, s75, v17
	v_add_co_u32_e64 v37, s[0:1], 1, v3
	v_cndmask_b32_e64 v35, 0, -1, vcc
	v_cmp_le_u32_e32 vcc, s74, v16
	v_addc_co_u32_e64 v38, s[0:1], 0, v18, s[0:1]
	v_cndmask_b32_e64 v16, 0, -1, vcc
	v_cmp_eq_u32_e32 vcc, s75, v17
	v_cmp_ne_u32_e64 s[0:1], 0, v19
	v_cndmask_b32_e32 v16, v35, v16, vcc
	v_cmp_ne_u32_e32 vcc, 0, v16
	v_cndmask_b32_e64 v17, v37, v23, s[0:1]
	v_cndmask_b32_e64 v19, v38, v36, s[0:1]
	v_cndmask_b32_e32 v3, v3, v17, vcc
	v_xor_b32_e32 v17, s72, v33
	v_cndmask_b32_e32 v16, v18, v19, vcc
	v_xor_b32_e32 v3, v3, v17
	v_xor_b32_e32 v18, v16, v17
	v_sub_co_u32_e32 v16, vcc, v3, v17
	v_subb_co_u32_e32 v17, vcc, v18, v17, vcc
                                        ; implicit-def: $vgpr18_vgpr19
.LBB27_33:                              ;   in Loop: Header=BB27_3 Depth=1
	s_andn2_saveexec_b64 s[0:1], s[70:71]
	s_cbranch_execz .LBB27_35
; %bb.34:                               ;   in Loop: Header=BB27_3 Depth=1
	v_rcp_iflag_f32_e32 v3, v22
	s_sub_i32 s70, 0, s66
	v_mul_f32_e32 v3, 0x4f7ffffe, v3
	v_cvt_u32_f32_e32 v3, v3
	v_mul_lo_u32 v16, s70, v3
	v_mul_hi_u32 v16, v3, v16
	v_add_u32_e32 v3, v3, v16
	v_mul_hi_u32 v3, v18, v3
	v_mul_lo_u32 v16, v3, s66
	v_sub_u32_e32 v16, v18, v16
	v_add_u32_e32 v17, 1, v3
	v_subrev_u32_e32 v18, s66, v16
	v_cmp_le_u32_e32 vcc, s66, v16
	v_cndmask_b32_e32 v16, v16, v18, vcc
	v_cndmask_b32_e32 v3, v3, v17, vcc
	v_add_u32_e32 v17, 1, v3
	v_cmp_le_u32_e32 vcc, s66, v16
	v_cndmask_b32_e32 v16, v3, v17, vcc
	v_mov_b32_e32 v17, v2
.LBB27_35:                              ;   in Loop: Header=BB27_3 Depth=1
	s_or_b64 exec, exec, s[0:1]
	v_or_b32_e32 v3, s67, v21
	v_cmp_ne_u64_e32 vcc, 0, v[2:3]
                                        ; implicit-def: $vgpr18_vgpr19
	s_and_saveexec_b64 s[0:1], vcc
	s_xor_b64 s[70:71], exec, s[0:1]
	s_cbranch_execz .LBB27_37
; %bb.36:                               ;   in Loop: Header=BB27_3 Depth=1
	s_ashr_i32 s72, s67, 31
	s_add_u32 s0, s66, s72
	s_mov_b32 s73, s72
	s_addc_u32 s1, s67, s72
	s_xor_b64 s[74:75], s[0:1], s[72:73]
	v_cvt_f32_u32_e32 v3, s74
	v_cvt_f32_u32_e32 v18, s75
	s_sub_u32 s0, 0, s74
	s_subb_u32 s1, 0, s75
	v_mac_f32_e32 v3, 0x4f800000, v18
	v_rcp_f32_e32 v3, v3
	v_mul_f32_e32 v3, 0x5f7ffffc, v3
	v_mul_f32_e32 v18, 0x2f800000, v3
	v_trunc_f32_e32 v18, v18
	v_mac_f32_e32 v3, 0xcf800000, v18
	v_cvt_u32_f32_e32 v18, v18
	v_cvt_u32_f32_e32 v3, v3
	v_mul_lo_u32 v19, s0, v18
	v_mul_hi_u32 v23, s0, v3
	v_mul_lo_u32 v22, s1, v3
	v_add_u32_e32 v19, v23, v19
	v_mul_lo_u32 v33, s0, v3
	v_add_u32_e32 v19, v19, v22
	v_mul_lo_u32 v23, v3, v19
	v_mul_hi_u32 v35, v3, v33
	v_mul_hi_u32 v22, v3, v19
	v_add_co_u32_e32 v23, vcc, v35, v23
	v_addc_co_u32_e32 v22, vcc, 0, v22, vcc
	v_mul_hi_u32 v36, v18, v33
	v_mul_lo_u32 v33, v18, v33
	v_add_co_u32_e32 v23, vcc, v23, v33
	v_mul_hi_u32 v35, v18, v19
	v_addc_co_u32_e32 v22, vcc, v22, v36, vcc
	v_addc_co_u32_e32 v23, vcc, 0, v35, vcc
	v_mul_lo_u32 v19, v18, v19
	v_add_co_u32_e32 v19, vcc, v22, v19
	v_addc_co_u32_e32 v22, vcc, 0, v23, vcc
	v_add_co_u32_e32 v3, vcc, v3, v19
	v_addc_co_u32_e32 v18, vcc, v18, v22, vcc
	v_mul_lo_u32 v19, s0, v18
	v_mul_hi_u32 v22, s0, v3
	v_add_u32_e32 v19, v22, v19
	v_mul_lo_u32 v22, s1, v3
	v_add_u32_e32 v19, v19, v22
	v_mul_lo_u32 v23, s0, v3
	v_mul_hi_u32 v33, v18, v23
	v_mul_lo_u32 v35, v18, v23
	v_mul_lo_u32 v37, v3, v19
	v_mul_hi_u32 v23, v3, v23
	v_mul_hi_u32 v36, v3, v19
	v_add_co_u32_e32 v23, vcc, v23, v37
	v_addc_co_u32_e32 v36, vcc, 0, v36, vcc
	v_add_co_u32_e32 v23, vcc, v23, v35
	v_mul_hi_u32 v22, v18, v19
	v_addc_co_u32_e32 v23, vcc, v36, v33, vcc
	v_addc_co_u32_e32 v22, vcc, 0, v22, vcc
	v_mul_lo_u32 v19, v18, v19
	v_add_co_u32_e32 v19, vcc, v23, v19
	v_addc_co_u32_e32 v22, vcc, 0, v22, vcc
	v_add_co_u32_e32 v3, vcc, v3, v19
	v_addc_co_u32_e32 v22, vcc, v18, v22, vcc
	;; [unrolled: 2-line block ×3, first 2 shown]
	v_xor_b32_e32 v33, v18, v34
	v_xor_b32_e32 v23, v19, v34
	v_mad_u64_u32 v[18:19], s[0:1], v33, v22, 0
	v_mul_hi_u32 v20, v33, v3
	v_add_co_u32_e32 v35, vcc, v20, v18
	v_addc_co_u32_e32 v36, vcc, 0, v19, vcc
	v_mad_u64_u32 v[20:21], s[0:1], v23, v3, 0
	v_add_co_u32_e32 v3, vcc, v35, v20
	v_mad_u64_u32 v[18:19], s[0:1], v23, v22, 0
	v_addc_co_u32_e32 v3, vcc, v36, v21, vcc
	v_addc_co_u32_e32 v19, vcc, 0, v19, vcc
	v_add_co_u32_e32 v3, vcc, v3, v18
	v_addc_co_u32_e32 v20, vcc, 0, v19, vcc
	v_mul_lo_u32 v21, s75, v3
	v_mul_lo_u32 v22, s74, v20
	v_mad_u64_u32 v[18:19], s[0:1], s74, v3, 0
	v_add3_u32 v19, v19, v22, v21
	v_sub_u32_e32 v21, v23, v19
	v_mov_b32_e32 v22, s75
	v_sub_co_u32_e32 v18, vcc, v33, v18
	v_subb_co_u32_e64 v21, s[0:1], v21, v22, vcc
	v_subrev_co_u32_e64 v22, s[0:1], s74, v18
	v_subbrev_co_u32_e64 v21, s[0:1], 0, v21, s[0:1]
	v_cmp_le_u32_e64 s[0:1], s75, v21
	v_cndmask_b32_e64 v33, 0, -1, s[0:1]
	v_cmp_le_u32_e64 s[0:1], s74, v22
	v_cndmask_b32_e64 v22, 0, -1, s[0:1]
	v_cmp_eq_u32_e64 s[0:1], s75, v21
	v_cndmask_b32_e64 v21, v33, v22, s[0:1]
	v_add_co_u32_e64 v22, s[0:1], 2, v3
	v_subb_co_u32_e32 v19, vcc, v23, v19, vcc
	v_addc_co_u32_e64 v33, s[0:1], 0, v20, s[0:1]
	v_cmp_le_u32_e32 vcc, s75, v19
	v_add_co_u32_e64 v35, s[0:1], 1, v3
	v_cndmask_b32_e64 v23, 0, -1, vcc
	v_cmp_le_u32_e32 vcc, s74, v18
	v_addc_co_u32_e64 v36, s[0:1], 0, v20, s[0:1]
	v_cndmask_b32_e64 v18, 0, -1, vcc
	v_cmp_eq_u32_e32 vcc, s75, v19
	v_cmp_ne_u32_e64 s[0:1], 0, v21
	v_cndmask_b32_e32 v18, v23, v18, vcc
	v_cmp_ne_u32_e32 vcc, 0, v18
	v_cndmask_b32_e64 v19, v35, v22, s[0:1]
	v_cndmask_b32_e64 v21, v36, v33, s[0:1]
	v_cndmask_b32_e32 v3, v3, v19, vcc
	v_xor_b32_e32 v19, s72, v34
	v_cndmask_b32_e32 v18, v20, v21, vcc
	v_xor_b32_e32 v3, v3, v19
	v_xor_b32_e32 v20, v18, v19
	v_sub_co_u32_e32 v18, vcc, v3, v19
	v_subb_co_u32_e32 v19, vcc, v20, v19, vcc
                                        ; implicit-def: $vgpr22
                                        ; implicit-def: $vgpr20_vgpr21
.LBB27_37:                              ;   in Loop: Header=BB27_3 Depth=1
	s_andn2_saveexec_b64 s[0:1], s[70:71]
	s_cbranch_execz .LBB27_39
; %bb.38:                               ;   in Loop: Header=BB27_3 Depth=1
	v_rcp_iflag_f32_e32 v3, v22
	s_sub_i32 s70, 0, s66
	v_mul_f32_e32 v3, 0x4f7ffffe, v3
	v_cvt_u32_f32_e32 v3, v3
	v_mul_lo_u32 v18, s70, v3
	v_mul_hi_u32 v18, v3, v18
	v_add_u32_e32 v3, v3, v18
	v_mul_hi_u32 v3, v20, v3
	v_mul_lo_u32 v18, v3, s66
	v_sub_u32_e32 v18, v20, v18
	v_add_u32_e32 v19, 1, v3
	v_subrev_u32_e32 v20, s66, v18
	v_cmp_le_u32_e32 vcc, s66, v18
	v_cndmask_b32_e32 v18, v18, v20, vcc
	v_cndmask_b32_e32 v3, v3, v19, vcc
	v_add_u32_e32 v19, 1, v3
	v_cmp_le_u32_e32 vcc, s66, v18
	v_cndmask_b32_e32 v18, v3, v19, vcc
	v_mov_b32_e32 v19, v2
.LBB27_39:                              ;   in Loop: Header=BB27_3 Depth=1
	s_or_b64 exec, exec, s[0:1]
	v_or_b32_e32 v3, s45, v1
	v_cmp_ne_u64_e32 vcc, 0, v[2:3]
                                        ; implicit-def: $vgpr20_vgpr21
	s_and_saveexec_b64 s[0:1], vcc
	s_xor_b64 s[70:71], exec, s[0:1]
	s_cbranch_execz .LBB27_41
; %bb.40:                               ;   in Loop: Header=BB27_3 Depth=1
	s_ashr_i32 s72, s45, 31
	s_add_u32 s0, s44, s72
	s_mov_b32 s73, s72
	s_addc_u32 s1, s45, s72
	s_xor_b64 s[74:75], s[0:1], s[72:73]
	v_cvt_f32_u32_e32 v3, s74
	v_cvt_f32_u32_e32 v20, s75
	s_sub_u32 s0, 0, s74
	s_subb_u32 s1, 0, s75
	v_mac_f32_e32 v3, 0x4f800000, v20
	v_rcp_f32_e32 v3, v3
	v_mul_f32_e32 v3, 0x5f7ffffc, v3
	v_mul_f32_e32 v20, 0x2f800000, v3
	v_trunc_f32_e32 v20, v20
	v_mac_f32_e32 v3, 0xcf800000, v20
	v_cvt_u32_f32_e32 v20, v20
	v_cvt_u32_f32_e32 v3, v3
	v_mul_lo_u32 v21, s0, v20
	v_mul_hi_u32 v23, s0, v3
	v_mul_lo_u32 v22, s1, v3
	v_add_u32_e32 v21, v23, v21
	v_mul_lo_u32 v33, s0, v3
	v_add_u32_e32 v21, v21, v22
	v_mul_lo_u32 v23, v3, v21
	v_mul_hi_u32 v34, v3, v33
	v_mul_hi_u32 v22, v3, v21
	v_add_co_u32_e32 v23, vcc, v34, v23
	v_addc_co_u32_e32 v22, vcc, 0, v22, vcc
	v_mul_hi_u32 v35, v20, v33
	v_mul_lo_u32 v33, v20, v33
	v_add_co_u32_e32 v23, vcc, v23, v33
	v_mul_hi_u32 v34, v20, v21
	v_addc_co_u32_e32 v22, vcc, v22, v35, vcc
	v_addc_co_u32_e32 v23, vcc, 0, v34, vcc
	v_mul_lo_u32 v21, v20, v21
	v_add_co_u32_e32 v21, vcc, v22, v21
	v_addc_co_u32_e32 v22, vcc, 0, v23, vcc
	v_add_co_u32_e32 v3, vcc, v3, v21
	v_addc_co_u32_e32 v20, vcc, v20, v22, vcc
	v_mul_lo_u32 v21, s0, v20
	v_mul_hi_u32 v22, s0, v3
	v_add_u32_e32 v21, v22, v21
	v_mul_lo_u32 v22, s1, v3
	v_add_u32_e32 v21, v21, v22
	v_mul_lo_u32 v23, s0, v3
	v_mul_hi_u32 v33, v20, v23
	v_mul_lo_u32 v34, v20, v23
	v_mul_lo_u32 v36, v3, v21
	v_mul_hi_u32 v23, v3, v23
	v_mul_hi_u32 v35, v3, v21
	v_add_co_u32_e32 v23, vcc, v23, v36
	v_addc_co_u32_e32 v35, vcc, 0, v35, vcc
	v_add_co_u32_e32 v23, vcc, v23, v34
	v_mul_hi_u32 v22, v20, v21
	v_addc_co_u32_e32 v23, vcc, v35, v33, vcc
	v_addc_co_u32_e32 v22, vcc, 0, v22, vcc
	v_mul_lo_u32 v21, v20, v21
	v_add_co_u32_e32 v21, vcc, v23, v21
	v_addc_co_u32_e32 v22, vcc, 0, v22, vcc
	v_add_co_u32_e32 v3, vcc, v3, v21
	v_addc_co_u32_e32 v22, vcc, v20, v22, vcc
	v_ashrrev_i32_e32 v33, 31, v1
	v_add_co_u32_e32 v20, vcc, v0, v33
	v_addc_co_u32_e32 v21, vcc, v1, v33, vcc
	v_xor_b32_e32 v35, v20, v33
	v_xor_b32_e32 v34, v21, v33
	v_mad_u64_u32 v[20:21], s[0:1], v35, v22, 0
	v_mul_hi_u32 v23, v35, v3
	v_add_co_u32_e32 v36, vcc, v23, v20
	v_addc_co_u32_e32 v37, vcc, 0, v21, vcc
	v_mad_u64_u32 v[20:21], s[0:1], v34, v22, 0
	v_mad_u64_u32 v[22:23], s[0:1], v34, v3, 0
	v_add_co_u32_e32 v3, vcc, v36, v22
	v_addc_co_u32_e32 v3, vcc, v37, v23, vcc
	v_addc_co_u32_e32 v21, vcc, 0, v21, vcc
	v_add_co_u32_e32 v3, vcc, v3, v20
	v_addc_co_u32_e32 v22, vcc, 0, v21, vcc
	v_mul_lo_u32 v23, s75, v3
	v_mul_lo_u32 v36, s74, v22
	v_mad_u64_u32 v[20:21], s[0:1], s74, v3, 0
	v_add3_u32 v21, v21, v36, v23
	v_sub_u32_e32 v23, v34, v21
	v_mov_b32_e32 v36, s75
	v_sub_co_u32_e32 v20, vcc, v35, v20
	v_subb_co_u32_e64 v23, s[0:1], v23, v36, vcc
	v_subrev_co_u32_e64 v35, s[0:1], s74, v20
	v_subbrev_co_u32_e64 v23, s[0:1], 0, v23, s[0:1]
	v_cmp_le_u32_e64 s[0:1], s75, v23
	v_cndmask_b32_e64 v36, 0, -1, s[0:1]
	v_cmp_le_u32_e64 s[0:1], s74, v35
	v_cndmask_b32_e64 v35, 0, -1, s[0:1]
	v_cmp_eq_u32_e64 s[0:1], s75, v23
	v_cndmask_b32_e64 v23, v36, v35, s[0:1]
	v_add_co_u32_e64 v35, s[0:1], 2, v3
	v_subb_co_u32_e32 v21, vcc, v34, v21, vcc
	v_addc_co_u32_e64 v36, s[0:1], 0, v22, s[0:1]
	v_cmp_le_u32_e32 vcc, s75, v21
	v_add_co_u32_e64 v37, s[0:1], 1, v3
	v_cndmask_b32_e64 v34, 0, -1, vcc
	v_cmp_le_u32_e32 vcc, s74, v20
	v_addc_co_u32_e64 v38, s[0:1], 0, v22, s[0:1]
	v_cndmask_b32_e64 v20, 0, -1, vcc
	v_cmp_eq_u32_e32 vcc, s75, v21
	v_cmp_ne_u32_e64 s[0:1], 0, v23
	v_cndmask_b32_e32 v20, v34, v20, vcc
	v_cmp_ne_u32_e32 vcc, 0, v20
	v_cndmask_b32_e64 v21, v37, v35, s[0:1]
	v_cndmask_b32_e64 v23, v38, v36, s[0:1]
	v_cndmask_b32_e32 v3, v3, v21, vcc
	v_xor_b32_e32 v21, s72, v33
	v_cndmask_b32_e32 v20, v22, v23, vcc
	v_xor_b32_e32 v3, v3, v21
	v_xor_b32_e32 v22, v20, v21
	v_sub_co_u32_e32 v20, vcc, v3, v21
	v_subb_co_u32_e32 v21, vcc, v22, v21, vcc
.LBB27_41:                              ;   in Loop: Header=BB27_3 Depth=1
	s_andn2_saveexec_b64 s[0:1], s[70:71]
	s_cbranch_execz .LBB27_43
; %bb.42:                               ;   in Loop: Header=BB27_3 Depth=1
	v_cvt_f32_u32_e32 v3, s44
	s_sub_i32 s70, 0, s44
	v_rcp_iflag_f32_e32 v3, v3
	v_mul_f32_e32 v3, 0x4f7ffffe, v3
	v_cvt_u32_f32_e32 v3, v3
	v_mul_lo_u32 v20, s70, v3
	v_mul_hi_u32 v20, v3, v20
	v_add_u32_e32 v3, v3, v20
	v_mul_hi_u32 v3, v0, v3
	v_mul_lo_u32 v20, v3, s44
	v_sub_u32_e32 v20, v0, v20
	v_add_u32_e32 v21, 1, v3
	v_subrev_u32_e32 v22, s44, v20
	v_cmp_le_u32_e32 vcc, s44, v20
	v_cndmask_b32_e32 v20, v20, v22, vcc
	v_cndmask_b32_e32 v3, v3, v21, vcc
	v_add_u32_e32 v21, 1, v3
	v_cmp_le_u32_e32 vcc, s44, v20
	v_cndmask_b32_e32 v20, v3, v21, vcc
	v_mov_b32_e32 v21, v2
.LBB27_43:                              ;   in Loop: Header=BB27_3 Depth=1
	s_or_b64 exec, exec, s[0:1]
	v_mad_u64_u32 v[22:23], s[0:1], s79, v20, v[0:1]
	v_mul_lo_u32 v3, s79, v21
	v_mul_lo_u32 v33, s80, v20
	v_add3_u32 v3, v33, v23, v3
	v_mul_lo_u32 v33, v22, s19
	v_mul_lo_u32 v3, v3, s18
	v_mad_u64_u32 v[22:23], s[0:1], v22, s18, 0
	v_add3_u32 v23, v23, v33, v3
	v_mul_lo_u32 v3, v21, s16
	v_mul_lo_u32 v33, v20, s17
	v_mad_u64_u32 v[20:21], s[0:1], v20, s16, 0
	v_add3_u32 v21, v21, v33, v3
	v_lshlrev_b64 v[20:21], 1, v[20:21]
	v_mov_b32_e32 v3, s43
	v_add_co_u32_e32 v33, vcc, s42, v20
	v_addc_co_u32_e32 v3, vcc, v3, v21, vcc
	v_lshlrev_b64 v[20:21], 1, v[22:23]
	v_add_co_u32_e32 v20, vcc, v33, v20
	v_addc_co_u32_e32 v21, vcc, v3, v21, vcc
	global_load_ushort v33, v[20:21], off
	v_or_b32_e32 v3, s49, v1
	v_cmp_ne_u64_e32 vcc, 0, v[2:3]
                                        ; implicit-def: $vgpr20_vgpr21
	s_and_saveexec_b64 s[0:1], vcc
	s_xor_b64 s[70:71], exec, s[0:1]
	s_cbranch_execz .LBB27_45
; %bb.44:                               ;   in Loop: Header=BB27_3 Depth=1
	s_ashr_i32 s72, s49, 31
	s_add_u32 s0, s48, s72
	s_mov_b32 s73, s72
	s_addc_u32 s1, s49, s72
	s_xor_b64 s[74:75], s[0:1], s[72:73]
	v_cvt_f32_u32_e32 v3, s74
	v_cvt_f32_u32_e32 v20, s75
	s_sub_u32 s0, 0, s74
	s_subb_u32 s1, 0, s75
	v_mac_f32_e32 v3, 0x4f800000, v20
	v_rcp_f32_e32 v3, v3
	v_mul_f32_e32 v3, 0x5f7ffffc, v3
	v_mul_f32_e32 v20, 0x2f800000, v3
	v_trunc_f32_e32 v20, v20
	v_mac_f32_e32 v3, 0xcf800000, v20
	v_cvt_u32_f32_e32 v20, v20
	v_cvt_u32_f32_e32 v3, v3
	v_mul_lo_u32 v21, s0, v20
	v_mul_hi_u32 v23, s0, v3
	v_mul_lo_u32 v22, s1, v3
	v_add_u32_e32 v21, v23, v21
	v_mul_lo_u32 v34, s0, v3
	v_add_u32_e32 v21, v21, v22
	v_mul_lo_u32 v23, v3, v21
	v_mul_hi_u32 v35, v3, v34
	v_mul_hi_u32 v22, v3, v21
	v_add_co_u32_e32 v23, vcc, v35, v23
	v_addc_co_u32_e32 v22, vcc, 0, v22, vcc
	v_mul_hi_u32 v36, v20, v34
	v_mul_lo_u32 v34, v20, v34
	v_add_co_u32_e32 v23, vcc, v23, v34
	v_mul_hi_u32 v35, v20, v21
	v_addc_co_u32_e32 v22, vcc, v22, v36, vcc
	v_addc_co_u32_e32 v23, vcc, 0, v35, vcc
	v_mul_lo_u32 v21, v20, v21
	v_add_co_u32_e32 v21, vcc, v22, v21
	v_addc_co_u32_e32 v22, vcc, 0, v23, vcc
	v_add_co_u32_e32 v3, vcc, v3, v21
	v_addc_co_u32_e32 v20, vcc, v20, v22, vcc
	v_mul_lo_u32 v21, s0, v20
	v_mul_hi_u32 v22, s0, v3
	v_add_u32_e32 v21, v22, v21
	v_mul_lo_u32 v22, s1, v3
	v_add_u32_e32 v21, v21, v22
	v_mul_lo_u32 v23, s0, v3
	v_mul_hi_u32 v34, v20, v23
	v_mul_lo_u32 v35, v20, v23
	v_mul_lo_u32 v37, v3, v21
	v_mul_hi_u32 v23, v3, v23
	v_mul_hi_u32 v36, v3, v21
	v_add_co_u32_e32 v23, vcc, v23, v37
	v_addc_co_u32_e32 v36, vcc, 0, v36, vcc
	v_add_co_u32_e32 v23, vcc, v23, v35
	v_mul_hi_u32 v22, v20, v21
	v_addc_co_u32_e32 v23, vcc, v36, v34, vcc
	v_addc_co_u32_e32 v22, vcc, 0, v22, vcc
	v_mul_lo_u32 v21, v20, v21
	v_add_co_u32_e32 v21, vcc, v23, v21
	v_addc_co_u32_e32 v22, vcc, 0, v22, vcc
	v_add_co_u32_e32 v3, vcc, v3, v21
	v_addc_co_u32_e32 v22, vcc, v20, v22, vcc
	v_ashrrev_i32_e32 v34, 31, v1
	v_add_co_u32_e32 v20, vcc, v0, v34
	v_addc_co_u32_e32 v21, vcc, v1, v34, vcc
	v_xor_b32_e32 v36, v20, v34
	v_xor_b32_e32 v35, v21, v34
	v_mad_u64_u32 v[20:21], s[0:1], v36, v22, 0
	v_mul_hi_u32 v23, v36, v3
	v_add_co_u32_e32 v37, vcc, v23, v20
	v_addc_co_u32_e32 v38, vcc, 0, v21, vcc
	v_mad_u64_u32 v[20:21], s[0:1], v35, v22, 0
	v_mad_u64_u32 v[22:23], s[0:1], v35, v3, 0
	v_add_co_u32_e32 v3, vcc, v37, v22
	v_addc_co_u32_e32 v3, vcc, v38, v23, vcc
	v_addc_co_u32_e32 v21, vcc, 0, v21, vcc
	v_add_co_u32_e32 v3, vcc, v3, v20
	v_addc_co_u32_e32 v22, vcc, 0, v21, vcc
	v_mul_lo_u32 v23, s75, v3
	v_mul_lo_u32 v37, s74, v22
	v_mad_u64_u32 v[20:21], s[0:1], s74, v3, 0
	v_add3_u32 v21, v21, v37, v23
	v_sub_u32_e32 v23, v35, v21
	v_mov_b32_e32 v37, s75
	v_sub_co_u32_e32 v20, vcc, v36, v20
	v_subb_co_u32_e64 v23, s[0:1], v23, v37, vcc
	v_subrev_co_u32_e64 v36, s[0:1], s74, v20
	v_subbrev_co_u32_e64 v23, s[0:1], 0, v23, s[0:1]
	v_cmp_le_u32_e64 s[0:1], s75, v23
	v_cndmask_b32_e64 v37, 0, -1, s[0:1]
	v_cmp_le_u32_e64 s[0:1], s74, v36
	v_cndmask_b32_e64 v36, 0, -1, s[0:1]
	v_cmp_eq_u32_e64 s[0:1], s75, v23
	v_cndmask_b32_e64 v23, v37, v36, s[0:1]
	v_add_co_u32_e64 v36, s[0:1], 2, v3
	v_subb_co_u32_e32 v21, vcc, v35, v21, vcc
	v_addc_co_u32_e64 v37, s[0:1], 0, v22, s[0:1]
	v_cmp_le_u32_e32 vcc, s75, v21
	v_add_co_u32_e64 v38, s[0:1], 1, v3
	v_cndmask_b32_e64 v35, 0, -1, vcc
	v_cmp_le_u32_e32 vcc, s74, v20
	v_addc_co_u32_e64 v39, s[0:1], 0, v22, s[0:1]
	v_cndmask_b32_e64 v20, 0, -1, vcc
	v_cmp_eq_u32_e32 vcc, s75, v21
	v_cmp_ne_u32_e64 s[0:1], 0, v23
	v_cndmask_b32_e32 v20, v35, v20, vcc
	v_cmp_ne_u32_e32 vcc, 0, v20
	v_cndmask_b32_e64 v21, v38, v36, s[0:1]
	v_cndmask_b32_e64 v23, v39, v37, s[0:1]
	v_cndmask_b32_e32 v3, v3, v21, vcc
	v_xor_b32_e32 v21, s72, v34
	v_cndmask_b32_e32 v20, v22, v23, vcc
	v_xor_b32_e32 v3, v3, v21
	v_xor_b32_e32 v22, v20, v21
	v_sub_co_u32_e32 v20, vcc, v3, v21
	v_subb_co_u32_e32 v21, vcc, v22, v21, vcc
.LBB27_45:                              ;   in Loop: Header=BB27_3 Depth=1
	s_andn2_saveexec_b64 s[0:1], s[70:71]
	s_cbranch_execz .LBB27_47
; %bb.46:                               ;   in Loop: Header=BB27_3 Depth=1
	v_cvt_f32_u32_e32 v3, s48
	s_sub_i32 s70, 0, s48
	v_rcp_iflag_f32_e32 v3, v3
	v_mul_f32_e32 v3, 0x4f7ffffe, v3
	v_cvt_u32_f32_e32 v3, v3
	v_mul_lo_u32 v20, s70, v3
	v_mul_hi_u32 v20, v3, v20
	v_add_u32_e32 v3, v3, v20
	v_mul_hi_u32 v3, v0, v3
	v_mul_lo_u32 v20, v3, s48
	v_sub_u32_e32 v20, v0, v20
	v_add_u32_e32 v21, 1, v3
	v_subrev_u32_e32 v22, s48, v20
	v_cmp_le_u32_e32 vcc, s48, v20
	v_cndmask_b32_e32 v20, v20, v22, vcc
	v_cndmask_b32_e32 v3, v3, v21, vcc
	v_add_u32_e32 v21, 1, v3
	v_cmp_le_u32_e32 vcc, s48, v20
	v_cndmask_b32_e32 v20, v3, v21, vcc
	v_mov_b32_e32 v21, v2
.LBB27_47:                              ;   in Loop: Header=BB27_3 Depth=1
	s_or_b64 exec, exec, s[0:1]
	v_mad_u64_u32 v[22:23], s[0:1], s81, v20, v[0:1]
	v_mul_lo_u32 v3, s81, v21
	v_mul_lo_u32 v34, s82, v20
	v_add3_u32 v3, v34, v23, v3
	v_mul_lo_u32 v34, v22, s23
	v_mul_lo_u32 v3, v3, s22
	v_mad_u64_u32 v[22:23], s[0:1], v22, s22, 0
	v_add3_u32 v23, v23, v34, v3
	v_mul_lo_u32 v3, v21, s20
	v_mul_lo_u32 v34, v20, s21
	v_mad_u64_u32 v[20:21], s[0:1], v20, s20, 0
	v_add3_u32 v21, v21, v34, v3
	v_lshlrev_b64 v[20:21], 1, v[20:21]
	v_mov_b32_e32 v3, s47
	v_add_co_u32_e32 v34, vcc, s46, v20
	v_addc_co_u32_e32 v3, vcc, v3, v21, vcc
	v_lshlrev_b64 v[20:21], 1, v[22:23]
	v_add_co_u32_e32 v20, vcc, v34, v20
	v_addc_co_u32_e32 v21, vcc, v3, v21, vcc
	global_load_ushort v34, v[20:21], off
	v_or_b32_e32 v3, s61, v1
	v_cmp_ne_u64_e32 vcc, 0, v[2:3]
                                        ; implicit-def: $vgpr20_vgpr21
	s_and_saveexec_b64 s[0:1], vcc
	s_xor_b64 s[70:71], exec, s[0:1]
	s_cbranch_execnz .LBB27_60
; %bb.48:                               ;   in Loop: Header=BB27_3 Depth=1
	s_andn2_saveexec_b64 s[0:1], s[70:71]
	s_cbranch_execnz .LBB27_61
.LBB27_49:                              ;   in Loop: Header=BB27_3 Depth=1
	s_or_b64 exec, exec, s[0:1]
	s_andn2_b64 vcc, exec, s[62:63]
	s_cbranch_vccnz .LBB27_62
.LBB27_50:                              ;   in Loop: Header=BB27_3 Depth=1
	v_or_b32_e32 v3, s53, v1
	v_cmp_ne_u64_e32 vcc, 0, v[2:3]
                                        ; implicit-def: $vgpr22_vgpr23
	s_and_saveexec_b64 s[0:1], vcc
	s_xor_b64 s[70:71], exec, s[0:1]
	s_cbranch_execz .LBB27_52
; %bb.51:                               ;   in Loop: Header=BB27_3 Depth=1
	s_ashr_i32 s72, s53, 31
	s_add_u32 s0, s52, s72
	s_mov_b32 s73, s72
	s_addc_u32 s1, s53, s72
	s_xor_b64 s[74:75], s[0:1], s[72:73]
	v_cvt_f32_u32_e32 v3, s74
	v_cvt_f32_u32_e32 v22, s75
	s_sub_u32 s0, 0, s74
	s_subb_u32 s1, 0, s75
	v_mac_f32_e32 v3, 0x4f800000, v22
	v_rcp_f32_e32 v3, v3
	v_mul_f32_e32 v3, 0x5f7ffffc, v3
	v_mul_f32_e32 v22, 0x2f800000, v3
	v_trunc_f32_e32 v22, v22
	v_mac_f32_e32 v3, 0xcf800000, v22
	v_cvt_u32_f32_e32 v22, v22
	v_cvt_u32_f32_e32 v3, v3
	v_mul_lo_u32 v23, s0, v22
	v_mul_hi_u32 v36, s0, v3
	v_mul_lo_u32 v35, s1, v3
	v_add_u32_e32 v23, v36, v23
	v_mul_lo_u32 v37, s0, v3
	v_add_u32_e32 v23, v23, v35
	v_mul_lo_u32 v36, v3, v23
	v_mul_hi_u32 v38, v3, v37
	v_mul_hi_u32 v35, v3, v23
	v_add_co_u32_e32 v36, vcc, v38, v36
	v_addc_co_u32_e32 v35, vcc, 0, v35, vcc
	v_mul_hi_u32 v39, v22, v37
	v_mul_lo_u32 v37, v22, v37
	v_add_co_u32_e32 v36, vcc, v36, v37
	v_mul_hi_u32 v38, v22, v23
	v_addc_co_u32_e32 v35, vcc, v35, v39, vcc
	v_addc_co_u32_e32 v36, vcc, 0, v38, vcc
	v_mul_lo_u32 v23, v22, v23
	v_add_co_u32_e32 v23, vcc, v35, v23
	v_addc_co_u32_e32 v35, vcc, 0, v36, vcc
	v_add_co_u32_e32 v3, vcc, v3, v23
	v_addc_co_u32_e32 v22, vcc, v22, v35, vcc
	v_mul_lo_u32 v23, s0, v22
	v_mul_hi_u32 v35, s0, v3
	v_add_u32_e32 v23, v35, v23
	v_mul_lo_u32 v35, s1, v3
	v_add_u32_e32 v23, v23, v35
	v_mul_lo_u32 v36, s0, v3
	v_mul_hi_u32 v37, v22, v36
	v_mul_lo_u32 v38, v22, v36
	v_mul_lo_u32 v40, v3, v23
	v_mul_hi_u32 v36, v3, v36
	v_mul_hi_u32 v39, v3, v23
	v_add_co_u32_e32 v36, vcc, v36, v40
	v_addc_co_u32_e32 v39, vcc, 0, v39, vcc
	v_add_co_u32_e32 v36, vcc, v36, v38
	v_mul_hi_u32 v35, v22, v23
	v_addc_co_u32_e32 v36, vcc, v39, v37, vcc
	v_addc_co_u32_e32 v35, vcc, 0, v35, vcc
	v_mul_lo_u32 v23, v22, v23
	v_add_co_u32_e32 v23, vcc, v36, v23
	v_addc_co_u32_e32 v35, vcc, 0, v35, vcc
	v_add_co_u32_e32 v3, vcc, v3, v23
	v_addc_co_u32_e32 v35, vcc, v22, v35, vcc
	v_ashrrev_i32_e32 v38, 31, v1
	v_add_co_u32_e32 v22, vcc, v0, v38
	v_addc_co_u32_e32 v23, vcc, v1, v38, vcc
	v_xor_b32_e32 v40, v22, v38
	v_xor_b32_e32 v39, v23, v38
	v_mad_u64_u32 v[22:23], s[0:1], v40, v35, 0
	v_mul_hi_u32 v36, v40, v3
	v_add_co_u32_e32 v41, vcc, v36, v22
	v_addc_co_u32_e32 v42, vcc, 0, v23, vcc
	v_mad_u64_u32 v[36:37], s[0:1], v39, v3, 0
	v_add_co_u32_e32 v3, vcc, v41, v36
	v_mad_u64_u32 v[22:23], s[0:1], v39, v35, 0
	v_addc_co_u32_e32 v3, vcc, v42, v37, vcc
	v_addc_co_u32_e32 v23, vcc, 0, v23, vcc
	v_add_co_u32_e32 v3, vcc, v3, v22
	v_addc_co_u32_e32 v35, vcc, 0, v23, vcc
	v_mul_lo_u32 v36, s75, v3
	v_mul_lo_u32 v37, s74, v35
	v_mad_u64_u32 v[22:23], s[0:1], s74, v3, 0
	v_add3_u32 v23, v23, v37, v36
	v_sub_u32_e32 v36, v39, v23
	v_mov_b32_e32 v37, s75
	v_sub_co_u32_e32 v22, vcc, v40, v22
	v_subb_co_u32_e64 v36, s[0:1], v36, v37, vcc
	v_subrev_co_u32_e64 v37, s[0:1], s74, v22
	v_subbrev_co_u32_e64 v36, s[0:1], 0, v36, s[0:1]
	v_cmp_le_u32_e64 s[0:1], s75, v36
	v_cndmask_b32_e64 v40, 0, -1, s[0:1]
	v_cmp_le_u32_e64 s[0:1], s74, v37
	v_cndmask_b32_e64 v37, 0, -1, s[0:1]
	v_cmp_eq_u32_e64 s[0:1], s75, v36
	v_cndmask_b32_e64 v36, v40, v37, s[0:1]
	v_add_co_u32_e64 v37, s[0:1], 2, v3
	v_subb_co_u32_e32 v23, vcc, v39, v23, vcc
	v_addc_co_u32_e64 v40, s[0:1], 0, v35, s[0:1]
	v_cmp_le_u32_e32 vcc, s75, v23
	v_add_co_u32_e64 v41, s[0:1], 1, v3
	v_cndmask_b32_e64 v39, 0, -1, vcc
	v_cmp_le_u32_e32 vcc, s74, v22
	v_addc_co_u32_e64 v42, s[0:1], 0, v35, s[0:1]
	v_cndmask_b32_e64 v22, 0, -1, vcc
	v_cmp_eq_u32_e32 vcc, s75, v23
	v_cmp_ne_u32_e64 s[0:1], 0, v36
	v_cndmask_b32_e32 v22, v39, v22, vcc
	v_cmp_ne_u32_e32 vcc, 0, v22
	v_cndmask_b32_e64 v23, v41, v37, s[0:1]
	v_cndmask_b32_e64 v36, v42, v40, s[0:1]
	v_cndmask_b32_e32 v3, v3, v23, vcc
	v_xor_b32_e32 v23, s72, v38
	v_cndmask_b32_e32 v22, v35, v36, vcc
	v_xor_b32_e32 v3, v3, v23
	v_xor_b32_e32 v35, v22, v23
	v_sub_co_u32_e32 v22, vcc, v3, v23
	v_subb_co_u32_e32 v23, vcc, v35, v23, vcc
.LBB27_52:                              ;   in Loop: Header=BB27_3 Depth=1
	s_andn2_saveexec_b64 s[0:1], s[70:71]
	s_cbranch_execz .LBB27_54
; %bb.53:                               ;   in Loop: Header=BB27_3 Depth=1
	v_cvt_f32_u32_e32 v3, s52
	s_sub_i32 s70, 0, s52
	v_rcp_iflag_f32_e32 v3, v3
	v_mul_f32_e32 v3, 0x4f7ffffe, v3
	v_cvt_u32_f32_e32 v3, v3
	v_mul_lo_u32 v22, s70, v3
	v_mul_hi_u32 v22, v3, v22
	v_add_u32_e32 v3, v3, v22
	v_mul_hi_u32 v3, v0, v3
	v_mul_lo_u32 v22, v3, s52
	v_sub_u32_e32 v22, v0, v22
	v_add_u32_e32 v23, 1, v3
	v_subrev_u32_e32 v35, s52, v22
	v_cmp_le_u32_e32 vcc, s52, v22
	v_cndmask_b32_e32 v22, v22, v35, vcc
	v_cndmask_b32_e32 v3, v3, v23, vcc
	v_add_u32_e32 v23, 1, v3
	v_cmp_le_u32_e32 vcc, s52, v22
	v_cndmask_b32_e32 v22, v3, v23, vcc
	v_mov_b32_e32 v23, v2
.LBB27_54:                              ;   in Loop: Header=BB27_3 Depth=1
	s_or_b64 exec, exec, s[0:1]
	v_mad_u64_u32 v[36:37], s[0:1], s85, v22, v[0:1]
	v_mul_lo_u32 v3, s85, v23
	v_mul_lo_u32 v35, s86, v22
	v_add3_u32 v3, v35, v37, v3
	v_mul_lo_u32 v35, v36, s27
	v_mul_lo_u32 v3, v3, s26
	v_mad_u64_u32 v[36:37], s[0:1], v36, s26, 0
	v_add3_u32 v37, v37, v35, v3
	v_mul_lo_u32 v3, v23, s24
	v_mul_lo_u32 v35, v22, s25
	v_mad_u64_u32 v[22:23], s[0:1], v22, s24, 0
	v_add3_u32 v23, v23, v35, v3
	v_lshlrev_b64 v[22:23], 1, v[22:23]
	v_mov_b32_e32 v3, s51
	v_add_co_u32_e32 v35, vcc, s50, v22
	v_addc_co_u32_e32 v3, vcc, v3, v23, vcc
	v_lshlrev_b64 v[22:23], 1, v[36:37]
	v_add_co_u32_e32 v22, vcc, v35, v22
	v_addc_co_u32_e32 v23, vcc, v3, v23, vcc
	global_load_ushort v3, v[22:23], off
	s_waitcnt vmcnt(0)
	v_cvt_f32_f16_e32 v35, v3
	s_andn2_b64 vcc, exec, s[64:65]
	s_cbranch_vccnz .LBB27_63
.LBB27_55:                              ;   in Loop: Header=BB27_3 Depth=1
	v_or_b32_e32 v3, s57, v1
	v_cmp_ne_u64_e32 vcc, 0, v[2:3]
                                        ; implicit-def: $vgpr22_vgpr23
	s_and_saveexec_b64 s[0:1], vcc
	s_xor_b64 s[70:71], exec, s[0:1]
	s_cbranch_execz .LBB27_57
; %bb.56:                               ;   in Loop: Header=BB27_3 Depth=1
	s_ashr_i32 s72, s57, 31
	s_add_u32 s0, s56, s72
	s_mov_b32 s73, s72
	s_addc_u32 s1, s57, s72
	s_xor_b64 s[74:75], s[0:1], s[72:73]
	v_cvt_f32_u32_e32 v3, s74
	v_cvt_f32_u32_e32 v22, s75
	s_sub_u32 s0, 0, s74
	s_subb_u32 s1, 0, s75
	v_mac_f32_e32 v3, 0x4f800000, v22
	v_rcp_f32_e32 v3, v3
	v_mul_f32_e32 v3, 0x5f7ffffc, v3
	v_mul_f32_e32 v22, 0x2f800000, v3
	v_trunc_f32_e32 v22, v22
	v_mac_f32_e32 v3, 0xcf800000, v22
	v_cvt_u32_f32_e32 v22, v22
	v_cvt_u32_f32_e32 v3, v3
	v_mul_lo_u32 v23, s0, v22
	v_mul_hi_u32 v37, s0, v3
	v_mul_lo_u32 v36, s1, v3
	v_add_u32_e32 v23, v37, v23
	v_mul_lo_u32 v38, s0, v3
	v_add_u32_e32 v23, v23, v36
	v_mul_lo_u32 v37, v3, v23
	v_mul_hi_u32 v39, v3, v38
	v_mul_hi_u32 v36, v3, v23
	v_add_co_u32_e32 v37, vcc, v39, v37
	v_addc_co_u32_e32 v36, vcc, 0, v36, vcc
	v_mul_hi_u32 v40, v22, v38
	v_mul_lo_u32 v38, v22, v38
	v_add_co_u32_e32 v37, vcc, v37, v38
	v_mul_hi_u32 v39, v22, v23
	v_addc_co_u32_e32 v36, vcc, v36, v40, vcc
	v_addc_co_u32_e32 v37, vcc, 0, v39, vcc
	v_mul_lo_u32 v23, v22, v23
	v_add_co_u32_e32 v23, vcc, v36, v23
	v_addc_co_u32_e32 v36, vcc, 0, v37, vcc
	v_add_co_u32_e32 v3, vcc, v3, v23
	v_addc_co_u32_e32 v22, vcc, v22, v36, vcc
	v_mul_lo_u32 v23, s0, v22
	v_mul_hi_u32 v36, s0, v3
	v_add_u32_e32 v23, v36, v23
	v_mul_lo_u32 v36, s1, v3
	v_add_u32_e32 v23, v23, v36
	v_mul_lo_u32 v37, s0, v3
	v_mul_hi_u32 v38, v22, v37
	v_mul_lo_u32 v39, v22, v37
	v_mul_lo_u32 v41, v3, v23
	v_mul_hi_u32 v37, v3, v37
	v_mul_hi_u32 v40, v3, v23
	v_add_co_u32_e32 v37, vcc, v37, v41
	v_addc_co_u32_e32 v40, vcc, 0, v40, vcc
	v_add_co_u32_e32 v37, vcc, v37, v39
	v_mul_hi_u32 v36, v22, v23
	v_addc_co_u32_e32 v37, vcc, v40, v38, vcc
	v_addc_co_u32_e32 v36, vcc, 0, v36, vcc
	v_mul_lo_u32 v23, v22, v23
	v_add_co_u32_e32 v23, vcc, v37, v23
	v_addc_co_u32_e32 v36, vcc, 0, v36, vcc
	v_add_co_u32_e32 v3, vcc, v3, v23
	v_addc_co_u32_e32 v36, vcc, v22, v36, vcc
	v_ashrrev_i32_e32 v38, 31, v1
	v_add_co_u32_e32 v22, vcc, v0, v38
	v_addc_co_u32_e32 v23, vcc, v1, v38, vcc
	v_xor_b32_e32 v40, v22, v38
	v_xor_b32_e32 v39, v23, v38
	v_mad_u64_u32 v[22:23], s[0:1], v40, v36, 0
	v_mul_hi_u32 v37, v40, v3
	v_add_co_u32_e32 v41, vcc, v37, v22
	v_addc_co_u32_e32 v42, vcc, 0, v23, vcc
	v_mad_u64_u32 v[22:23], s[0:1], v39, v36, 0
	v_mad_u64_u32 v[36:37], s[0:1], v39, v3, 0
	v_add_co_u32_e32 v3, vcc, v41, v36
	v_addc_co_u32_e32 v3, vcc, v42, v37, vcc
	v_addc_co_u32_e32 v23, vcc, 0, v23, vcc
	v_add_co_u32_e32 v3, vcc, v3, v22
	v_addc_co_u32_e32 v36, vcc, 0, v23, vcc
	v_mul_lo_u32 v37, s75, v3
	v_mul_lo_u32 v41, s74, v36
	v_mad_u64_u32 v[22:23], s[0:1], s74, v3, 0
	v_add3_u32 v23, v23, v41, v37
	v_sub_u32_e32 v37, v39, v23
	v_mov_b32_e32 v41, s75
	v_sub_co_u32_e32 v22, vcc, v40, v22
	v_subb_co_u32_e64 v37, s[0:1], v37, v41, vcc
	v_subrev_co_u32_e64 v40, s[0:1], s74, v22
	v_subbrev_co_u32_e64 v37, s[0:1], 0, v37, s[0:1]
	v_cmp_le_u32_e64 s[0:1], s75, v37
	v_cndmask_b32_e64 v41, 0, -1, s[0:1]
	v_cmp_le_u32_e64 s[0:1], s74, v40
	v_cndmask_b32_e64 v40, 0, -1, s[0:1]
	v_cmp_eq_u32_e64 s[0:1], s75, v37
	v_cndmask_b32_e64 v37, v41, v40, s[0:1]
	v_add_co_u32_e64 v40, s[0:1], 2, v3
	v_subb_co_u32_e32 v23, vcc, v39, v23, vcc
	v_addc_co_u32_e64 v41, s[0:1], 0, v36, s[0:1]
	v_cmp_le_u32_e32 vcc, s75, v23
	v_add_co_u32_e64 v42, s[0:1], 1, v3
	v_cndmask_b32_e64 v39, 0, -1, vcc
	v_cmp_le_u32_e32 vcc, s74, v22
	v_addc_co_u32_e64 v43, s[0:1], 0, v36, s[0:1]
	v_cndmask_b32_e64 v22, 0, -1, vcc
	v_cmp_eq_u32_e32 vcc, s75, v23
	v_cmp_ne_u32_e64 s[0:1], 0, v37
	v_cndmask_b32_e32 v22, v39, v22, vcc
	v_cmp_ne_u32_e32 vcc, 0, v22
	v_cndmask_b32_e64 v23, v42, v40, s[0:1]
	v_cndmask_b32_e64 v37, v43, v41, s[0:1]
	v_cndmask_b32_e32 v3, v3, v23, vcc
	v_xor_b32_e32 v23, s72, v38
	v_cndmask_b32_e32 v22, v36, v37, vcc
	v_xor_b32_e32 v3, v3, v23
	v_xor_b32_e32 v36, v22, v23
	v_sub_co_u32_e32 v22, vcc, v3, v23
	v_subb_co_u32_e32 v23, vcc, v36, v23, vcc
.LBB27_57:                              ;   in Loop: Header=BB27_3 Depth=1
	s_andn2_saveexec_b64 s[0:1], s[70:71]
	s_cbranch_execz .LBB27_59
; %bb.58:                               ;   in Loop: Header=BB27_3 Depth=1
	v_cvt_f32_u32_e32 v3, s56
	s_sub_i32 s70, 0, s56
	v_rcp_iflag_f32_e32 v3, v3
	v_mul_f32_e32 v3, 0x4f7ffffe, v3
	v_cvt_u32_f32_e32 v3, v3
	v_mul_lo_u32 v22, s70, v3
	v_mul_hi_u32 v22, v3, v22
	v_add_u32_e32 v3, v3, v22
	v_mul_hi_u32 v3, v0, v3
	v_mul_lo_u32 v22, v3, s56
	v_sub_u32_e32 v22, v0, v22
	v_add_u32_e32 v23, 1, v3
	v_subrev_u32_e32 v36, s56, v22
	v_cmp_le_u32_e32 vcc, s56, v22
	v_cndmask_b32_e32 v22, v22, v36, vcc
	v_cndmask_b32_e32 v3, v3, v23, vcc
	v_add_u32_e32 v23, 1, v3
	v_cmp_le_u32_e32 vcc, s56, v22
	v_cndmask_b32_e32 v22, v3, v23, vcc
	v_mov_b32_e32 v23, v2
.LBB27_59:                              ;   in Loop: Header=BB27_3 Depth=1
	s_or_b64 exec, exec, s[0:1]
	v_mad_u64_u32 v[36:37], s[0:1], s87, v22, v[0:1]
	v_mul_lo_u32 v3, s87, v23
	v_mul_lo_u32 v38, s88, v22
	v_add3_u32 v3, v38, v37, v3
	v_mul_lo_u32 v38, v36, s31
	v_mul_lo_u32 v3, v3, s30
	v_mad_u64_u32 v[36:37], s[0:1], v36, s30, 0
	v_add3_u32 v37, v37, v38, v3
	v_mul_lo_u32 v3, v23, s28
	v_mul_lo_u32 v38, v22, s29
	v_mad_u64_u32 v[22:23], s[0:1], v22, s28, 0
	v_add3_u32 v23, v23, v38, v3
	v_lshlrev_b64 v[22:23], 1, v[22:23]
	v_mov_b32_e32 v3, s55
	v_add_co_u32_e32 v38, vcc, s54, v22
	v_addc_co_u32_e32 v3, vcc, v3, v23, vcc
	v_lshlrev_b64 v[22:23], 1, v[36:37]
	v_add_co_u32_e32 v22, vcc, v38, v22
	v_addc_co_u32_e32 v23, vcc, v3, v23, vcc
	global_load_ushort v3, v[22:23], off
	s_waitcnt vmcnt(0)
	v_cvt_f32_f16_e32 v3, v3
	s_branch .LBB27_64
.LBB27_60:                              ;   in Loop: Header=BB27_3 Depth=1
	s_ashr_i32 s72, s61, 31
	s_add_u32 s0, s60, s72
	s_mov_b32 s73, s72
	s_addc_u32 s1, s61, s72
	s_xor_b64 s[74:75], s[0:1], s[72:73]
	v_cvt_f32_u32_e32 v3, s74
	v_cvt_f32_u32_e32 v20, s75
	s_sub_u32 s0, 0, s74
	s_subb_u32 s1, 0, s75
	v_mac_f32_e32 v3, 0x4f800000, v20
	v_rcp_f32_e32 v3, v3
	v_mul_f32_e32 v3, 0x5f7ffffc, v3
	v_mul_f32_e32 v20, 0x2f800000, v3
	v_trunc_f32_e32 v20, v20
	v_mac_f32_e32 v3, 0xcf800000, v20
	v_cvt_u32_f32_e32 v20, v20
	v_cvt_u32_f32_e32 v3, v3
	v_mul_lo_u32 v21, s0, v20
	v_mul_hi_u32 v23, s0, v3
	v_mul_lo_u32 v22, s1, v3
	v_add_u32_e32 v21, v23, v21
	v_mul_lo_u32 v35, s0, v3
	v_add_u32_e32 v21, v21, v22
	v_mul_lo_u32 v23, v3, v21
	v_mul_hi_u32 v36, v3, v35
	v_mul_hi_u32 v22, v3, v21
	v_add_co_u32_e32 v23, vcc, v36, v23
	v_addc_co_u32_e32 v22, vcc, 0, v22, vcc
	v_mul_hi_u32 v37, v20, v35
	v_mul_lo_u32 v35, v20, v35
	v_add_co_u32_e32 v23, vcc, v23, v35
	v_mul_hi_u32 v36, v20, v21
	v_addc_co_u32_e32 v22, vcc, v22, v37, vcc
	v_addc_co_u32_e32 v23, vcc, 0, v36, vcc
	v_mul_lo_u32 v21, v20, v21
	v_add_co_u32_e32 v21, vcc, v22, v21
	v_addc_co_u32_e32 v22, vcc, 0, v23, vcc
	v_add_co_u32_e32 v3, vcc, v3, v21
	v_addc_co_u32_e32 v20, vcc, v20, v22, vcc
	v_mul_lo_u32 v21, s0, v20
	v_mul_hi_u32 v22, s0, v3
	v_add_u32_e32 v21, v22, v21
	v_mul_lo_u32 v22, s1, v3
	v_add_u32_e32 v21, v21, v22
	v_mul_lo_u32 v23, s0, v3
	v_mul_hi_u32 v35, v20, v23
	v_mul_lo_u32 v36, v20, v23
	v_mul_lo_u32 v38, v3, v21
	v_mul_hi_u32 v23, v3, v23
	v_mul_hi_u32 v37, v3, v21
	v_add_co_u32_e32 v23, vcc, v23, v38
	v_addc_co_u32_e32 v37, vcc, 0, v37, vcc
	v_add_co_u32_e32 v23, vcc, v23, v36
	v_mul_hi_u32 v22, v20, v21
	v_addc_co_u32_e32 v23, vcc, v37, v35, vcc
	v_addc_co_u32_e32 v22, vcc, 0, v22, vcc
	v_mul_lo_u32 v21, v20, v21
	v_add_co_u32_e32 v21, vcc, v23, v21
	v_addc_co_u32_e32 v22, vcc, 0, v22, vcc
	v_add_co_u32_e32 v3, vcc, v3, v21
	v_addc_co_u32_e32 v22, vcc, v20, v22, vcc
	v_ashrrev_i32_e32 v35, 31, v1
	v_add_co_u32_e32 v20, vcc, v0, v35
	v_addc_co_u32_e32 v21, vcc, v1, v35, vcc
	v_xor_b32_e32 v37, v20, v35
	v_xor_b32_e32 v36, v21, v35
	v_mad_u64_u32 v[20:21], s[0:1], v37, v22, 0
	v_mul_hi_u32 v23, v37, v3
	v_add_co_u32_e32 v38, vcc, v23, v20
	v_addc_co_u32_e32 v39, vcc, 0, v21, vcc
	v_mad_u64_u32 v[20:21], s[0:1], v36, v22, 0
	v_mad_u64_u32 v[22:23], s[0:1], v36, v3, 0
	v_add_co_u32_e32 v3, vcc, v38, v22
	v_addc_co_u32_e32 v3, vcc, v39, v23, vcc
	v_addc_co_u32_e32 v21, vcc, 0, v21, vcc
	v_add_co_u32_e32 v3, vcc, v3, v20
	v_addc_co_u32_e32 v22, vcc, 0, v21, vcc
	v_mul_lo_u32 v23, s75, v3
	v_mul_lo_u32 v38, s74, v22
	v_mad_u64_u32 v[20:21], s[0:1], s74, v3, 0
	v_add3_u32 v21, v21, v38, v23
	v_sub_u32_e32 v23, v36, v21
	v_mov_b32_e32 v38, s75
	v_sub_co_u32_e32 v20, vcc, v37, v20
	v_subb_co_u32_e64 v23, s[0:1], v23, v38, vcc
	v_subrev_co_u32_e64 v37, s[0:1], s74, v20
	v_subbrev_co_u32_e64 v23, s[0:1], 0, v23, s[0:1]
	v_cmp_le_u32_e64 s[0:1], s75, v23
	v_cndmask_b32_e64 v38, 0, -1, s[0:1]
	v_cmp_le_u32_e64 s[0:1], s74, v37
	v_cndmask_b32_e64 v37, 0, -1, s[0:1]
	v_cmp_eq_u32_e64 s[0:1], s75, v23
	v_cndmask_b32_e64 v23, v38, v37, s[0:1]
	v_add_co_u32_e64 v37, s[0:1], 2, v3
	v_subb_co_u32_e32 v21, vcc, v36, v21, vcc
	v_addc_co_u32_e64 v38, s[0:1], 0, v22, s[0:1]
	v_cmp_le_u32_e32 vcc, s75, v21
	v_add_co_u32_e64 v39, s[0:1], 1, v3
	v_cndmask_b32_e64 v36, 0, -1, vcc
	v_cmp_le_u32_e32 vcc, s74, v20
	v_addc_co_u32_e64 v40, s[0:1], 0, v22, s[0:1]
	v_cndmask_b32_e64 v20, 0, -1, vcc
	v_cmp_eq_u32_e32 vcc, s75, v21
	v_cmp_ne_u32_e64 s[0:1], 0, v23
	v_cndmask_b32_e32 v20, v36, v20, vcc
	v_cmp_ne_u32_e32 vcc, 0, v20
	v_cndmask_b32_e64 v21, v39, v37, s[0:1]
	v_cndmask_b32_e64 v23, v40, v38, s[0:1]
	v_cndmask_b32_e32 v3, v3, v21, vcc
	v_xor_b32_e32 v21, s72, v35
	v_cndmask_b32_e32 v20, v22, v23, vcc
	v_xor_b32_e32 v3, v3, v21
	v_xor_b32_e32 v22, v20, v21
	v_sub_co_u32_e32 v20, vcc, v3, v21
	v_subb_co_u32_e32 v21, vcc, v22, v21, vcc
	s_andn2_saveexec_b64 s[0:1], s[70:71]
	s_cbranch_execz .LBB27_49
.LBB27_61:                              ;   in Loop: Header=BB27_3 Depth=1
	v_cvt_f32_u32_e32 v3, s60
	s_sub_i32 s70, 0, s60
	v_rcp_iflag_f32_e32 v3, v3
	v_mul_f32_e32 v3, 0x4f7ffffe, v3
	v_cvt_u32_f32_e32 v3, v3
	v_mul_lo_u32 v20, s70, v3
	v_mul_hi_u32 v20, v3, v20
	v_add_u32_e32 v3, v3, v20
	v_mul_hi_u32 v3, v0, v3
	v_mul_lo_u32 v20, v3, s60
	v_sub_u32_e32 v20, v0, v20
	v_add_u32_e32 v21, 1, v3
	v_subrev_u32_e32 v22, s60, v20
	v_cmp_le_u32_e32 vcc, s60, v20
	v_cndmask_b32_e32 v20, v20, v22, vcc
	v_cndmask_b32_e32 v3, v3, v21, vcc
	v_add_u32_e32 v21, 1, v3
	v_cmp_le_u32_e32 vcc, s60, v20
	v_cndmask_b32_e32 v20, v3, v21, vcc
	v_mov_b32_e32 v21, v2
	s_or_b64 exec, exec, s[0:1]
	s_andn2_b64 vcc, exec, s[62:63]
	s_cbranch_vccz .LBB27_50
.LBB27_62:                              ;   in Loop: Header=BB27_3 Depth=1
	v_mov_b32_e32 v35, 0
	s_andn2_b64 vcc, exec, s[64:65]
	s_cbranch_vccz .LBB27_55
.LBB27_63:                              ;   in Loop: Header=BB27_3 Depth=1
	v_mov_b32_e32 v3, 0
.LBB27_64:                              ;   in Loop: Header=BB27_3 Depth=1
	s_waitcnt vmcnt(0)
	v_cvt_f32_f16_e32 v22, v34
                                        ; implicit-def: $vgpr23
	v_cmp_nlt_f32_e64 s[0:1], |v22|, s89
	s_and_saveexec_b64 s[70:71], s[0:1]
	s_xor_b64 s[0:1], exec, s[70:71]
	s_cbranch_execz .LBB27_66
; %bb.65:                               ;   in Loop: Header=BB27_3 Depth=1
	v_add_f32_e64 v23, |v22|, |v22|
	v_mul_f32_e32 v34, 0x3fb8aa3b, v23
	v_rndne_f32_e32 v36, v34
	v_sub_f32_e32 v37, v34, v36
	v_fma_f32 v34, v23, s90, -v34
	v_fmac_f32_e32 v34, 0x32a5705f, v23
	v_add_f32_e32 v34, v37, v34
	v_cvt_i32_f32_e32 v36, v36
	v_exp_f32_e32 v34, v34
	v_cmp_ngt_f32_e32 vcc, s91, v23
	v_ldexp_f32 v34, v34, v36
	v_cndmask_b32_e32 v34, 0, v34, vcc
	v_cmp_nlt_f32_e32 vcc, s92, v23
	v_cndmask_b32_e32 v23, v28, v34, vcc
	v_add_f32_e32 v23, 1.0, v23
	v_rcp_f32_e32 v23, v23
	v_fma_f32 v23, v23, -2.0, 1.0
.LBB27_66:                              ;   in Loop: Header=BB27_3 Depth=1
	s_andn2_saveexec_b64 s[0:1], s[0:1]
	s_cbranch_execz .LBB27_2
; %bb.67:                               ;   in Loop: Header=BB27_3 Depth=1
	v_mul_f32_e32 v23, v22, v22
	v_mov_b32_e32 v34, 0x3ca908c9
	v_fmac_f32_e32 v34, 0xbbbac73d, v23
	v_fma_f32 v34, v23, v34, v24
	v_fma_f32 v34, v23, v34, v25
	;; [unrolled: 1-line block ×3, first 2 shown]
	v_mul_f32_e64 v34, |v22|, v34
	v_fma_f32 v23, v23, v34, |v22|
	s_branch .LBB27_2
.LBB27_68:
	s_endpgm
	.section	.rodata,"a",@progbits
	.p2align	6, 0x0
	.amdhsa_kernel _ZN2at6native12_GLOBAL__N_16kernel18lstm_cell_backwardIN3c104HalfEflLi2EEEvNS_4cuda6detail10TensorInfoIT_T1_EESB_SB_SB_SB_SB_SB_SA_SA_
		.amdhsa_group_segment_fixed_size 0
		.amdhsa_private_segment_fixed_size 0
		.amdhsa_kernarg_size 3184
		.amdhsa_user_sgpr_count 6
		.amdhsa_user_sgpr_private_segment_buffer 1
		.amdhsa_user_sgpr_dispatch_ptr 0
		.amdhsa_user_sgpr_queue_ptr 0
		.amdhsa_user_sgpr_kernarg_segment_ptr 1
		.amdhsa_user_sgpr_dispatch_id 0
		.amdhsa_user_sgpr_flat_scratch_init 0
		.amdhsa_user_sgpr_kernarg_preload_length 0
		.amdhsa_user_sgpr_kernarg_preload_offset 0
		.amdhsa_user_sgpr_private_segment_size 0
		.amdhsa_uses_dynamic_stack 0
		.amdhsa_system_sgpr_private_segment_wavefront_offset 0
		.amdhsa_system_sgpr_workgroup_id_x 1
		.amdhsa_system_sgpr_workgroup_id_y 0
		.amdhsa_system_sgpr_workgroup_id_z 0
		.amdhsa_system_sgpr_workgroup_info 0
		.amdhsa_system_vgpr_workitem_id 0
		.amdhsa_next_free_vgpr 44
		.amdhsa_next_free_sgpr 95
		.amdhsa_accum_offset 44
		.amdhsa_reserve_vcc 1
		.amdhsa_reserve_flat_scratch 0
		.amdhsa_float_round_mode_32 0
		.amdhsa_float_round_mode_16_64 0
		.amdhsa_float_denorm_mode_32 3
		.amdhsa_float_denorm_mode_16_64 3
		.amdhsa_dx10_clamp 1
		.amdhsa_ieee_mode 1
		.amdhsa_fp16_overflow 0
		.amdhsa_tg_split 0
		.amdhsa_exception_fp_ieee_invalid_op 0
		.amdhsa_exception_fp_denorm_src 0
		.amdhsa_exception_fp_ieee_div_zero 0
		.amdhsa_exception_fp_ieee_overflow 0
		.amdhsa_exception_fp_ieee_underflow 0
		.amdhsa_exception_fp_ieee_inexact 0
		.amdhsa_exception_int_div_zero 0
	.end_amdhsa_kernel
	.section	.text._ZN2at6native12_GLOBAL__N_16kernel18lstm_cell_backwardIN3c104HalfEflLi2EEEvNS_4cuda6detail10TensorInfoIT_T1_EESB_SB_SB_SB_SB_SB_SA_SA_,"axG",@progbits,_ZN2at6native12_GLOBAL__N_16kernel18lstm_cell_backwardIN3c104HalfEflLi2EEEvNS_4cuda6detail10TensorInfoIT_T1_EESB_SB_SB_SB_SB_SB_SA_SA_,comdat
.Lfunc_end27:
	.size	_ZN2at6native12_GLOBAL__N_16kernel18lstm_cell_backwardIN3c104HalfEflLi2EEEvNS_4cuda6detail10TensorInfoIT_T1_EESB_SB_SB_SB_SB_SB_SA_SA_, .Lfunc_end27-_ZN2at6native12_GLOBAL__N_16kernel18lstm_cell_backwardIN3c104HalfEflLi2EEEvNS_4cuda6detail10TensorInfoIT_T1_EESB_SB_SB_SB_SB_SB_SA_SA_
                                        ; -- End function
	.section	.AMDGPU.csdata,"",@progbits
; Kernel info:
; codeLenInByte = 14196
; NumSgprs: 99
; NumVgprs: 44
; NumAgprs: 0
; TotalNumVgprs: 44
; ScratchSize: 0
; MemoryBound: 0
; FloatMode: 240
; IeeeMode: 1
; LDSByteSize: 0 bytes/workgroup (compile time only)
; SGPRBlocks: 12
; VGPRBlocks: 5
; NumSGPRsForWavesPerEU: 99
; NumVGPRsForWavesPerEU: 44
; AccumOffset: 44
; Occupancy: 8
; WaveLimiterHint : 1
; COMPUTE_PGM_RSRC2:SCRATCH_EN: 0
; COMPUTE_PGM_RSRC2:USER_SGPR: 6
; COMPUTE_PGM_RSRC2:TRAP_HANDLER: 0
; COMPUTE_PGM_RSRC2:TGID_X_EN: 1
; COMPUTE_PGM_RSRC2:TGID_Y_EN: 0
; COMPUTE_PGM_RSRC2:TGID_Z_EN: 0
; COMPUTE_PGM_RSRC2:TIDIG_COMP_CNT: 0
; COMPUTE_PGM_RSRC3_GFX90A:ACCUM_OFFSET: 10
; COMPUTE_PGM_RSRC3_GFX90A:TG_SPLIT: 0
	.section	.text._ZN2at6native12_GLOBAL__N_16kernel18lstm_cell_backwardIN3c108BFloat16EfiLi1EEEvNS_4cuda6detail10TensorInfoIT_T1_EESB_SB_SB_SB_SB_SB_SA_SA_,"axG",@progbits,_ZN2at6native12_GLOBAL__N_16kernel18lstm_cell_backwardIN3c108BFloat16EfiLi1EEEvNS_4cuda6detail10TensorInfoIT_T1_EESB_SB_SB_SB_SB_SB_SA_SA_,comdat
	.globl	_ZN2at6native12_GLOBAL__N_16kernel18lstm_cell_backwardIN3c108BFloat16EfiLi1EEEvNS_4cuda6detail10TensorInfoIT_T1_EESB_SB_SB_SB_SB_SB_SA_SA_ ; -- Begin function _ZN2at6native12_GLOBAL__N_16kernel18lstm_cell_backwardIN3c108BFloat16EfiLi1EEEvNS_4cuda6detail10TensorInfoIT_T1_EESB_SB_SB_SB_SB_SB_SA_SA_
	.p2align	8
	.type	_ZN2at6native12_GLOBAL__N_16kernel18lstm_cell_backwardIN3c108BFloat16EfiLi1EEEvNS_4cuda6detail10TensorInfoIT_T1_EESB_SB_SB_SB_SB_SB_SA_SA_,@function
_ZN2at6native12_GLOBAL__N_16kernel18lstm_cell_backwardIN3c108BFloat16EfiLi1EEEvNS_4cuda6detail10TensorInfoIT_T1_EESB_SB_SB_SB_SB_SB_SA_SA_: ; @_ZN2at6native12_GLOBAL__N_16kernel18lstm_cell_backwardIN3c108BFloat16EfiLi1EEEvNS_4cuda6detail10TensorInfoIT_T1_EESB_SB_SB_SB_SB_SB_SA_SA_
; %bb.0:
	s_load_dword s7, s[4:5], 0x5fc
	s_load_dwordx2 s[2:3], s[4:5], 0x5e8
	s_add_u32 s0, s4, 0x5f0
	s_addc_u32 s1, s5, 0
	s_waitcnt lgkmcnt(0)
	s_and_b32 s22, s7, 0xffff
	s_mul_i32 s6, s6, s22
	v_add_u32_e32 v0, s6, v0
	v_cmp_gt_i32_e32 vcc, s3, v0
	s_and_saveexec_b64 s[6:7], vcc
	s_cbranch_execz .LBB28_12
; %bb.1:
	s_load_dwordx2 s[6:7], s[4:5], 0x360
	s_load_dword s23, s[4:5], 0x3cc
	s_load_dwordx2 s[8:9], s[4:5], 0x438
	s_load_dwordx2 s[10:11], s[4:5], 0x0
	s_load_dword s24, s[4:5], 0x6c
	s_load_dwordx2 s[12:13], s[4:5], 0xd8
	s_load_dword s25, s[4:5], 0x144
	s_load_dword s35, s[4:5], 0x4a4
	s_waitcnt lgkmcnt(0)
	s_cmp_lg_u64 s[6:7], 0
	s_cselect_b64 s[36:37], -1, 0
	s_cmp_lg_u64 s[8:9], 0
	s_cselect_b64 s[14:15], -1, 0
	s_abs_i32 s26, s2
	v_cvt_f32_u32_e32 v1, s26
	s_load_dwordx2 s[16:17], s[4:5], 0x1b0
	s_load_dword s30, s[4:5], 0x21c
	s_load_dwordx2 s[18:19], s[4:5], 0x288
	s_load_dword s31, s[4:5], 0x2f4
	s_load_dword s27, s[0:1], 0x0
	s_load_dwordx2 s[20:21], s[4:5], 0x510
	s_nop 0
	s_load_dword s0, s[4:5], 0x57c
	s_sub_i32 s1, 0, s26
	v_rcp_iflag_f32_e32 v1, v1
	v_cndmask_b32_e64 v3, 0, 1, s[36:37]
	s_waitcnt lgkmcnt(0)
	s_mul_i32 s27, s27, s22
	s_mov_b64 s[4:5], 0
	v_mul_f32_e32 v1, 0x4f7ffffe, v1
	v_cvt_u32_f32_e32 v1, v1
	s_ashr_i32 s28, s2, 31
	s_mul_i32 s29, s2, 3
	v_mul_lo_u32 v4, v0, s31
	v_mul_lo_u32 v2, s1, v1
	v_mul_hi_u32 v2, v1, v2
	v_add_u32_e32 v1, v1, v2
	v_mul_lo_u32 v2, v0, s30
	s_mul_i32 s30, s27, s30
	s_mul_i32 s31, s27, s31
	v_mul_lo_u32 v6, v0, s0
	s_mul_i32 s33, s27, s0
	v_mul_lo_u32 v8, v0, s23
	;; [unrolled: 2-line block ×3, first 2 shown]
	s_mul_i32 s35, s27, s35
	v_mov_b32_e32 v18, s11
	v_mov_b32_e32 v19, s17
	;; [unrolled: 1-line block ×3, first 2 shown]
	v_cmp_ne_u32_e64 s[0:1], 1, v3
	s_mov_b32 s11, 0x3f200000
	s_mov_b32 s17, 0x3fb8aa3b
	;; [unrolled: 1-line block ×4, first 2 shown]
	v_mov_b32_e32 v21, 0xbd5c1c4e
	v_mov_b32_e32 v22, 0x3e088382
	;; [unrolled: 1-line block ×3, first 2 shown]
	s_brev_b32 s37, -2
	s_movk_i32 s38, 0x7fff
	v_mov_b32_e32 v24, 0x7f800000
	v_mov_b32_e32 v25, 0x7fc0
	s_branch .LBB28_3
.LBB28_2:                               ;   in Loop: Header=BB28_3 Depth=1
	s_or_b64 exec, exec, s[22:23]
	v_mul_lo_u32 v28, v12, s25
	v_ashrrev_i32_e32 v29, 31, v28
	v_lshlrev_b64 v[28:29], 1, v[28:29]
	v_mul_lo_u32 v30, v7, s25
	v_mov_b32_e32 v12, s13
	v_add_co_u32_e32 v28, vcc, s12, v28
	v_ashrrev_i32_e32 v31, 31, v30
	v_addc_co_u32_e32 v29, vcc, v12, v29, vcc
	v_lshlrev_b64 v[30:31], 1, v[30:31]
	v_mul_lo_u32 v32, v14, s25
	v_add_co_u32_e32 v30, vcc, s12, v30
	v_ashrrev_i32_e32 v33, 31, v32
	v_addc_co_u32_e32 v31, vcc, v12, v31, vcc
	v_lshlrev_b64 v[32:33], 1, v[32:33]
	v_mul_lo_u32 v34, v16, s25
	v_add_co_u32_e32 v32, vcc, s12, v32
	v_ashrrev_i32_e32 v35, 31, v34
	v_addc_co_u32_e32 v33, vcc, v12, v33, vcc
	v_lshlrev_b64 v[34:35], 1, v[34:35]
	v_add_co_u32_e32 v34, vcc, s12, v34
	v_ashrrev_i32_e32 v7, 31, v6
	v_addc_co_u32_e32 v35, vcc, v12, v35, vcc
	v_lshlrev_b64 v[36:37], 1, v[6:7]
	v_mov_b32_e32 v7, s21
	v_add_co_u32_e32 v36, vcc, s20, v36
	v_addc_co_u32_e32 v37, vcc, v7, v37, vcc
	v_bfi_b32 v7, s37, v11, v9
	v_lshlrev_b32_e32 v11, 16, v27
	v_mul_f32_e32 v9, v5, v7
	v_mul_f32_e32 v5, v5, v11
	v_fma_f32 v7, -v7, v7, 1.0
	v_fmac_f32_e32 v13, v5, v7
	v_lshlrev_b32_e32 v3, 16, v3
	v_lshlrev_b32_e32 v5, 16, v26
	v_sub_f32_e32 v12, 1.0, v5
	v_mul_f32_e32 v3, v13, v3
	v_mul_f32_e32 v3, v12, v3
	v_lshlrev_b32_e32 v15, 16, v15
	v_lshlrev_b32_e32 v14, 16, v17
	v_mul_f32_e32 v7, v13, v5
	v_mul_f32_e32 v3, v3, v5
	;; [unrolled: 1-line block ×3, first 2 shown]
	v_sub_f32_e32 v12, 1.0, v15
	v_mul_f32_e32 v5, v12, v5
	v_mov_b32_e32 v12, v14
	v_pk_mul_f32 v[12:13], v[12:13], v[14:15]
	v_sub_f32_e32 v12, 1.0, v12
	v_mul_f32_e32 v12, v12, v13
	v_sub_f32_e32 v13, 1.0, v11
	v_mul_f32_e32 v5, v5, v15
	v_mul_f32_e32 v9, v13, v9
	;; [unrolled: 1-line block ×3, first 2 shown]
	v_bfe_u32 v11, v5, 16, 1
	v_add3_u32 v11, v5, v11, s38
	v_lshrrev_b32_e32 v11, 16, v11
	v_cmp_o_f32_e32 vcc, v5, v5
	v_cndmask_b32_e32 v5, v25, v11, vcc
	global_store_short v[28:29], v5, off
	v_bfe_u32 v5, v3, 16, 1
	v_add3_u32 v5, v3, v5, s38
	v_lshrrev_b32_e32 v5, 16, v5
	v_cmp_o_f32_e32 vcc, v3, v3
	v_cndmask_b32_e32 v3, v25, v5, vcc
	global_store_short v[30:31], v3, off
	;; [unrolled: 6-line block ×4, first 2 shown]
	v_bfe_u32 v3, v7, 16, 1
	v_add3_u32 v3, v7, v3, s38
	v_lshrrev_b32_e32 v3, 16, v3
	v_cmp_o_f32_e32 vcc, v7, v7
	v_add_u32_e32 v0, s27, v0
	v_cndmask_b32_e32 v3, v25, v3, vcc
	v_cmp_le_i32_e32 vcc, s3, v0
	v_add_u32_e32 v2, s30, v2
	v_add_u32_e32 v4, s31, v4
	;; [unrolled: 1-line block ×4, first 2 shown]
	s_or_b64 s[4:5], vcc, s[4:5]
	v_add_u32_e32 v10, s35, v10
	global_store_short v[36:37], v3, off
	s_andn2_b64 exec, exec, s[4:5]
	s_cbranch_execz .LBB28_12
.LBB28_3:                               ; =>This Inner Loop Header: Depth=1
	v_sub_u32_e32 v5, 0, v0
	v_max_i32_e32 v5, v0, v5
	v_mul_hi_u32 v7, v5, v1
	v_mul_lo_u32 v9, v7, s26
	v_sub_u32_e32 v5, v5, v9
	v_add_u32_e32 v9, 1, v7
	v_cmp_le_u32_e32 vcc, s26, v5
	v_cndmask_b32_e32 v7, v7, v9, vcc
	v_subrev_u32_e32 v9, s26, v5
	v_cndmask_b32_e32 v5, v5, v9, vcc
	v_ashrrev_i32_e32 v3, 31, v0
	v_add_u32_e32 v9, 1, v7
	v_cmp_le_u32_e32 vcc, s26, v5
	v_xor_b32_e32 v3, s28, v3
	v_cndmask_b32_e32 v5, v7, v9, vcc
	v_xor_b32_e32 v5, v5, v3
	v_sub_u32_e32 v7, v5, v3
	v_mad_u64_u32 v[12:13], s[22:23], s29, v7, v[0:1]
	v_lshl_add_u32 v5, v5, 1, v5
	v_mul_i32_i24_e32 v3, 3, v3
	v_mul_lo_u32 v14, v12, s24
	v_sub_u32_e32 v3, v5, v3
	v_ashrrev_i32_e32 v15, 31, v14
	v_mul_lo_u32 v5, s2, v3
	v_lshlrev_b64 v[14:15], 1, v[14:15]
	v_add3_u32 v7, v5, s2, v0
	v_add_co_u32_e32 v28, vcc, s10, v14
	v_mul_lo_u32 v14, v7, s24
	v_addc_co_u32_e32 v29, vcc, v18, v15, vcc
	v_ashrrev_i32_e32 v15, 31, v14
	v_lshlrev_b64 v[14:15], 1, v[14:15]
	v_add_co_u32_e32 v30, vcc, s10, v14
	v_add_u32_e32 v5, 2, v3
	v_addc_co_u32_e32 v31, vcc, v18, v15, vcc
	v_mad_u64_u32 v[14:15], s[22:23], s2, v5, v[0:1]
	v_mul_lo_u32 v16, v14, s24
	v_ashrrev_i32_e32 v17, 31, v16
	v_lshlrev_b64 v[16:17], 1, v[16:17]
	v_add_co_u32_e32 v32, vcc, s10, v16
	v_add_u32_e32 v3, 3, v3
	v_addc_co_u32_e32 v33, vcc, v18, v17, vcc
	v_mad_u64_u32 v[16:17], s[22:23], s2, v3, v[0:1]
	v_mul_lo_u32 v26, v16, s24
	v_ashrrev_i32_e32 v27, 31, v26
	v_lshlrev_b64 v[26:27], 1, v[26:27]
	v_add_co_u32_e32 v34, vcc, s10, v26
	v_ashrrev_i32_e32 v3, 31, v2
	v_addc_co_u32_e32 v35, vcc, v18, v27, vcc
	global_load_ushort v15, v[28:29], off
	global_load_ushort v26, v[30:31], off
	;; [unrolled: 1-line block ×4, first 2 shown]
	v_lshlrev_b64 v[28:29], 1, v[2:3]
	v_add_co_u32_e32 v28, vcc, s16, v28
	v_addc_co_u32_e32 v29, vcc, v19, v29, vcc
	v_ashrrev_i32_e32 v5, 31, v4
	global_load_ushort v3, v[28:29], off
	v_lshlrev_b64 v[28:29], 1, v[4:5]
	v_add_co_u32_e32 v28, vcc, s18, v28
	v_addc_co_u32_e32 v29, vcc, v20, v29, vcc
	global_load_ushort v28, v[28:29], off
	s_and_b64 vcc, exec, s[0:1]
	v_mov_b32_e32 v5, 0
	s_cbranch_vccnz .LBB28_5
; %bb.4:                                ;   in Loop: Header=BB28_3 Depth=1
	v_ashrrev_i32_e32 v9, 31, v8
	v_lshlrev_b64 v[30:31], 1, v[8:9]
	v_mov_b32_e32 v5, s7
	v_add_co_u32_e32 v30, vcc, s6, v30
	v_addc_co_u32_e32 v31, vcc, v5, v31, vcc
	global_load_ushort v5, v[30:31], off
	s_waitcnt vmcnt(0)
	v_lshlrev_b32_e32 v5, 16, v5
.LBB28_5:                               ;   in Loop: Header=BB28_3 Depth=1
	s_andn2_b64 vcc, exec, s[14:15]
	s_cbranch_vccnz .LBB28_7
; %bb.6:                                ;   in Loop: Header=BB28_3 Depth=1
	v_ashrrev_i32_e32 v11, 31, v10
	v_lshlrev_b64 v[30:31], 1, v[10:11]
	v_mov_b32_e32 v9, s9
	v_add_co_u32_e32 v30, vcc, s8, v30
	v_addc_co_u32_e32 v31, vcc, v9, v31, vcc
	global_load_ushort v9, v[30:31], off
	s_waitcnt vmcnt(0)
	v_lshlrev_b32_e32 v13, 16, v9
	s_branch .LBB28_8
.LBB28_7:                               ;   in Loop: Header=BB28_3 Depth=1
	v_mov_b32_e32 v13, 0
.LBB28_8:                               ;   in Loop: Header=BB28_3 Depth=1
	s_waitcnt vmcnt(0)
	v_lshlrev_b32_e32 v9, 16, v28
	v_cmp_nlt_f32_e64 s[22:23], |v9|, s11
                                        ; implicit-def: $vgpr11
	s_and_saveexec_b64 s[40:41], s[22:23]
	s_xor_b64 s[22:23], exec, s[40:41]
	s_cbranch_execz .LBB28_10
; %bb.9:                                ;   in Loop: Header=BB28_3 Depth=1
	v_add_f32_e64 v11, |v9|, |v9|
	v_mul_f32_e32 v28, 0x3fb8aa3b, v11
	v_rndne_f32_e32 v29, v28
	v_sub_f32_e32 v30, v28, v29
	v_fma_f32 v28, v11, s17, -v28
	v_fmac_f32_e32 v28, 0x32a5705f, v11
	v_add_f32_e32 v28, v30, v28
	v_cvt_i32_f32_e32 v29, v29
	v_exp_f32_e32 v28, v28
	v_cmp_ngt_f32_e32 vcc, s19, v11
	v_ldexp_f32 v28, v28, v29
	v_cndmask_b32_e32 v28, 0, v28, vcc
	v_cmp_nlt_f32_e32 vcc, s36, v11
	v_cndmask_b32_e32 v11, v24, v28, vcc
	v_add_f32_e32 v11, 1.0, v11
	v_rcp_f32_e32 v11, v11
	v_fma_f32 v11, v11, -2.0, 1.0
.LBB28_10:                              ;   in Loop: Header=BB28_3 Depth=1
	s_andn2_saveexec_b64 s[22:23], s[22:23]
	s_cbranch_execz .LBB28_2
; %bb.11:                               ;   in Loop: Header=BB28_3 Depth=1
	v_mul_f32_e32 v11, v9, v9
	v_mov_b32_e32 v28, 0x3ca908c9
	v_fmac_f32_e32 v28, 0xbbbac73d, v11
	v_fma_f32 v28, v11, v28, v21
	v_fma_f32 v28, v11, v28, v22
	;; [unrolled: 1-line block ×3, first 2 shown]
	v_mul_f32_e64 v28, |v9|, v28
	v_fma_f32 v11, v11, v28, |v9|
	s_branch .LBB28_2
.LBB28_12:
	s_endpgm
	.section	.rodata,"a",@progbits
	.p2align	6, 0x0
	.amdhsa_kernel _ZN2at6native12_GLOBAL__N_16kernel18lstm_cell_backwardIN3c108BFloat16EfiLi1EEEvNS_4cuda6detail10TensorInfoIT_T1_EESB_SB_SB_SB_SB_SB_SA_SA_
		.amdhsa_group_segment_fixed_size 0
		.amdhsa_private_segment_fixed_size 0
		.amdhsa_kernarg_size 1776
		.amdhsa_user_sgpr_count 6
		.amdhsa_user_sgpr_private_segment_buffer 1
		.amdhsa_user_sgpr_dispatch_ptr 0
		.amdhsa_user_sgpr_queue_ptr 0
		.amdhsa_user_sgpr_kernarg_segment_ptr 1
		.amdhsa_user_sgpr_dispatch_id 0
		.amdhsa_user_sgpr_flat_scratch_init 0
		.amdhsa_user_sgpr_kernarg_preload_length 0
		.amdhsa_user_sgpr_kernarg_preload_offset 0
		.amdhsa_user_sgpr_private_segment_size 0
		.amdhsa_uses_dynamic_stack 0
		.amdhsa_system_sgpr_private_segment_wavefront_offset 0
		.amdhsa_system_sgpr_workgroup_id_x 1
		.amdhsa_system_sgpr_workgroup_id_y 0
		.amdhsa_system_sgpr_workgroup_id_z 0
		.amdhsa_system_sgpr_workgroup_info 0
		.amdhsa_system_vgpr_workitem_id 0
		.amdhsa_next_free_vgpr 38
		.amdhsa_next_free_sgpr 42
		.amdhsa_accum_offset 40
		.amdhsa_reserve_vcc 1
		.amdhsa_reserve_flat_scratch 0
		.amdhsa_float_round_mode_32 0
		.amdhsa_float_round_mode_16_64 0
		.amdhsa_float_denorm_mode_32 3
		.amdhsa_float_denorm_mode_16_64 3
		.amdhsa_dx10_clamp 1
		.amdhsa_ieee_mode 1
		.amdhsa_fp16_overflow 0
		.amdhsa_tg_split 0
		.amdhsa_exception_fp_ieee_invalid_op 0
		.amdhsa_exception_fp_denorm_src 0
		.amdhsa_exception_fp_ieee_div_zero 0
		.amdhsa_exception_fp_ieee_overflow 0
		.amdhsa_exception_fp_ieee_underflow 0
		.amdhsa_exception_fp_ieee_inexact 0
		.amdhsa_exception_int_div_zero 0
	.end_amdhsa_kernel
	.section	.text._ZN2at6native12_GLOBAL__N_16kernel18lstm_cell_backwardIN3c108BFloat16EfiLi1EEEvNS_4cuda6detail10TensorInfoIT_T1_EESB_SB_SB_SB_SB_SB_SA_SA_,"axG",@progbits,_ZN2at6native12_GLOBAL__N_16kernel18lstm_cell_backwardIN3c108BFloat16EfiLi1EEEvNS_4cuda6detail10TensorInfoIT_T1_EESB_SB_SB_SB_SB_SB_SA_SA_,comdat
.Lfunc_end28:
	.size	_ZN2at6native12_GLOBAL__N_16kernel18lstm_cell_backwardIN3c108BFloat16EfiLi1EEEvNS_4cuda6detail10TensorInfoIT_T1_EESB_SB_SB_SB_SB_SB_SA_SA_, .Lfunc_end28-_ZN2at6native12_GLOBAL__N_16kernel18lstm_cell_backwardIN3c108BFloat16EfiLi1EEEvNS_4cuda6detail10TensorInfoIT_T1_EESB_SB_SB_SB_SB_SB_SA_SA_
                                        ; -- End function
	.section	.AMDGPU.csdata,"",@progbits
; Kernel info:
; codeLenInByte = 1568
; NumSgprs: 46
; NumVgprs: 38
; NumAgprs: 0
; TotalNumVgprs: 38
; ScratchSize: 0
; MemoryBound: 0
; FloatMode: 240
; IeeeMode: 1
; LDSByteSize: 0 bytes/workgroup (compile time only)
; SGPRBlocks: 5
; VGPRBlocks: 4
; NumSGPRsForWavesPerEU: 46
; NumVGPRsForWavesPerEU: 38
; AccumOffset: 40
; Occupancy: 8
; WaveLimiterHint : 1
; COMPUTE_PGM_RSRC2:SCRATCH_EN: 0
; COMPUTE_PGM_RSRC2:USER_SGPR: 6
; COMPUTE_PGM_RSRC2:TRAP_HANDLER: 0
; COMPUTE_PGM_RSRC2:TGID_X_EN: 1
; COMPUTE_PGM_RSRC2:TGID_Y_EN: 0
; COMPUTE_PGM_RSRC2:TGID_Z_EN: 0
; COMPUTE_PGM_RSRC2:TIDIG_COMP_CNT: 0
; COMPUTE_PGM_RSRC3_GFX90A:ACCUM_OFFSET: 9
; COMPUTE_PGM_RSRC3_GFX90A:TG_SPLIT: 0
	.section	.text._ZN2at6native12_GLOBAL__N_16kernel18lstm_cell_backwardIN3c108BFloat16EfiLi2EEEvNS_4cuda6detail10TensorInfoIT_T1_EESB_SB_SB_SB_SB_SB_SA_SA_,"axG",@progbits,_ZN2at6native12_GLOBAL__N_16kernel18lstm_cell_backwardIN3c108BFloat16EfiLi2EEEvNS_4cuda6detail10TensorInfoIT_T1_EESB_SB_SB_SB_SB_SB_SA_SA_,comdat
	.globl	_ZN2at6native12_GLOBAL__N_16kernel18lstm_cell_backwardIN3c108BFloat16EfiLi2EEEvNS_4cuda6detail10TensorInfoIT_T1_EESB_SB_SB_SB_SB_SB_SA_SA_ ; -- Begin function _ZN2at6native12_GLOBAL__N_16kernel18lstm_cell_backwardIN3c108BFloat16EfiLi2EEEvNS_4cuda6detail10TensorInfoIT_T1_EESB_SB_SB_SB_SB_SB_SA_SA_
	.p2align	8
	.type	_ZN2at6native12_GLOBAL__N_16kernel18lstm_cell_backwardIN3c108BFloat16EfiLi2EEEvNS_4cuda6detail10TensorInfoIT_T1_EESB_SB_SB_SB_SB_SB_SA_SA_,@function
_ZN2at6native12_GLOBAL__N_16kernel18lstm_cell_backwardIN3c108BFloat16EfiLi2EEEvNS_4cuda6detail10TensorInfoIT_T1_EESB_SB_SB_SB_SB_SB_SA_SA_: ; @_ZN2at6native12_GLOBAL__N_16kernel18lstm_cell_backwardIN3c108BFloat16EfiLi2EEEvNS_4cuda6detail10TensorInfoIT_T1_EESB_SB_SB_SB_SB_SB_SA_SA_
; %bb.0:
	s_load_dword s2, s[4:5], 0x5fc
	s_load_dwordx2 s[0:1], s[4:5], 0x5e8
	s_add_u32 s30, s4, 0x5f0
	s_addc_u32 s31, s5, 0
	s_waitcnt lgkmcnt(0)
	s_and_b32 s38, s2, 0xffff
	s_mul_i32 s6, s6, s38
	v_add_u32_e32 v0, s6, v0
	v_cmp_gt_i32_e32 vcc, s1, v0
	s_and_saveexec_b64 s[2:3], vcc
	s_cbranch_execz .LBB29_11
; %bb.1:
	s_load_dwordx2 s[2:3], s[4:5], 0x0
	s_load_dword s33, s[4:5], 0xc
	s_load_dwordx2 s[6:7], s[4:5], 0x6c
	s_load_dwordx2 s[8:9], s[4:5], 0xd8
	s_load_dword s40, s[4:5], 0xe4
	s_load_dwordx2 s[10:11], s[4:5], 0x144
	s_load_dwordx2 s[12:13], s[4:5], 0x1b0
	s_load_dword s39, s[4:5], 0x1bc
	s_load_dwordx2 s[14:15], s[4:5], 0x360
	s_load_dword s62, s[4:5], 0x36c
	s_load_dwordx2 s[16:17], s[4:5], 0x3cc
	s_load_dwordx2 s[18:19], s[4:5], 0x438
	s_load_dwordx2 s[20:21], s[4:5], 0x21c
	s_load_dwordx2 s[22:23], s[4:5], 0x288
	s_load_dword s60, s[4:5], 0x294
	s_load_dwordx2 s[24:25], s[4:5], 0x2f4
	s_waitcnt lgkmcnt(0)
	s_cmp_lg_u64 s[14:15], 0
	s_cselect_b64 s[26:27], -1, 0
	s_cmp_lg_u64 s[18:19], 0
	s_cselect_b64 s[28:29], -1, 0
	s_abs_i32 s41, s0
	v_cvt_f32_u32_e32 v1, s41
	s_load_dword s42, s[30:31], 0x0
	s_abs_i32 s43, s33
	v_cvt_f32_u32_e32 v2, s43
	v_rcp_iflag_f32_e32 v1, v1
	s_abs_i32 s45, s40
	s_waitcnt lgkmcnt(0)
	s_mul_i32 s42, s42, s38
	s_sub_i32 s38, 0, s41
	v_mul_f32_e32 v1, 0x4f7ffffe, v1
	v_cvt_u32_f32_e32 v1, v1
	v_rcp_iflag_f32_e32 v2, v2
	s_abs_i32 s47, s39
	s_abs_i32 s49, s60
	v_mul_lo_u32 v3, s38, v1
	v_mul_hi_u32 v3, v1, v3
	v_add_u32_e32 v1, v1, v3
	v_cvt_f32_u32_e32 v3, s45
	v_mul_f32_e32 v2, 0x4f7ffffe, v2
	v_cvt_u32_f32_e32 v2, v2
	s_sub_i32 s38, 0, s43
	v_rcp_iflag_f32_e32 v3, v3
	s_load_dword s63, s[4:5], 0x444
	s_load_dwordx2 s[30:31], s[4:5], 0x4a4
	s_load_dwordx2 s[34:35], s[4:5], 0x510
	s_load_dword s61, s[4:5], 0x51c
	v_mul_lo_u32 v4, s38, v2
	v_mul_hi_u32 v4, v2, v4
	v_add_u32_e32 v8, v2, v4
	v_mul_f32_e32 v2, 0x4f7ffffe, v3
	v_cvt_f32_u32_e32 v3, s47
	v_cvt_u32_f32_e32 v2, v2
	s_sub_i32 s38, 0, s45
	s_waitcnt lgkmcnt(0)
	s_abs_i32 s51, s61
	v_rcp_iflag_f32_e32 v3, v3
	v_mul_lo_u32 v4, s38, v2
	v_mul_hi_u32 v4, v2, v4
	v_add_u32_e32 v9, v2, v4
	v_mul_f32_e32 v2, 0x4f7ffffe, v3
	v_cvt_f32_u32_e32 v3, s49
	v_cvt_u32_f32_e32 v2, v2
	s_sub_i32 s38, 0, s47
	s_abs_i32 s54, s62
	v_rcp_iflag_f32_e32 v3, v3
	v_mul_lo_u32 v4, s38, v2
	v_mul_hi_u32 v4, v2, v4
	v_add_u32_e32 v10, v2, v4
	v_mul_f32_e32 v2, 0x4f7ffffe, v3
	v_cvt_f32_u32_e32 v3, s51
	v_cvt_u32_f32_e32 v2, v2
	s_sub_i32 s38, 0, s49
	s_abs_i32 s55, s63
	v_rcp_iflag_f32_e32 v3, v3
	v_mul_lo_u32 v4, s38, v2
	v_mul_hi_u32 v4, v2, v4
	v_add_u32_e32 v11, v2, v4
	v_mul_f32_e32 v2, 0x4f7ffffe, v3
	v_cvt_u32_f32_e32 v2, v2
	s_sub_i32 s38, 0, s51
	v_cvt_f32_u32_e32 v3, s54
	s_load_dwordx2 s[4:5], s[4:5], 0x57c
	v_mul_lo_u32 v4, s38, v2
	v_mul_hi_u32 v4, v2, v4
	v_add_u32_e32 v12, v2, v4
	v_cvt_f32_u32_e32 v2, s55
	v_rcp_iflag_f32_e32 v3, v3
	s_sub_i32 s38, 0, s54
	s_mov_b64 s[36:37], 0
	v_rcp_iflag_f32_e32 v2, v2
	v_mul_f32_e32 v3, 0x4f7ffffe, v3
	v_cvt_u32_f32_e32 v3, v3
	s_ashr_i32 s44, s0, 31
	v_mul_f32_e32 v2, 0x4f7ffffe, v2
	v_cvt_u32_f32_e32 v2, v2
	v_mul_lo_u32 v4, s38, v3
	v_mul_hi_u32 v4, v3, v4
	s_sub_i32 s38, 0, s55
	v_add_u32_e32 v13, v3, v4
	v_mul_lo_u32 v3, s38, v2
	v_mul_hi_u32 v3, v2, v3
	s_ashr_i32 s46, s33, 31
	s_ashr_i32 s48, s40, 31
	;; [unrolled: 1-line block ×7, first 2 shown]
	v_add_u32_e32 v14, v2, v3
	s_mul_i32 s58, s0, 3
	s_sub_i32 s59, 0, s39
	s_sub_i32 s60, 0, s60
	;; [unrolled: 1-line block ×5, first 2 shown]
	v_mov_b32_e32 v15, s3
	v_mov_b32_e32 v16, s13
	;; [unrolled: 1-line block ×3, first 2 shown]
	s_mov_b32 s3, 0x3f200000
	s_mov_b32 s13, 0x3fb8aa3b
	;; [unrolled: 1-line block ×4, first 2 shown]
	v_mov_b32_e32 v18, 0xbd5c1c4e
	v_mov_b32_e32 v19, 0x3e088382
	v_mov_b32_e32 v20, 0xbeaaaa99
	s_brev_b32 s65, -2
	s_movk_i32 s66, 0x7fff
	v_mov_b32_e32 v21, 0x7f800000
	v_mov_b32_e32 v22, 0x7fc0
	s_branch .LBB29_3
.LBB29_2:                               ;   in Loop: Header=BB29_3 Depth=1
	s_or_b64 exec, exec, s[38:39]
	v_mul_hi_u32 v40, v7, v9
	v_mul_lo_u32 v41, v40, s45
	v_sub_u32_e32 v7, v7, v41
	v_add_u32_e32 v41, 1, v40
	v_cmp_le_u32_e32 vcc, s45, v7
	v_cndmask_b32_e32 v40, v40, v41, vcc
	v_subrev_u32_e32 v41, s45, v7
	v_cndmask_b32_e32 v7, v7, v41, vcc
	v_add_u32_e32 v41, 1, v40
	v_cmp_le_u32_e32 vcc, s45, v7
	v_xor_b32_e32 v5, s48, v5
	v_cndmask_b32_e32 v7, v40, v41, vcc
	v_xor_b32_e32 v7, v7, v5
	v_sub_u32_e32 v5, v7, v5
	v_mul_lo_u32 v7, v5, s40
	v_sub_u32_e32 v4, v4, v7
	v_add_u32_e32 v4, v0, v4
	v_mul_lo_u32 v4, v4, s11
	v_mad_u64_u32 v[4:5], s[38:39], v5, s10, v[4:5]
	v_ashrrev_i32_e32 v5, 31, v4
	v_lshlrev_b64 v[4:5], 1, v[4:5]
	v_xor_b32_e32 v7, s48, v30
	v_mul_hi_u32 v30, v31, v9
	v_mov_b32_e32 v40, s9
	v_add_co_u32_e32 v4, vcc, s8, v4
	v_mul_lo_u32 v41, v30, s45
	v_addc_co_u32_e32 v5, vcc, v40, v5, vcc
	v_sub_u32_e32 v31, v31, v41
	v_add_u32_e32 v41, 1, v30
	v_cmp_le_u32_e32 vcc, s45, v31
	v_cndmask_b32_e32 v30, v30, v41, vcc
	v_subrev_u32_e32 v41, s45, v31
	v_cndmask_b32_e32 v31, v31, v41, vcc
	v_add_u32_e32 v41, 1, v30
	v_cmp_le_u32_e32 vcc, s45, v31
	v_cndmask_b32_e32 v30, v30, v41, vcc
	v_xor_b32_e32 v30, v30, v7
	v_sub_u32_e32 v7, v30, v7
	v_mul_lo_u32 v30, v7, s40
	v_sub_u32_e32 v6, v6, v30
	v_add_u32_e32 v6, v0, v6
	v_mul_lo_u32 v6, v6, s11
	v_mad_u64_u32 v[6:7], s[38:39], v7, s10, v[6:7]
	v_ashrrev_i32_e32 v7, 31, v6
	v_lshlrev_b64 v[6:7], 1, v[6:7]
	v_mul_hi_u32 v31, v33, v9
	v_add_co_u32_e32 v6, vcc, s8, v6
	v_xor_b32_e32 v30, s48, v32
	v_mul_lo_u32 v32, v31, s45
	v_addc_co_u32_e32 v7, vcc, v40, v7, vcc
	v_sub_u32_e32 v32, v33, v32
	v_add_u32_e32 v33, 1, v31
	v_cmp_le_u32_e32 vcc, s45, v32
	v_cndmask_b32_e32 v31, v31, v33, vcc
	v_subrev_u32_e32 v33, s45, v32
	v_cndmask_b32_e32 v32, v32, v33, vcc
	v_add_u32_e32 v33, 1, v31
	v_cmp_le_u32_e32 vcc, s45, v32
	v_cndmask_b32_e32 v31, v31, v33, vcc
	v_xor_b32_e32 v31, v31, v30
	v_sub_u32_e32 v30, v31, v30
	v_mul_lo_u32 v31, v30, s40
	v_sub_u32_e32 v28, v28, v31
	v_add_u32_e32 v28, v0, v28
	v_mul_lo_u32 v28, v28, s11
	v_mad_u64_u32 v[30:31], s[38:39], v30, s10, v[28:29]
	v_ashrrev_i32_e32 v31, 31, v30
	v_lshlrev_b64 v[30:31], 1, v[30:31]
	v_mul_hi_u32 v32, v36, v9
	v_add_co_u32_e32 v30, vcc, s8, v30
	v_mul_lo_u32 v33, v32, s45
	v_addc_co_u32_e32 v31, vcc, v40, v31, vcc
	v_sub_u32_e32 v33, v36, v33
	v_xor_b32_e32 v28, s48, v35
	v_add_u32_e32 v35, 1, v32
	v_cmp_le_u32_e32 vcc, s45, v33
	v_cndmask_b32_e32 v32, v32, v35, vcc
	v_subrev_u32_e32 v35, s45, v33
	v_cndmask_b32_e32 v33, v33, v35, vcc
	v_add_u32_e32 v35, 1, v32
	v_cmp_le_u32_e32 vcc, s45, v33
	v_cndmask_b32_e32 v32, v32, v35, vcc
	v_xor_b32_e32 v32, v32, v28
	v_sub_u32_e32 v32, v32, v28
	v_mul_lo_u32 v28, v32, s40
	v_sub_u32_e32 v28, v29, v28
	v_add_u32_e32 v28, v0, v28
	v_mul_lo_u32 v28, v28, s11
	v_mad_u64_u32 v[28:29], s[38:39], v32, s10, v[28:29]
	v_ashrrev_i32_e32 v29, 31, v28
	v_lshlrev_b64 v[28:29], 1, v[28:29]
	v_mul_hi_u32 v32, v23, v12
	v_add_co_u32_e32 v28, vcc, s8, v28
	v_mul_lo_u32 v33, v32, s51
	v_addc_co_u32_e32 v29, vcc, v40, v29, vcc
	v_sub_u32_e32 v23, v23, v33
	v_add_u32_e32 v33, 1, v32
	v_cmp_le_u32_e32 vcc, s51, v23
	v_cndmask_b32_e32 v32, v32, v33, vcc
	v_subrev_u32_e32 v33, s51, v23
	v_cndmask_b32_e32 v23, v23, v33, vcc
	v_add_u32_e32 v33, 1, v32
	v_cmp_le_u32_e32 vcc, s51, v23
	v_xor_b32_e32 v2, s53, v2
	v_cndmask_b32_e32 v23, v32, v33, vcc
	v_xor_b32_e32 v23, v23, v2
	v_sub_u32_e32 v23, v23, v2
	v_mad_u64_u32 v[32:33], s[38:39], s61, v23, v[0:1]
	s_waitcnt lgkmcnt(0)
	v_mul_lo_u32 v2, v32, s5
	v_mad_u64_u32 v[32:33], s[38:39], v23, s4, v[2:3]
	v_ashrrev_i32_e32 v33, 31, v32
	v_lshlrev_b64 v[32:33], 1, v[32:33]
	v_mov_b32_e32 v2, s35
	v_add_co_u32_e32 v32, vcc, s34, v32
	v_addc_co_u32_e32 v33, vcc, v2, v33, vcc
	v_bfi_b32 v2, s65, v39, v38
	v_lshlrev_b32_e32 v35, 16, v27
	v_mul_f32_e32 v23, v37, v2
	v_mul_f32_e32 v27, v37, v35
	v_fma_f32 v2, -v2, v2, 1.0
	v_fmac_f32_e32 v3, v27, v2
	v_lshlrev_b32_e32 v2, 16, v34
	v_lshlrev_b32_e32 v26, 16, v26
	v_sub_f32_e32 v27, 1.0, v26
	v_mul_f32_e32 v2, v3, v2
	v_mul_f32_e32 v2, v27, v2
	;; [unrolled: 1-line block ×4, first 2 shown]
	v_lshlrev_b32_e32 v27, 16, v24
	v_lshlrev_b32_e32 v26, 16, v25
	v_mul_f32_e32 v2, v3, v26
	v_sub_f32_e32 v24, 1.0, v27
	v_mul_f32_e32 v2, v24, v2
	v_mul_f32_e32 v24, v2, v27
	v_mov_b32_e32 v2, v26
	v_pk_mul_f32 v[2:3], v[2:3], v[26:27]
	v_sub_f32_e32 v2, 1.0, v2
	v_mul_f32_e32 v2, v2, v3
	v_sub_f32_e32 v3, 1.0, v35
	v_mul_f32_e32 v3, v3, v23
	v_bfe_u32 v23, v24, 16, 1
	v_add3_u32 v23, v24, v23, s66
	v_lshrrev_b32_e32 v23, 16, v23
	v_cmp_o_f32_e32 vcc, v24, v24
	v_cndmask_b32_e32 v23, v22, v23, vcc
	global_store_short v[4:5], v23, off
	v_bfe_u32 v4, v36, 16, 1
	v_add3_u32 v4, v36, v4, s66
	v_lshrrev_b32_e32 v4, 16, v4
	v_cmp_o_f32_e32 vcc, v36, v36
	v_cndmask_b32_e32 v4, v22, v4, vcc
	global_store_short v[6:7], v4, off
	v_bfe_u32 v4, v2, 16, 1
	v_add3_u32 v4, v2, v4, s66
	v_lshrrev_b32_e32 v4, 16, v4
	v_cmp_o_f32_e32 vcc, v2, v2
	v_mul_f32_e32 v3, v3, v35
	v_cndmask_b32_e32 v2, v22, v4, vcc
	global_store_short v[30:31], v2, off
	v_bfe_u32 v2, v3, 16, 1
	v_add3_u32 v2, v3, v2, s66
	v_lshrrev_b32_e32 v2, 16, v2
	v_cmp_o_f32_e32 vcc, v3, v3
	v_cndmask_b32_e32 v2, v22, v2, vcc
	global_store_short v[28:29], v2, off
	v_bfe_u32 v2, v34, 16, 1
	v_add3_u32 v2, v34, v2, s66
	v_lshrrev_b32_e32 v2, 16, v2
	v_cmp_o_f32_e32 vcc, v34, v34
	v_add_u32_e32 v0, s42, v0
	v_cndmask_b32_e32 v2, v22, v2, vcc
	v_cmp_le_i32_e32 vcc, s1, v0
	s_or_b64 s[36:37], vcc, s[36:37]
	global_store_short v[32:33], v2, off
	s_andn2_b64 exec, exec, s[36:37]
	s_cbranch_execz .LBB29_11
.LBB29_3:                               ; =>This Inner Loop Header: Depth=1
	v_sub_u32_e32 v4, 0, v0
	v_max_i32_e32 v23, v0, v4
	v_mul_hi_u32 v4, v23, v1
	v_mul_lo_u32 v5, v4, s41
	v_sub_u32_e32 v5, v23, v5
	v_add_u32_e32 v6, 1, v4
	v_cmp_le_u32_e32 vcc, s41, v5
	v_cndmask_b32_e32 v4, v4, v6, vcc
	v_subrev_u32_e32 v6, s41, v5
	v_cndmask_b32_e32 v5, v5, v6, vcc
	v_ashrrev_i32_e32 v2, 31, v0
	v_add_u32_e32 v6, 1, v4
	v_cmp_le_u32_e32 vcc, s41, v5
	v_xor_b32_e32 v3, s44, v2
	v_cndmask_b32_e32 v4, v4, v6, vcc
	v_xor_b32_e32 v26, v4, v3
	v_sub_u32_e32 v4, v26, v3
	v_mul_lo_u32 v4, s58, v4
	v_add_u32_e32 v5, v0, v4
	v_ashrrev_i32_e32 v5, 31, v5
	v_add3_u32 v7, v5, v4, v0
	v_xor_b32_e32 v7, v7, v5
	v_mul_hi_u32 v24, v7, v8
	v_mul_lo_u32 v25, v24, s43
	v_sub_u32_e32 v25, v7, v25
	v_add_u32_e32 v27, 1, v24
	v_cmp_le_u32_e32 vcc, s43, v25
	v_cndmask_b32_e32 v24, v24, v27, vcc
	v_subrev_u32_e32 v27, s43, v25
	v_cndmask_b32_e32 v25, v25, v27, vcc
	v_add_u32_e32 v27, 1, v24
	v_cmp_le_u32_e32 vcc, s43, v25
	v_xor_b32_e32 v6, s46, v5
	v_cndmask_b32_e32 v24, v24, v27, vcc
	v_xor_b32_e32 v24, v24, v6
	v_sub_u32_e32 v24, v24, v6
	v_mul_lo_u32 v6, v24, s33
	v_sub_u32_e32 v6, v4, v6
	v_add_u32_e32 v6, v0, v6
	v_mul_lo_u32 v6, v6, s7
	v_mad_u64_u32 v[24:25], s[38:39], v24, s6, v[6:7]
	v_lshl_add_u32 v6, v26, 1, v26
	v_mul_i32_i24_e32 v3, 3, v3
	v_sub_u32_e32 v3, v6, v3
	v_mul_lo_u32 v6, s0, v3
	v_add_u32_e32 v6, s0, v6
	v_add_u32_e32 v26, v0, v6
	v_ashrrev_i32_e32 v30, 31, v26
	v_add3_u32 v27, v30, v6, v0
	v_ashrrev_i32_e32 v25, 31, v24
	v_xor_b32_e32 v31, v27, v30
	v_lshlrev_b64 v[24:25], 1, v[24:25]
	v_mul_hi_u32 v27, v31, v8
	v_add_co_u32_e32 v24, vcc, s2, v24
	v_mul_lo_u32 v28, v27, s43
	v_addc_co_u32_e32 v25, vcc, v15, v25, vcc
	v_sub_u32_e32 v28, v31, v28
	v_add_u32_e32 v29, 1, v27
	v_cmp_le_u32_e32 vcc, s43, v28
	v_cndmask_b32_e32 v27, v27, v29, vcc
	v_subrev_u32_e32 v29, s43, v28
	v_cndmask_b32_e32 v28, v28, v29, vcc
	v_add_u32_e32 v29, 1, v27
	v_cmp_le_u32_e32 vcc, s43, v28
	v_xor_b32_e32 v26, s46, v30
	v_cndmask_b32_e32 v27, v27, v29, vcc
	v_xor_b32_e32 v27, v27, v26
	v_sub_u32_e32 v27, v27, v26
	v_mul_lo_u32 v26, v27, s33
	v_add_u32_e32 v28, 2, v3
	v_sub_u32_e32 v26, v6, v26
	v_mul_lo_u32 v28, s0, v28
	v_add_u32_e32 v26, v0, v26
	v_add_u32_e32 v29, v0, v28
	v_mul_lo_u32 v26, v26, s7
	v_ashrrev_i32_e32 v32, 31, v29
	v_mad_u64_u32 v[26:27], s[38:39], v27, s6, v[26:27]
	v_add3_u32 v33, v32, v28, v0
	v_ashrrev_i32_e32 v27, 31, v26
	v_xor_b32_e32 v33, v33, v32
	v_lshlrev_b64 v[26:27], 1, v[26:27]
	v_mul_hi_u32 v34, v33, v8
	v_add_co_u32_e32 v26, vcc, s2, v26
	v_mul_lo_u32 v35, v34, s43
	v_addc_co_u32_e32 v27, vcc, v15, v27, vcc
	v_sub_u32_e32 v35, v33, v35
	v_add_u32_e32 v36, 1, v34
	v_cmp_le_u32_e32 vcc, s43, v35
	v_cndmask_b32_e32 v34, v34, v36, vcc
	v_subrev_u32_e32 v36, s43, v35
	v_cndmask_b32_e32 v35, v35, v36, vcc
	v_add_u32_e32 v36, 1, v34
	v_cmp_le_u32_e32 vcc, s43, v35
	v_xor_b32_e32 v29, s46, v32
	v_cndmask_b32_e32 v34, v34, v36, vcc
	v_xor_b32_e32 v34, v34, v29
	v_sub_u32_e32 v29, v34, v29
	v_mul_lo_u32 v34, v29, s33
	v_sub_u32_e32 v34, v28, v34
	v_add_u32_e32 v34, v0, v34
	v_mul_lo_u32 v34, v34, s7
	v_mad_u64_u32 v[34:35], s[38:39], v29, s6, v[34:35]
	v_ashrrev_i32_e32 v35, 31, v34
	v_add_u32_e32 v3, 3, v3
	v_lshlrev_b64 v[34:35], 1, v[34:35]
	v_mul_lo_u32 v29, s0, v3
	v_add_co_u32_e32 v38, vcc, s2, v34
	v_add_u32_e32 v3, v0, v29
	v_addc_co_u32_e32 v39, vcc, v15, v35, vcc
	v_ashrrev_i32_e32 v35, 31, v3
	v_add3_u32 v34, v35, v29, v0
	v_xor_b32_e32 v36, v34, v35
	v_mul_hi_u32 v34, v36, v8
	v_mul_lo_u32 v37, v34, s43
	v_sub_u32_e32 v37, v36, v37
	v_add_u32_e32 v40, 1, v34
	v_cmp_le_u32_e32 vcc, s43, v37
	v_cndmask_b32_e32 v34, v34, v40, vcc
	v_subrev_u32_e32 v40, s43, v37
	v_cndmask_b32_e32 v37, v37, v40, vcc
	v_add_u32_e32 v40, 1, v34
	v_cmp_le_u32_e32 vcc, s43, v37
	v_xor_b32_e32 v3, s46, v35
	v_cndmask_b32_e32 v34, v34, v40, vcc
	v_xor_b32_e32 v34, v34, v3
	v_sub_u32_e32 v3, v34, v3
	v_mul_lo_u32 v34, v3, s33
	v_sub_u32_e32 v34, v29, v34
	v_add_u32_e32 v34, v0, v34
	v_mul_lo_u32 v34, v34, s7
	v_mad_u64_u32 v[40:41], s[38:39], v3, s6, v[34:35]
	v_ashrrev_i32_e32 v41, 31, v40
	v_lshlrev_b64 v[40:41], 1, v[40:41]
	v_mul_hi_u32 v34, v23, v10
	v_add_co_u32_e32 v40, vcc, s2, v40
	v_mul_lo_u32 v37, v34, s47
	v_addc_co_u32_e32 v41, vcc, v15, v41, vcc
	v_sub_u32_e32 v37, v23, v37
	global_load_ushort v24, v[24:25], off
	s_nop 0
	global_load_ushort v26, v[26:27], off
	s_nop 0
	global_load_ushort v25, v[38:39], off
	global_load_ushort v27, v[40:41], off
	v_add_u32_e32 v38, 1, v34
	v_cmp_le_u32_e32 vcc, s47, v37
	v_cndmask_b32_e32 v34, v34, v38, vcc
	v_subrev_u32_e32 v38, s47, v37
	v_cndmask_b32_e32 v37, v37, v38, vcc
	v_add_u32_e32 v38, 1, v34
	v_cmp_le_u32_e32 vcc, s47, v37
	v_xor_b32_e32 v3, s50, v2
	v_cndmask_b32_e32 v34, v34, v38, vcc
	v_xor_b32_e32 v34, v34, v3
	v_sub_u32_e32 v3, v34, v3
	v_mad_u64_u32 v[38:39], s[38:39], s59, v3, v[0:1]
	v_mul_lo_u32 v34, v38, s21
	v_mad_u64_u32 v[38:39], s[38:39], v3, s20, v[34:35]
	v_ashrrev_i32_e32 v39, 31, v38
	v_lshlrev_b64 v[38:39], 1, v[38:39]
	v_add_co_u32_e32 v38, vcc, s12, v38
	v_addc_co_u32_e32 v39, vcc, v16, v39, vcc
	v_mul_hi_u32 v37, v23, v11
	global_load_ushort v34, v[38:39], off
	v_mul_lo_u32 v38, v37, s49
	v_sub_u32_e32 v38, v23, v38
	v_add_u32_e32 v39, 1, v37
	v_cmp_le_u32_e32 vcc, s49, v38
	v_cndmask_b32_e32 v37, v37, v39, vcc
	v_subrev_u32_e32 v39, s49, v38
	v_cndmask_b32_e32 v38, v38, v39, vcc
	v_add_u32_e32 v39, 1, v37
	v_cmp_le_u32_e32 vcc, s49, v38
	v_xor_b32_e32 v3, s52, v2
	v_cndmask_b32_e32 v37, v37, v39, vcc
	v_xor_b32_e32 v37, v37, v3
	v_sub_u32_e32 v3, v37, v3
	v_mad_u64_u32 v[38:39], s[38:39], s60, v3, v[0:1]
	v_mul_lo_u32 v38, v38, s25
	v_mad_u64_u32 v[38:39], s[38:39], v3, s24, v[38:39]
	v_ashrrev_i32_e32 v39, 31, v38
	v_lshlrev_b64 v[38:39], 1, v[38:39]
	v_add_co_u32_e32 v38, vcc, s22, v38
	v_addc_co_u32_e32 v39, vcc, v17, v39, vcc
	global_load_ushort v38, v[38:39], off
	s_andn2_b64 vcc, exec, s[26:27]
	v_mov_b32_e32 v3, 0
	v_mov_b32_e32 v37, 0
	s_cbranch_vccnz .LBB29_5
; %bb.4:                                ;   in Loop: Header=BB29_3 Depth=1
	v_mul_hi_u32 v39, v23, v13
	v_mul_lo_u32 v40, v39, s54
	v_sub_u32_e32 v40, v23, v40
	v_add_u32_e32 v41, 1, v39
	v_cmp_le_u32_e32 vcc, s54, v40
	v_cndmask_b32_e32 v39, v39, v41, vcc
	v_subrev_u32_e32 v41, s54, v40
	v_cndmask_b32_e32 v40, v40, v41, vcc
	v_add_u32_e32 v41, 1, v39
	v_cmp_le_u32_e32 vcc, s54, v40
	v_xor_b32_e32 v37, s56, v2
	v_cndmask_b32_e32 v39, v39, v41, vcc
	v_xor_b32_e32 v39, v39, v37
	v_sub_u32_e32 v37, v39, v37
	v_mad_u64_u32 v[40:41], s[38:39], s62, v37, v[0:1]
	v_mul_lo_u32 v40, v40, s17
	v_mad_u64_u32 v[40:41], s[38:39], v37, s16, v[40:41]
	v_ashrrev_i32_e32 v41, 31, v40
	v_lshlrev_b64 v[40:41], 1, v[40:41]
	v_mov_b32_e32 v37, s15
	v_add_co_u32_e32 v40, vcc, s14, v40
	v_addc_co_u32_e32 v41, vcc, v37, v41, vcc
	global_load_ushort v37, v[40:41], off
	s_waitcnt vmcnt(0)
	v_lshlrev_b32_e32 v37, 16, v37
.LBB29_5:                               ;   in Loop: Header=BB29_3 Depth=1
	s_andn2_b64 vcc, exec, s[28:29]
	s_cbranch_vccnz .LBB29_7
; %bb.6:                                ;   in Loop: Header=BB29_3 Depth=1
	v_mul_hi_u32 v39, v23, v14
	v_mul_lo_u32 v40, v39, s55
	v_sub_u32_e32 v40, v23, v40
	v_add_u32_e32 v41, 1, v39
	v_cmp_le_u32_e32 vcc, s55, v40
	v_cndmask_b32_e32 v39, v39, v41, vcc
	v_subrev_u32_e32 v41, s55, v40
	v_cndmask_b32_e32 v40, v40, v41, vcc
	v_add_u32_e32 v41, 1, v39
	v_cmp_le_u32_e32 vcc, s55, v40
	v_xor_b32_e32 v3, s57, v2
	v_cndmask_b32_e32 v39, v39, v41, vcc
	v_xor_b32_e32 v39, v39, v3
	v_sub_u32_e32 v3, v39, v3
	v_mad_u64_u32 v[40:41], s[38:39], s63, v3, v[0:1]
	v_mul_lo_u32 v40, v40, s31
	v_mad_u64_u32 v[40:41], s[38:39], v3, s30, v[40:41]
	v_ashrrev_i32_e32 v41, 31, v40
	v_lshlrev_b64 v[40:41], 1, v[40:41]
	v_mov_b32_e32 v3, s19
	v_add_co_u32_e32 v40, vcc, s18, v40
	v_addc_co_u32_e32 v41, vcc, v3, v41, vcc
	global_load_ushort v3, v[40:41], off
	s_waitcnt vmcnt(0)
	v_lshlrev_b32_e32 v3, 16, v3
.LBB29_7:                               ;   in Loop: Header=BB29_3 Depth=1
	s_waitcnt vmcnt(0)
	v_lshlrev_b32_e32 v38, 16, v38
	v_cmp_nlt_f32_e64 s[38:39], |v38|, s3
                                        ; implicit-def: $vgpr39
	s_and_saveexec_b64 s[68:69], s[38:39]
	s_xor_b64 s[38:39], exec, s[68:69]
	s_cbranch_execz .LBB29_9
; %bb.8:                                ;   in Loop: Header=BB29_3 Depth=1
	v_add_f32_e64 v39, |v38|, |v38|
	v_mul_f32_e32 v40, 0x3fb8aa3b, v39
	v_rndne_f32_e32 v41, v40
	v_sub_f32_e32 v42, v40, v41
	v_fma_f32 v40, v39, s13, -v40
	v_fmac_f32_e32 v40, 0x32a5705f, v39
	v_add_f32_e32 v40, v42, v40
	v_cvt_i32_f32_e32 v41, v41
	v_exp_f32_e32 v40, v40
	v_cmp_ngt_f32_e32 vcc, s23, v39
	v_ldexp_f32 v40, v40, v41
	v_cndmask_b32_e32 v40, 0, v40, vcc
	v_cmp_nlt_f32_e32 vcc, s64, v39
	v_cndmask_b32_e32 v39, v21, v40, vcc
	v_add_f32_e32 v39, 1.0, v39
	v_rcp_f32_e32 v39, v39
	v_fma_f32 v39, v39, -2.0, 1.0
.LBB29_9:                               ;   in Loop: Header=BB29_3 Depth=1
	s_andn2_saveexec_b64 s[38:39], s[38:39]
	s_cbranch_execz .LBB29_2
; %bb.10:                               ;   in Loop: Header=BB29_3 Depth=1
	v_mul_f32_e32 v39, v38, v38
	v_mov_b32_e32 v40, 0x3ca908c9
	v_fmac_f32_e32 v40, 0xbbbac73d, v39
	v_fma_f32 v40, v39, v40, v18
	v_fma_f32 v40, v39, v40, v19
	;; [unrolled: 1-line block ×3, first 2 shown]
	v_mul_f32_e64 v40, |v38|, v40
	v_fma_f32 v39, v39, v40, |v38|
	s_branch .LBB29_2
.LBB29_11:
	s_endpgm
	.section	.rodata,"a",@progbits
	.p2align	6, 0x0
	.amdhsa_kernel _ZN2at6native12_GLOBAL__N_16kernel18lstm_cell_backwardIN3c108BFloat16EfiLi2EEEvNS_4cuda6detail10TensorInfoIT_T1_EESB_SB_SB_SB_SB_SB_SA_SA_
		.amdhsa_group_segment_fixed_size 0
		.amdhsa_private_segment_fixed_size 0
		.amdhsa_kernarg_size 1776
		.amdhsa_user_sgpr_count 6
		.amdhsa_user_sgpr_private_segment_buffer 1
		.amdhsa_user_sgpr_dispatch_ptr 0
		.amdhsa_user_sgpr_queue_ptr 0
		.amdhsa_user_sgpr_kernarg_segment_ptr 1
		.amdhsa_user_sgpr_dispatch_id 0
		.amdhsa_user_sgpr_flat_scratch_init 0
		.amdhsa_user_sgpr_kernarg_preload_length 0
		.amdhsa_user_sgpr_kernarg_preload_offset 0
		.amdhsa_user_sgpr_private_segment_size 0
		.amdhsa_uses_dynamic_stack 0
		.amdhsa_system_sgpr_private_segment_wavefront_offset 0
		.amdhsa_system_sgpr_workgroup_id_x 1
		.amdhsa_system_sgpr_workgroup_id_y 0
		.amdhsa_system_sgpr_workgroup_id_z 0
		.amdhsa_system_sgpr_workgroup_info 0
		.amdhsa_system_vgpr_workitem_id 0
		.amdhsa_next_free_vgpr 43
		.amdhsa_next_free_sgpr 70
		.amdhsa_accum_offset 44
		.amdhsa_reserve_vcc 1
		.amdhsa_reserve_flat_scratch 0
		.amdhsa_float_round_mode_32 0
		.amdhsa_float_round_mode_16_64 0
		.amdhsa_float_denorm_mode_32 3
		.amdhsa_float_denorm_mode_16_64 3
		.amdhsa_dx10_clamp 1
		.amdhsa_ieee_mode 1
		.amdhsa_fp16_overflow 0
		.amdhsa_tg_split 0
		.amdhsa_exception_fp_ieee_invalid_op 0
		.amdhsa_exception_fp_denorm_src 0
		.amdhsa_exception_fp_ieee_div_zero 0
		.amdhsa_exception_fp_ieee_overflow 0
		.amdhsa_exception_fp_ieee_underflow 0
		.amdhsa_exception_fp_ieee_inexact 0
		.amdhsa_exception_int_div_zero 0
	.end_amdhsa_kernel
	.section	.text._ZN2at6native12_GLOBAL__N_16kernel18lstm_cell_backwardIN3c108BFloat16EfiLi2EEEvNS_4cuda6detail10TensorInfoIT_T1_EESB_SB_SB_SB_SB_SB_SA_SA_,"axG",@progbits,_ZN2at6native12_GLOBAL__N_16kernel18lstm_cell_backwardIN3c108BFloat16EfiLi2EEEvNS_4cuda6detail10TensorInfoIT_T1_EESB_SB_SB_SB_SB_SB_SA_SA_,comdat
.Lfunc_end29:
	.size	_ZN2at6native12_GLOBAL__N_16kernel18lstm_cell_backwardIN3c108BFloat16EfiLi2EEEvNS_4cuda6detail10TensorInfoIT_T1_EESB_SB_SB_SB_SB_SB_SA_SA_, .Lfunc_end29-_ZN2at6native12_GLOBAL__N_16kernel18lstm_cell_backwardIN3c108BFloat16EfiLi2EEEvNS_4cuda6detail10TensorInfoIT_T1_EESB_SB_SB_SB_SB_SB_SA_SA_
                                        ; -- End function
	.section	.AMDGPU.csdata,"",@progbits
; Kernel info:
; codeLenInByte = 3140
; NumSgprs: 74
; NumVgprs: 43
; NumAgprs: 0
; TotalNumVgprs: 43
; ScratchSize: 0
; MemoryBound: 0
; FloatMode: 240
; IeeeMode: 1
; LDSByteSize: 0 bytes/workgroup (compile time only)
; SGPRBlocks: 9
; VGPRBlocks: 5
; NumSGPRsForWavesPerEU: 74
; NumVGPRsForWavesPerEU: 43
; AccumOffset: 44
; Occupancy: 8
; WaveLimiterHint : 1
; COMPUTE_PGM_RSRC2:SCRATCH_EN: 0
; COMPUTE_PGM_RSRC2:USER_SGPR: 6
; COMPUTE_PGM_RSRC2:TRAP_HANDLER: 0
; COMPUTE_PGM_RSRC2:TGID_X_EN: 1
; COMPUTE_PGM_RSRC2:TGID_Y_EN: 0
; COMPUTE_PGM_RSRC2:TGID_Z_EN: 0
; COMPUTE_PGM_RSRC2:TIDIG_COMP_CNT: 0
; COMPUTE_PGM_RSRC3_GFX90A:ACCUM_OFFSET: 10
; COMPUTE_PGM_RSRC3_GFX90A:TG_SPLIT: 0
	.section	.text._ZN2at6native12_GLOBAL__N_16kernel18lstm_cell_backwardIN3c108BFloat16EflLi1EEEvNS_4cuda6detail10TensorInfoIT_T1_EESB_SB_SB_SB_SB_SB_SA_SA_,"axG",@progbits,_ZN2at6native12_GLOBAL__N_16kernel18lstm_cell_backwardIN3c108BFloat16EflLi1EEEvNS_4cuda6detail10TensorInfoIT_T1_EESB_SB_SB_SB_SB_SB_SA_SA_,comdat
	.globl	_ZN2at6native12_GLOBAL__N_16kernel18lstm_cell_backwardIN3c108BFloat16EflLi1EEEvNS_4cuda6detail10TensorInfoIT_T1_EESB_SB_SB_SB_SB_SB_SA_SA_ ; -- Begin function _ZN2at6native12_GLOBAL__N_16kernel18lstm_cell_backwardIN3c108BFloat16EflLi1EEEvNS_4cuda6detail10TensorInfoIT_T1_EESB_SB_SB_SB_SB_SB_SA_SA_
	.p2align	8
	.type	_ZN2at6native12_GLOBAL__N_16kernel18lstm_cell_backwardIN3c108BFloat16EflLi1EEEvNS_4cuda6detail10TensorInfoIT_T1_EESB_SB_SB_SB_SB_SB_SA_SA_,@function
_ZN2at6native12_GLOBAL__N_16kernel18lstm_cell_backwardIN3c108BFloat16EflLi1EEEvNS_4cuda6detail10TensorInfoIT_T1_EESB_SB_SB_SB_SB_SB_SA_SA_: ; @_ZN2at6native12_GLOBAL__N_16kernel18lstm_cell_backwardIN3c108BFloat16EflLi1EEEvNS_4cuda6detail10TensorInfoIT_T1_EESB_SB_SB_SB_SB_SB_SA_SA_
; %bb.0:
	s_load_dword s0, s[4:5], 0xb7c
	s_load_dwordx4 s[8:11], s[4:5], 0xb60
	s_add_u32 s16, s4, 0xb70
	s_addc_u32 s17, s5, 0
	v_mov_b32_e32 v2, 0
	s_waitcnt lgkmcnt(0)
	s_and_b32 s20, s0, 0xffff
	s_mul_i32 s6, s6, s20
	v_add_u32_e32 v0, s6, v0
	v_mov_b32_e32 v1, v2
	v_cmp_gt_i64_e32 vcc, s[10:11], v[0:1]
	s_and_saveexec_b64 s[0:1], vcc
	s_cbranch_execz .LBB30_15
; %bb.1:
	s_load_dwordx2 s[2:3], s[4:5], 0x0
	s_load_dwordx2 s[6:7], s[4:5], 0xd0
	;; [unrolled: 1-line block ×14, first 2 shown]
	s_load_dword s21, s[16:17], 0x0
	s_waitcnt lgkmcnt(0)
	s_cmp_lg_u64 s[30:31], 0
	s_cselect_b64 s[16:17], -1, 0
	s_cmp_lg_u64 s[28:29], 0
	s_cselect_b64 s[18:19], -1, 0
	s_mul_i32 s33, s21, s20
	s_mul_i32 s20, s9, 3
	s_mul_hi_u32 s21, s8, 3
	s_add_i32 s39, s21, s20
	v_mul_lo_u32 v3, 0, s24
	v_mul_lo_u32 v6, v0, s25
	v_mad_u64_u32 v[4:5], s[20:21], v0, s24, 0
	v_add3_u32 v5, v5, v6, v3
	v_lshlrev_b64 v[4:5], 1, v[4:5]
	v_mov_b32_e32 v3, s23
	v_add_co_u32_e32 v4, vcc, s22, v4
	v_addc_co_u32_e32 v5, vcc, v3, v5, vcc
	v_mul_lo_u32 v3, 0, s36
	v_mul_lo_u32 v8, v0, s37
	v_mad_u64_u32 v[6:7], s[22:23], v0, s36, 0
	v_add3_u32 v7, v7, v8, v3
	v_lshlrev_b64 v[6:7], 1, v[6:7]
	s_mul_i32 s20, s33, s25
	s_mul_hi_u32 s21, s33, s24
	v_mov_b32_e32 v3, s35
	v_add_co_u32_e32 v6, vcc, s34, v6
	s_add_i32 s21, s21, s20
	s_mul_i32 s20, s33, s24
	v_addc_co_u32_e32 v7, vcc, v3, v7, vcc
	v_mul_lo_u32 v3, 0, s44
	v_mul_lo_u32 v10, v0, s45
	v_mad_u64_u32 v[8:9], s[24:25], v0, s44, 0
	v_add3_u32 v9, v9, v10, v3
	v_lshlrev_b64 v[8:9], 1, v[8:9]
	v_mov_b32_e32 v3, s43
	v_add_co_u32_e32 v8, vcc, s42, v8
	v_addc_co_u32_e32 v9, vcc, v3, v9, vcc
	v_mul_lo_u32 v3, 0, s26
	v_mul_lo_u32 v12, v0, s27
	v_mad_u64_u32 v[10:11], s[34:35], v0, s26, 0
	v_add3_u32 v11, v11, v12, v3
	v_lshlrev_b64 v[10:11], 1, v[10:11]
	v_mov_b32_e32 v3, s31
	v_add_co_u32_e32 v10, vcc, s30, v10
	s_mul_i32 s27, s33, s27
	s_mul_hi_u32 s30, s33, s26
	v_addc_co_u32_e32 v11, vcc, v3, v11, vcc
	s_add_i32 s27, s30, s27
	v_mul_lo_u32 v3, 0, s0
	v_mul_lo_u32 v14, v0, s1
	v_mad_u64_u32 v[12:13], s[30:31], v0, s0, 0
	v_add3_u32 v13, v13, v14, v3
	v_lshlrev_b64 v[12:13], 1, v[12:13]
	s_mul_i32 s22, s33, s37
	s_mul_hi_u32 s23, s33, s36
	s_mul_i32 s24, s33, s45
	s_mul_hi_u32 s25, s33, s44
	v_add_co_u32_e32 v12, vcc, s28, v12
	s_mul_i32 s1, s33, s1
	s_mul_hi_u32 s28, s33, s0
	s_add_i32 s23, s23, s22
	s_mul_i32 s22, s33, s36
	s_add_i32 s25, s25, s24
	s_mul_i32 s24, s33, s44
	s_mul_i32 s26, s33, s26
	v_mov_b32_e32 v3, s29
	s_add_i32 s1, s28, s1
	s_mul_i32 s0, s33, s0
	s_mov_b64 s[4:5], 0
	s_mov_b32 s38, 0
	s_mul_i32 s40, s8, 3
	s_lshl_b64 s[20:21], s[20:21], 1
	s_lshl_b64 s[22:23], s[22:23], 1
	;; [unrolled: 1-line block ×4, first 2 shown]
	v_addc_co_u32_e32 v13, vcc, v3, v13, vcc
	s_lshl_b64 s[28:29], s[0:1], 1
	s_mov_b32 s41, 0x3f200000
	s_mov_b32 s42, 0x3fb8aa3b
	;; [unrolled: 1-line block ×4, first 2 shown]
	v_mov_b32_e32 v22, 0xbd5c1c4e
	v_mov_b32_e32 v23, 0x3e088382
	;; [unrolled: 1-line block ×3, first 2 shown]
	s_brev_b32 s45, -2
	s_movk_i32 s46, 0x7fff
	v_mov_b32_e32 v25, 0x7f800000
	v_mov_b32_e32 v26, 0x7fc0
	s_branch .LBB30_3
.LBB30_2:                               ;   in Loop: Header=BB30_3 Depth=1
	s_or_b64 exec, exec, s[0:1]
	v_mul_lo_u32 v3, v3, s14
	v_mul_lo_u32 v35, v14, s15
	v_mad_u64_u32 v[36:37], s[0:1], v14, s14, 0
	v_add3_u32 v37, v37, v35, v3
	v_lshlrev_b64 v[36:37], 1, v[36:37]
	v_mul_lo_u32 v14, v27, s14
	v_mul_lo_u32 v27, v16, s15
	v_mad_u64_u32 v[38:39], s[0:1], v16, s14, 0
	v_mov_b32_e32 v3, s13
	v_add_co_u32_e32 v36, vcc, s12, v36
	v_add3_u32 v39, v39, v27, v14
	v_addc_co_u32_e32 v37, vcc, v3, v37, vcc
	v_lshlrev_b64 v[38:39], 1, v[38:39]
	v_mul_lo_u32 v14, v28, s14
	v_mul_lo_u32 v16, v18, s15
	v_mad_u64_u32 v[40:41], s[0:1], v18, s14, 0
	v_add_co_u32_e32 v38, vcc, s12, v38
	v_add3_u32 v41, v41, v16, v14
	v_addc_co_u32_e32 v39, vcc, v3, v39, vcc
	v_lshlrev_b64 v[40:41], 1, v[40:41]
	v_mul_lo_u32 v14, v30, s14
	v_mul_lo_u32 v16, v20, s15
	v_mad_u64_u32 v[42:43], s[0:1], v20, s14, 0
	v_add_co_u32_e32 v40, vcc, s12, v40
	v_add3_u32 v43, v43, v16, v14
	v_addc_co_u32_e32 v41, vcc, v3, v41, vcc
	v_lshlrev_b64 v[42:43], 1, v[42:43]
	v_add_co_u32_e32 v42, vcc, s12, v42
	v_addc_co_u32_e32 v43, vcc, v3, v43, vcc
	v_bfi_b32 v3, s45, v34, v33
	v_lshlrev_b32_e32 v20, 16, v31
	v_mul_f32_e32 v18, v32, v3
	v_mul_f32_e32 v14, v32, v20
	v_fma_f32 v3, -v3, v3, 1.0
	v_fmac_f32_e32 v15, v14, v3
	v_lshlrev_b32_e32 v3, 16, v29
	v_lshlrev_b32_e32 v14, 16, v21
	v_sub_f32_e32 v16, 1.0, v14
	v_mul_f32_e32 v3, v15, v3
	v_mul_f32_e32 v3, v16, v3
	v_lshlrev_b32_e32 v17, 16, v17
	v_lshlrev_b32_e32 v16, 16, v19
	v_mul_f32_e32 v21, v15, v14
	v_mul_f32_e32 v3, v3, v14
	;; [unrolled: 1-line block ×3, first 2 shown]
	v_sub_f32_e32 v19, 1.0, v17
	v_mul_f32_e32 v14, v19, v14
	v_mul_f32_e32 v19, v14, v17
	v_mov_b32_e32 v14, v16
	v_pk_mul_f32 v[14:15], v[14:15], v[16:17]
	v_bfe_u32 v16, v19, 16, 1
	v_add3_u32 v16, v19, v16, s46
	v_lshrrev_b32_e32 v16, 16, v16
	v_cmp_o_f32_e32 vcc, v19, v19
	v_cndmask_b32_e32 v16, v26, v16, vcc
	global_store_short v[36:37], v16, off
	v_bfe_u32 v16, v3, 16, 1
	v_add3_u32 v16, v3, v16, s46
	v_sub_f32_e32 v14, 1.0, v14
	v_lshrrev_b32_e32 v16, 16, v16
	v_cmp_o_f32_e32 vcc, v3, v3
	v_mul_f32_e32 v14, v14, v15
	v_cndmask_b32_e32 v3, v26, v16, vcc
	global_store_short v[38:39], v3, off
	v_bfe_u32 v3, v14, 16, 1
	v_sub_f32_e32 v15, 1.0, v20
	v_add3_u32 v3, v14, v3, s46
	v_mul_f32_e32 v15, v15, v18
	v_lshrrev_b32_e32 v3, 16, v3
	v_cmp_o_f32_e32 vcc, v14, v14
	v_mul_f32_e32 v15, v15, v20
	v_cndmask_b32_e32 v3, v26, v3, vcc
	global_store_short v[40:41], v3, off
	v_bfe_u32 v3, v15, 16, 1
	v_add3_u32 v3, v15, v3, s46
	v_lshrrev_b32_e32 v3, 16, v3
	v_cmp_o_f32_e32 vcc, v15, v15
	v_cndmask_b32_e32 v3, v26, v3, vcc
	global_store_short v[42:43], v3, off
	v_bfe_u32 v3, v21, 16, 1
	v_add3_u32 v3, v21, v3, s46
	v_lshrrev_b32_e32 v3, 16, v3
	v_cmp_o_f32_e32 vcc, v21, v21
	v_cndmask_b32_e32 v3, v26, v3, vcc
	global_store_short v[8:9], v3, off
	v_mov_b32_e32 v3, s38
	v_add_co_u32_e32 v0, vcc, s33, v0
	v_addc_co_u32_e32 v1, vcc, v1, v3, vcc
	v_mov_b32_e32 v3, s21
	v_add_co_u32_e32 v4, vcc, s20, v4
	v_addc_co_u32_e32 v5, vcc, v5, v3, vcc
	;; [unrolled: 3-line block ×5, first 2 shown]
	v_cmp_le_i64_e32 vcc, s[10:11], v[0:1]
	v_mov_b32_e32 v3, s29
	s_or_b64 s[4:5], vcc, s[4:5]
	v_add_co_u32_e32 v12, vcc, s28, v12
	v_addc_co_u32_e32 v13, vcc, v13, v3, vcc
	s_andn2_b64 exec, exec, s[4:5]
	s_cbranch_execz .LBB30_15
.LBB30_3:                               ; =>This Inner Loop Header: Depth=1
	v_or_b32_e32 v3, s9, v1
	v_cmp_ne_u64_e32 vcc, 0, v[2:3]
                                        ; implicit-def: $vgpr20_vgpr21
	s_and_saveexec_b64 s[0:1], vcc
	s_xor_b64 s[30:31], exec, s[0:1]
	s_cbranch_execz .LBB30_5
; %bb.4:                                ;   in Loop: Header=BB30_3 Depth=1
	s_ashr_i32 s34, s9, 31
	s_add_u32 s0, s8, s34
	s_mov_b32 s35, s34
	s_addc_u32 s1, s9, s34
	s_xor_b64 s[36:37], s[0:1], s[34:35]
	v_cvt_f32_u32_e32 v3, s36
	v_cvt_f32_u32_e32 v14, s37
	s_sub_u32 s0, 0, s36
	s_subb_u32 s1, 0, s37
	v_mac_f32_e32 v3, 0x4f800000, v14
	v_rcp_f32_e32 v3, v3
	v_mul_f32_e32 v3, 0x5f7ffffc, v3
	v_mul_f32_e32 v14, 0x2f800000, v3
	v_trunc_f32_e32 v14, v14
	v_mac_f32_e32 v3, 0xcf800000, v14
	v_cvt_u32_f32_e32 v14, v14
	v_cvt_u32_f32_e32 v3, v3
	v_mul_lo_u32 v15, s0, v14
	v_mul_hi_u32 v17, s0, v3
	v_mul_lo_u32 v16, s1, v3
	v_add_u32_e32 v15, v17, v15
	v_mul_lo_u32 v18, s0, v3
	v_add_u32_e32 v15, v15, v16
	v_mul_lo_u32 v17, v3, v15
	v_mul_hi_u32 v19, v3, v18
	v_mul_hi_u32 v16, v3, v15
	v_add_co_u32_e32 v17, vcc, v19, v17
	v_addc_co_u32_e32 v16, vcc, 0, v16, vcc
	v_mul_hi_u32 v20, v14, v18
	v_mul_lo_u32 v18, v14, v18
	v_add_co_u32_e32 v17, vcc, v17, v18
	v_mul_hi_u32 v19, v14, v15
	v_addc_co_u32_e32 v16, vcc, v16, v20, vcc
	v_addc_co_u32_e32 v17, vcc, 0, v19, vcc
	v_mul_lo_u32 v15, v14, v15
	v_add_co_u32_e32 v15, vcc, v16, v15
	v_addc_co_u32_e32 v16, vcc, 0, v17, vcc
	v_add_co_u32_e32 v3, vcc, v3, v15
	v_addc_co_u32_e32 v14, vcc, v14, v16, vcc
	v_mul_lo_u32 v15, s0, v14
	v_mul_hi_u32 v16, s0, v3
	v_add_u32_e32 v15, v16, v15
	v_mul_lo_u32 v16, s1, v3
	v_add_u32_e32 v15, v15, v16
	v_mul_lo_u32 v17, s0, v3
	v_mul_hi_u32 v18, v14, v17
	v_mul_lo_u32 v19, v14, v17
	v_mul_lo_u32 v21, v3, v15
	v_mul_hi_u32 v17, v3, v17
	v_mul_hi_u32 v20, v3, v15
	v_add_co_u32_e32 v17, vcc, v17, v21
	v_addc_co_u32_e32 v20, vcc, 0, v20, vcc
	v_add_co_u32_e32 v17, vcc, v17, v19
	v_mul_hi_u32 v16, v14, v15
	v_addc_co_u32_e32 v17, vcc, v20, v18, vcc
	v_addc_co_u32_e32 v16, vcc, 0, v16, vcc
	v_mul_lo_u32 v15, v14, v15
	v_add_co_u32_e32 v15, vcc, v17, v15
	v_addc_co_u32_e32 v16, vcc, 0, v16, vcc
	v_add_co_u32_e32 v3, vcc, v3, v15
	v_addc_co_u32_e32 v16, vcc, v14, v16, vcc
	v_ashrrev_i32_e32 v18, 31, v1
	v_add_co_u32_e32 v14, vcc, v0, v18
	v_addc_co_u32_e32 v15, vcc, v1, v18, vcc
	v_xor_b32_e32 v20, v14, v18
	v_xor_b32_e32 v19, v15, v18
	v_mad_u64_u32 v[14:15], s[0:1], v20, v16, 0
	v_mul_hi_u32 v17, v20, v3
	v_add_co_u32_e32 v21, vcc, v17, v14
	v_addc_co_u32_e32 v27, vcc, 0, v15, vcc
	v_mad_u64_u32 v[14:15], s[0:1], v19, v16, 0
	v_mad_u64_u32 v[16:17], s[0:1], v19, v3, 0
	v_add_co_u32_e32 v3, vcc, v21, v16
	v_addc_co_u32_e32 v3, vcc, v27, v17, vcc
	v_addc_co_u32_e32 v15, vcc, 0, v15, vcc
	v_add_co_u32_e32 v3, vcc, v3, v14
	v_addc_co_u32_e32 v16, vcc, 0, v15, vcc
	v_mul_lo_u32 v17, s37, v3
	v_mul_lo_u32 v21, s36, v16
	v_mad_u64_u32 v[14:15], s[0:1], s36, v3, 0
	v_add3_u32 v15, v15, v21, v17
	v_sub_u32_e32 v17, v19, v15
	v_mov_b32_e32 v21, s37
	v_sub_co_u32_e32 v14, vcc, v20, v14
	v_subb_co_u32_e64 v17, s[0:1], v17, v21, vcc
	v_subrev_co_u32_e64 v20, s[0:1], s36, v14
	v_subbrev_co_u32_e64 v17, s[0:1], 0, v17, s[0:1]
	v_cmp_le_u32_e64 s[0:1], s37, v17
	v_cndmask_b32_e64 v21, 0, -1, s[0:1]
	v_cmp_le_u32_e64 s[0:1], s36, v20
	v_cndmask_b32_e64 v20, 0, -1, s[0:1]
	v_cmp_eq_u32_e64 s[0:1], s37, v17
	v_cndmask_b32_e64 v17, v21, v20, s[0:1]
	v_add_co_u32_e64 v20, s[0:1], 2, v3
	v_subb_co_u32_e32 v15, vcc, v19, v15, vcc
	v_addc_co_u32_e64 v21, s[0:1], 0, v16, s[0:1]
	v_cmp_le_u32_e32 vcc, s37, v15
	v_add_co_u32_e64 v27, s[0:1], 1, v3
	v_cndmask_b32_e64 v19, 0, -1, vcc
	v_cmp_le_u32_e32 vcc, s36, v14
	v_addc_co_u32_e64 v28, s[0:1], 0, v16, s[0:1]
	v_cndmask_b32_e64 v14, 0, -1, vcc
	v_cmp_eq_u32_e32 vcc, s37, v15
	v_cmp_ne_u32_e64 s[0:1], 0, v17
	v_cndmask_b32_e32 v14, v19, v14, vcc
	v_cmp_ne_u32_e32 vcc, 0, v14
	v_cndmask_b32_e64 v15, v27, v20, s[0:1]
	v_cndmask_b32_e64 v17, v28, v21, s[0:1]
	v_cndmask_b32_e32 v3, v3, v15, vcc
	v_xor_b32_e32 v15, s34, v18
	v_cndmask_b32_e32 v14, v16, v17, vcc
	v_xor_b32_e32 v3, v3, v15
	v_xor_b32_e32 v14, v14, v15
	v_sub_co_u32_e32 v20, vcc, v3, v15
	v_subb_co_u32_e32 v21, vcc, v14, v15, vcc
.LBB30_5:                               ;   in Loop: Header=BB30_3 Depth=1
	s_andn2_saveexec_b64 s[0:1], s[30:31]
	s_cbranch_execz .LBB30_7
; %bb.6:                                ;   in Loop: Header=BB30_3 Depth=1
	v_cvt_f32_u32_e32 v3, s8
	s_sub_i32 s30, 0, s8
	v_mov_b32_e32 v21, v2
	v_rcp_iflag_f32_e32 v3, v3
	v_mul_f32_e32 v3, 0x4f7ffffe, v3
	v_cvt_u32_f32_e32 v3, v3
	v_mul_lo_u32 v14, s30, v3
	v_mul_hi_u32 v14, v3, v14
	v_add_u32_e32 v3, v3, v14
	v_mul_hi_u32 v3, v0, v3
	v_mul_lo_u32 v14, v3, s8
	v_sub_u32_e32 v14, v0, v14
	v_add_u32_e32 v15, 1, v3
	v_subrev_u32_e32 v16, s8, v14
	v_cmp_le_u32_e32 vcc, s8, v14
	v_cndmask_b32_e32 v14, v14, v16, vcc
	v_cndmask_b32_e32 v3, v3, v15, vcc
	v_add_u32_e32 v15, 1, v3
	v_cmp_le_u32_e32 vcc, s8, v14
	v_cndmask_b32_e32 v20, v3, v15, vcc
.LBB30_7:                               ;   in Loop: Header=BB30_3 Depth=1
	s_or_b64 exec, exec, s[0:1]
	v_mad_u64_u32 v[14:15], s[0:1], s40, v20, v[0:1]
	v_mul_lo_u32 v3, s40, v21
	v_mul_lo_u32 v16, s39, v20
	v_add3_u32 v3, v16, v15, v3
	v_mul_lo_u32 v15, v14, s7
	v_mul_lo_u32 v18, v3, s6
	v_mad_u64_u32 v[16:17], s[0:1], v14, s6, 0
	v_add3_u32 v17, v17, v15, v18
	v_lshlrev_b64 v[16:17], 1, v[16:17]
	v_mov_b32_e32 v15, s3
	v_add_co_u32_e32 v34, vcc, s2, v16
	v_addc_co_u32_e32 v35, vcc, v15, v17, vcc
	v_mad_u64_u32 v[16:17], s[0:1], v20, 3, 1
	v_lshl_add_u32 v29, v21, 1, v21
	v_add_u32_e32 v17, v29, v17
	v_mul_lo_u32 v18, s9, v16
	v_mul_lo_u32 v19, s8, v17
	v_mad_u64_u32 v[16:17], s[0:1], s8, v16, v[0:1]
	v_add3_u32 v27, v18, v17, v19
	v_mul_lo_u32 v17, v27, s6
	v_mul_lo_u32 v21, v16, s7
	v_mad_u64_u32 v[18:19], s[0:1], v16, s6, 0
	v_add3_u32 v19, v19, v21, v17
	v_lshlrev_b64 v[18:19], 1, v[18:19]
	v_add_co_u32_e32 v36, vcc, s2, v18
	v_addc_co_u32_e32 v37, vcc, v15, v19, vcc
	v_mad_u64_u32 v[18:19], s[0:1], v20, 3, 2
	v_add_u32_e32 v17, v29, v19
	v_mul_lo_u32 v21, s9, v18
	v_mul_lo_u32 v17, s8, v17
	v_mad_u64_u32 v[18:19], s[0:1], s8, v18, v[0:1]
	v_add3_u32 v28, v21, v19, v17
	v_mul_lo_u32 v17, v28, s6
	v_mul_lo_u32 v19, v18, s7
	v_mad_u64_u32 v[30:31], s[0:1], v18, s6, 0
	v_mad_u64_u32 v[20:21], s[0:1], v20, 3, 3
	v_add3_u32 v31, v31, v19, v17
	v_add_u32_e32 v17, v29, v21
	v_lshlrev_b64 v[30:31], 1, v[30:31]
	v_mul_lo_u32 v19, s9, v20
	v_mul_lo_u32 v17, s8, v17
	v_mad_u64_u32 v[20:21], s[0:1], s8, v20, v[0:1]
	v_add_co_u32_e32 v38, vcc, s2, v30
	v_add3_u32 v30, v19, v21, v17
	v_mul_lo_u32 v17, v30, s6
	v_mul_lo_u32 v19, v20, s7
	v_mad_u64_u32 v[32:33], s[0:1], v20, s6, 0
	v_add3_u32 v33, v33, v19, v17
	v_addc_co_u32_e32 v39, vcc, v15, v31, vcc
	v_lshlrev_b64 v[32:33], 1, v[32:33]
	v_add_co_u32_e32 v40, vcc, s2, v32
	v_addc_co_u32_e32 v41, vcc, v15, v33, vcc
	global_load_ushort v17, v[34:35], off
	global_load_ushort v21, v[36:37], off
	;; [unrolled: 1-line block ×6, first 2 shown]
	s_andn2_b64 vcc, exec, s[16:17]
	v_mov_b32_e32 v15, 0
	v_mov_b32_e32 v32, 0
	s_cbranch_vccnz .LBB30_9
; %bb.8:                                ;   in Loop: Header=BB30_3 Depth=1
	global_load_ushort v32, v[10:11], off
	s_waitcnt vmcnt(0)
	v_lshlrev_b32_e32 v32, 16, v32
.LBB30_9:                               ;   in Loop: Header=BB30_3 Depth=1
	s_andn2_b64 vcc, exec, s[18:19]
	s_cbranch_vccnz .LBB30_11
; %bb.10:                               ;   in Loop: Header=BB30_3 Depth=1
	global_load_ushort v15, v[12:13], off
	s_waitcnt vmcnt(0)
	v_lshlrev_b32_e32 v15, 16, v15
.LBB30_11:                              ;   in Loop: Header=BB30_3 Depth=1
	s_waitcnt vmcnt(0)
	v_lshlrev_b32_e32 v33, 16, v33
	v_cmp_nlt_f32_e64 s[0:1], |v33|, s41
                                        ; implicit-def: $vgpr34
	s_and_saveexec_b64 s[30:31], s[0:1]
	s_xor_b64 s[0:1], exec, s[30:31]
	s_cbranch_execz .LBB30_13
; %bb.12:                               ;   in Loop: Header=BB30_3 Depth=1
	v_add_f32_e64 v34, |v33|, |v33|
	v_mul_f32_e32 v35, 0x3fb8aa3b, v34
	v_rndne_f32_e32 v36, v35
	v_sub_f32_e32 v37, v35, v36
	v_fma_f32 v35, v34, s42, -v35
	v_fmac_f32_e32 v35, 0x32a5705f, v34
	v_add_f32_e32 v35, v37, v35
	v_cvt_i32_f32_e32 v36, v36
	v_exp_f32_e32 v35, v35
	v_cmp_ngt_f32_e32 vcc, s43, v34
	v_ldexp_f32 v35, v35, v36
	v_cndmask_b32_e32 v35, 0, v35, vcc
	v_cmp_nlt_f32_e32 vcc, s44, v34
	v_cndmask_b32_e32 v34, v25, v35, vcc
	v_add_f32_e32 v34, 1.0, v34
	v_rcp_f32_e32 v34, v34
	v_fma_f32 v34, v34, -2.0, 1.0
.LBB30_13:                              ;   in Loop: Header=BB30_3 Depth=1
	s_andn2_saveexec_b64 s[0:1], s[0:1]
	s_cbranch_execz .LBB30_2
; %bb.14:                               ;   in Loop: Header=BB30_3 Depth=1
	v_mul_f32_e32 v34, v33, v33
	v_mov_b32_e32 v35, 0x3ca908c9
	v_fmac_f32_e32 v35, 0xbbbac73d, v34
	v_fma_f32 v35, v34, v35, v22
	v_fma_f32 v35, v34, v35, v23
	;; [unrolled: 1-line block ×3, first 2 shown]
	v_mul_f32_e64 v35, |v33|, v35
	v_fma_f32 v34, v34, v35, |v33|
	s_branch .LBB30_2
.LBB30_15:
	s_endpgm
	.section	.rodata,"a",@progbits
	.p2align	6, 0x0
	.amdhsa_kernel _ZN2at6native12_GLOBAL__N_16kernel18lstm_cell_backwardIN3c108BFloat16EflLi1EEEvNS_4cuda6detail10TensorInfoIT_T1_EESB_SB_SB_SB_SB_SB_SA_SA_
		.amdhsa_group_segment_fixed_size 0
		.amdhsa_private_segment_fixed_size 0
		.amdhsa_kernarg_size 3184
		.amdhsa_user_sgpr_count 6
		.amdhsa_user_sgpr_private_segment_buffer 1
		.amdhsa_user_sgpr_dispatch_ptr 0
		.amdhsa_user_sgpr_queue_ptr 0
		.amdhsa_user_sgpr_kernarg_segment_ptr 1
		.amdhsa_user_sgpr_dispatch_id 0
		.amdhsa_user_sgpr_flat_scratch_init 0
		.amdhsa_user_sgpr_kernarg_preload_length 0
		.amdhsa_user_sgpr_kernarg_preload_offset 0
		.amdhsa_user_sgpr_private_segment_size 0
		.amdhsa_uses_dynamic_stack 0
		.amdhsa_system_sgpr_private_segment_wavefront_offset 0
		.amdhsa_system_sgpr_workgroup_id_x 1
		.amdhsa_system_sgpr_workgroup_id_y 0
		.amdhsa_system_sgpr_workgroup_id_z 0
		.amdhsa_system_sgpr_workgroup_info 0
		.amdhsa_system_vgpr_workitem_id 0
		.amdhsa_next_free_vgpr 44
		.amdhsa_next_free_sgpr 47
		.amdhsa_accum_offset 44
		.amdhsa_reserve_vcc 1
		.amdhsa_reserve_flat_scratch 0
		.amdhsa_float_round_mode_32 0
		.amdhsa_float_round_mode_16_64 0
		.amdhsa_float_denorm_mode_32 3
		.amdhsa_float_denorm_mode_16_64 3
		.amdhsa_dx10_clamp 1
		.amdhsa_ieee_mode 1
		.amdhsa_fp16_overflow 0
		.amdhsa_tg_split 0
		.amdhsa_exception_fp_ieee_invalid_op 0
		.amdhsa_exception_fp_denorm_src 0
		.amdhsa_exception_fp_ieee_div_zero 0
		.amdhsa_exception_fp_ieee_overflow 0
		.amdhsa_exception_fp_ieee_underflow 0
		.amdhsa_exception_fp_ieee_inexact 0
		.amdhsa_exception_int_div_zero 0
	.end_amdhsa_kernel
	.section	.text._ZN2at6native12_GLOBAL__N_16kernel18lstm_cell_backwardIN3c108BFloat16EflLi1EEEvNS_4cuda6detail10TensorInfoIT_T1_EESB_SB_SB_SB_SB_SB_SA_SA_,"axG",@progbits,_ZN2at6native12_GLOBAL__N_16kernel18lstm_cell_backwardIN3c108BFloat16EflLi1EEEvNS_4cuda6detail10TensorInfoIT_T1_EESB_SB_SB_SB_SB_SB_SA_SA_,comdat
.Lfunc_end30:
	.size	_ZN2at6native12_GLOBAL__N_16kernel18lstm_cell_backwardIN3c108BFloat16EflLi1EEEvNS_4cuda6detail10TensorInfoIT_T1_EESB_SB_SB_SB_SB_SB_SA_SA_, .Lfunc_end30-_ZN2at6native12_GLOBAL__N_16kernel18lstm_cell_backwardIN3c108BFloat16EflLi1EEEvNS_4cuda6detail10TensorInfoIT_T1_EESB_SB_SB_SB_SB_SB_SA_SA_
                                        ; -- End function
	.section	.AMDGPU.csdata,"",@progbits
; Kernel info:
; codeLenInByte = 2732
; NumSgprs: 51
; NumVgprs: 44
; NumAgprs: 0
; TotalNumVgprs: 44
; ScratchSize: 0
; MemoryBound: 0
; FloatMode: 240
; IeeeMode: 1
; LDSByteSize: 0 bytes/workgroup (compile time only)
; SGPRBlocks: 6
; VGPRBlocks: 5
; NumSGPRsForWavesPerEU: 51
; NumVGPRsForWavesPerEU: 44
; AccumOffset: 44
; Occupancy: 8
; WaveLimiterHint : 1
; COMPUTE_PGM_RSRC2:SCRATCH_EN: 0
; COMPUTE_PGM_RSRC2:USER_SGPR: 6
; COMPUTE_PGM_RSRC2:TRAP_HANDLER: 0
; COMPUTE_PGM_RSRC2:TGID_X_EN: 1
; COMPUTE_PGM_RSRC2:TGID_Y_EN: 0
; COMPUTE_PGM_RSRC2:TGID_Z_EN: 0
; COMPUTE_PGM_RSRC2:TIDIG_COMP_CNT: 0
; COMPUTE_PGM_RSRC3_GFX90A:ACCUM_OFFSET: 10
; COMPUTE_PGM_RSRC3_GFX90A:TG_SPLIT: 0
	.section	.text._ZN2at6native12_GLOBAL__N_16kernel18lstm_cell_backwardIN3c108BFloat16EflLi2EEEvNS_4cuda6detail10TensorInfoIT_T1_EESB_SB_SB_SB_SB_SB_SA_SA_,"axG",@progbits,_ZN2at6native12_GLOBAL__N_16kernel18lstm_cell_backwardIN3c108BFloat16EflLi2EEEvNS_4cuda6detail10TensorInfoIT_T1_EESB_SB_SB_SB_SB_SB_SA_SA_,comdat
	.globl	_ZN2at6native12_GLOBAL__N_16kernel18lstm_cell_backwardIN3c108BFloat16EflLi2EEEvNS_4cuda6detail10TensorInfoIT_T1_EESB_SB_SB_SB_SB_SB_SA_SA_ ; -- Begin function _ZN2at6native12_GLOBAL__N_16kernel18lstm_cell_backwardIN3c108BFloat16EflLi2EEEvNS_4cuda6detail10TensorInfoIT_T1_EESB_SB_SB_SB_SB_SB_SA_SA_
	.p2align	8
	.type	_ZN2at6native12_GLOBAL__N_16kernel18lstm_cell_backwardIN3c108BFloat16EflLi2EEEvNS_4cuda6detail10TensorInfoIT_T1_EESB_SB_SB_SB_SB_SB_SA_SA_,@function
_ZN2at6native12_GLOBAL__N_16kernel18lstm_cell_backwardIN3c108BFloat16EflLi2EEEvNS_4cuda6detail10TensorInfoIT_T1_EESB_SB_SB_SB_SB_SB_SA_SA_: ; @_ZN2at6native12_GLOBAL__N_16kernel18lstm_cell_backwardIN3c108BFloat16EflLi2EEEvNS_4cuda6detail10TensorInfoIT_T1_EESB_SB_SB_SB_SB_SB_SA_SA_
; %bb.0:
	s_load_dword s2, s[4:5], 0xb7c
	s_load_dwordx4 s[8:11], s[4:5], 0xb60
	s_add_u32 s0, s4, 0xb70
	s_addc_u32 s1, s5, 0
	v_mov_b32_e32 v2, 0
	s_waitcnt lgkmcnt(0)
	s_and_b32 s7, s2, 0xffff
	s_mul_i32 s6, s6, s7
	v_add_u32_e32 v0, s6, v0
	v_mov_b32_e32 v1, v2
	v_cmp_gt_i64_e32 vcc, s[10:11], v[0:1]
	s_and_saveexec_b64 s[2:3], vcc
	s_cbranch_execz .LBB31_68
; %bb.1:
	s_load_dwordx2 s[2:3], s[4:5], 0x0
	s_load_dwordx2 s[34:35], s[4:5], 0x10
	s_load_dwordx4 s[12:15], s[4:5], 0xd0
	s_load_dwordx2 s[40:41], s[4:5], 0x1a0
	s_load_dwordx2 s[42:43], s[4:5], 0x340
	;; [unrolled: 1-line block ×3, first 2 shown]
	s_load_dwordx4 s[16:19], s[4:5], 0x410
	s_load_dwordx2 s[46:47], s[4:5], 0x4e0
	s_load_dwordx2 s[48:49], s[4:5], 0x4f0
	s_load_dwordx4 s[20:23], s[4:5], 0x5b0
	s_load_dwordx2 s[50:51], s[4:5], 0x680
	s_load_dwordx2 s[52:53], s[4:5], 0x690
	;; [unrolled: 3-line block ×4, first 2 shown]
	s_nop 0
	s_load_dword s0, s[0:1], 0x0
	s_waitcnt lgkmcnt(0)
	s_cmp_lg_u64 s[50:51], 0
	v_cvt_f32_u32_e32 v3, s8
	s_cselect_b64 s[62:63], -1, 0
	s_cmp_lg_u64 s[54:55], 0
	s_mul_i32 s33, s0, s7
	s_mul_i32 s0, s9, 3
	s_mul_hi_u32 s1, s8, 3
	s_cselect_b64 s[64:65], -1, 0
	s_add_i32 s77, s1, s0
	s_sub_u32 s79, 0, s44
	s_subb_u32 s80, 0, s45
	v_rcp_iflag_f32_e32 v3, v3
	s_sub_u32 s81, 0, s48
	s_subb_u32 s82, 0, s49
	s_sub_u32 s83, 0, s60
	s_load_dwordx2 s[66:67], s[4:5], 0x1b0
	s_load_dwordx4 s[36:39], s[4:5], 0x270
	s_nop 0
	s_load_dwordx4 s[4:7], s[4:5], 0xa90
	s_subb_u32 s84, 0, s61
	v_mul_f32_e32 v3, 0x4f7ffffe, v3
	s_sub_u32 s85, 0, s52
	v_cvt_u32_f32_e32 v27, v3
	s_subb_u32 s86, 0, s53
	s_sub_u32 s87, 0, s56
	s_mov_b32 s76, 0
	s_mul_i32 s78, s8, 3
	s_subb_u32 s88, 0, s57
	s_mov_b32 s89, 0x3f200000
	s_mov_b32 s90, 0x3fb8aa3b
	;; [unrolled: 1-line block ×4, first 2 shown]
	v_mov_b32_e32 v24, 0xbd5c1c4e
	v_mov_b32_e32 v25, 0x3e088382
	;; [unrolled: 1-line block ×3, first 2 shown]
	s_brev_b32 s93, -2
	s_movk_i32 s94, 0x7fff
	v_mov_b32_e32 v28, 0x7f800000
	v_mov_b32_e32 v29, 0x7fc0
	s_mov_b64 s[68:69], 0
	s_branch .LBB31_3
.LBB31_2:                               ;   in Loop: Header=BB31_3 Depth=1
	s_or_b64 exec, exec, s[0:1]
	v_mad_u64_u32 v[38:39], s[0:1], s83, v20, v[0:1]
	v_mul_lo_u32 v23, s83, v21
	v_mul_lo_u32 v36, s84, v20
	v_add3_u32 v23, v36, v39, v23
	v_mul_lo_u32 v36, v38, s7
	v_mul_lo_u32 v23, v23, s6
	v_mad_u64_u32 v[38:39], s[0:1], v38, s6, 0
	v_add3_u32 v39, v39, v36, v23
	v_mul_lo_u32 v23, v21, s4
	v_mul_lo_u32 v36, v20, s5
	v_mad_u64_u32 v[20:21], s[0:1], v20, s4, 0
	v_add3_u32 v21, v21, v36, v23
	v_lshlrev_b64 v[20:21], 1, v[20:21]
	v_mov_b32_e32 v23, s59
	v_add_co_u32_e32 v36, vcc, s58, v20
	v_addc_co_u32_e32 v23, vcc, v23, v21, vcc
	v_lshlrev_b64 v[20:21], 1, v[38:39]
	v_add_co_u32_e32 v20, vcc, v36, v20
	v_addc_co_u32_e32 v21, vcc, v23, v21, vcc
	v_mul_lo_u32 v23, v19, s66
	v_mul_lo_u32 v36, v18, s67
	v_mad_u64_u32 v[38:39], s[0:1], v18, s66, 0
	v_add3_u32 v23, v39, v36, v23
	v_sub_co_u32_e32 v10, vcc, v10, v38
	v_subb_co_u32_e32 v11, vcc, v11, v23, vcc
	v_add_co_u32_e32 v10, vcc, v0, v10
	v_addc_co_u32_e32 v11, vcc, v1, v11, vcc
	v_mul_lo_u32 v23, v11, s38
	v_mul_lo_u32 v36, v10, s39
	v_mad_u64_u32 v[10:11], s[0:1], v10, s38, 0
	v_add3_u32 v11, v11, v36, v23
	v_mul_lo_u32 v23, v19, s36
	v_mul_lo_u32 v36, v18, s37
	v_mad_u64_u32 v[18:19], s[0:1], v18, s36, 0
	v_add3_u32 v19, v19, v36, v23
	v_lshlrev_b64 v[18:19], 1, v[18:19]
	v_mov_b32_e32 v23, s41
	v_add_co_u32_e32 v18, vcc, s40, v18
	v_addc_co_u32_e32 v19, vcc, v23, v19, vcc
	v_lshlrev_b64 v[10:11], 1, v[10:11]
	v_add_co_u32_e32 v10, vcc, v18, v10
	v_addc_co_u32_e32 v11, vcc, v19, v11, vcc
	v_mul_lo_u32 v36, v17, s66
	v_mul_lo_u32 v38, v16, s67
	v_mad_u64_u32 v[18:19], s[0:1], v16, s66, 0
	v_add3_u32 v19, v19, v38, v36
	v_sub_co_u32_e32 v8, vcc, v8, v18
	v_subb_co_u32_e32 v18, vcc, v33, v19, vcc
	v_add_co_u32_e32 v8, vcc, v0, v8
	v_addc_co_u32_e32 v18, vcc, v1, v18, vcc
	v_mul_lo_u32 v33, v18, s38
	v_mul_lo_u32 v36, v8, s39
	v_mad_u64_u32 v[18:19], s[0:1], v8, s38, 0
	v_add3_u32 v19, v19, v36, v33
	v_mul_lo_u32 v8, v17, s36
	v_mul_lo_u32 v33, v16, s37
	v_mad_u64_u32 v[16:17], s[0:1], v16, s36, 0
	v_add3_u32 v17, v17, v33, v8
	v_lshlrev_b64 v[16:17], 1, v[16:17]
	v_add_co_u32_e32 v8, vcc, s40, v16
	v_addc_co_u32_e32 v33, vcc, v23, v17, vcc
	v_lshlrev_b64 v[16:17], 1, v[18:19]
	v_add_co_u32_e32 v16, vcc, v8, v16
	v_addc_co_u32_e32 v17, vcc, v33, v17, vcc
	v_mul_lo_u32 v8, v15, s66
	v_mul_lo_u32 v33, v14, s67
	v_mad_u64_u32 v[18:19], s[0:1], v14, s66, 0
	v_add3_u32 v8, v19, v33, v8
	v_sub_co_u32_e32 v6, vcc, v6, v18
	v_subb_co_u32_e32 v8, vcc, v32, v8, vcc
	v_add_co_u32_e32 v6, vcc, v0, v6
	v_addc_co_u32_e32 v8, vcc, v1, v8, vcc
	v_mul_lo_u32 v8, v8, s38
	v_mul_lo_u32 v32, v6, s39
	v_mad_u64_u32 v[18:19], s[0:1], v6, s38, 0
	v_add3_u32 v19, v19, v32, v8
	v_mul_lo_u32 v6, v15, s36
	v_mul_lo_u32 v8, v14, s37
	v_mad_u64_u32 v[14:15], s[0:1], v14, s36, 0
	v_add3_u32 v15, v15, v8, v6
	v_lshlrev_b64 v[14:15], 1, v[14:15]
	;; [unrolled: 22-line block ×3, first 2 shown]
	v_add_co_u32_e32 v4, vcc, s40, v12
	v_addc_co_u32_e32 v6, vcc, v23, v13, vcc
	v_lshlrev_b64 v[12:13], 1, v[18:19]
	v_bfi_b32 v3, s93, v22, v3
	v_lshlrev_b32_e32 v18, 16, v34
	v_add_co_u32_e32 v12, vcc, v4, v12
	v_mul_f32_e32 v8, v37, v3
	v_mul_f32_e32 v4, v37, v18
	v_fma_f32 v3, -v3, v3, 1.0
	v_fmac_f32_e32 v5, v4, v3
	v_lshlrev_b32_e32 v3, 16, v35
	v_lshlrev_b32_e32 v4, 16, v7
	v_addc_co_u32_e32 v13, vcc, v6, v13, vcc
	v_sub_f32_e32 v6, 1.0, v4
	v_mul_f32_e32 v3, v5, v3
	v_mul_f32_e32 v3, v6, v3
	v_lshlrev_b32_e32 v7, 16, v30
	v_lshlrev_b32_e32 v6, 16, v9
	v_mul_f32_e32 v19, v5, v4
	v_mul_f32_e32 v3, v3, v4
	v_mul_f32_e32 v4, v5, v6
	v_sub_f32_e32 v9, 1.0, v7
	v_mul_f32_e32 v4, v9, v4
	v_mul_f32_e32 v9, v4, v7
	v_mov_b32_e32 v4, v6
	v_pk_mul_f32 v[4:5], v[4:5], v[6:7]
	v_bfe_u32 v6, v9, 16, 1
	v_add3_u32 v6, v9, v6, s94
	v_lshrrev_b32_e32 v6, 16, v6
	v_cmp_o_f32_e32 vcc, v9, v9
	v_cndmask_b32_e32 v6, v29, v6, vcc
	global_store_short v[12:13], v6, off
	v_bfe_u32 v6, v3, 16, 1
	v_add3_u32 v6, v3, v6, s94
	v_sub_f32_e32 v4, 1.0, v4
	v_lshrrev_b32_e32 v6, 16, v6
	v_cmp_o_f32_e32 vcc, v3, v3
	v_mul_f32_e32 v4, v4, v5
	v_cndmask_b32_e32 v3, v29, v6, vcc
	global_store_short v[14:15], v3, off
	v_bfe_u32 v3, v4, 16, 1
	v_sub_f32_e32 v5, 1.0, v18
	v_add3_u32 v3, v4, v3, s94
	v_mul_f32_e32 v5, v5, v8
	v_lshrrev_b32_e32 v3, 16, v3
	v_cmp_o_f32_e32 vcc, v4, v4
	v_mul_f32_e32 v5, v5, v18
	v_cndmask_b32_e32 v3, v29, v3, vcc
	global_store_short v[16:17], v3, off
	v_bfe_u32 v3, v5, 16, 1
	v_add3_u32 v3, v5, v3, s94
	v_lshrrev_b32_e32 v3, 16, v3
	v_cmp_o_f32_e32 vcc, v5, v5
	v_cndmask_b32_e32 v3, v29, v3, vcc
	global_store_short v[10:11], v3, off
	v_bfe_u32 v3, v19, 16, 1
	v_add3_u32 v3, v19, v3, s94
	v_lshrrev_b32_e32 v3, 16, v3
	v_cmp_o_f32_e32 vcc, v19, v19
	v_cndmask_b32_e32 v3, v29, v3, vcc
	v_mov_b32_e32 v4, s76
	v_add_co_u32_e32 v0, vcc, s33, v0
	v_addc_co_u32_e32 v1, vcc, v1, v4, vcc
	v_cmp_le_i64_e32 vcc, s[10:11], v[0:1]
	s_or_b64 s[68:69], vcc, s[68:69]
	global_store_short v[20:21], v3, off
	s_andn2_b64 exec, exec, s[68:69]
	s_cbranch_execz .LBB31_68
.LBB31_3:                               ; =>This Inner Loop Header: Depth=1
	v_or_b32_e32 v3, s9, v1
	v_cmp_ne_u64_e32 vcc, 0, v[2:3]
                                        ; implicit-def: $vgpr8_vgpr9
	s_and_saveexec_b64 s[0:1], vcc
	s_xor_b64 s[70:71], exec, s[0:1]
	s_cbranch_execz .LBB31_5
; %bb.4:                                ;   in Loop: Header=BB31_3 Depth=1
	s_ashr_i32 s72, s9, 31
	s_add_u32 s0, s8, s72
	s_mov_b32 s73, s72
	s_addc_u32 s1, s9, s72
	s_xor_b64 s[74:75], s[0:1], s[72:73]
	v_cvt_f32_u32_e32 v3, s74
	v_cvt_f32_u32_e32 v4, s75
	s_sub_u32 s0, 0, s74
	s_subb_u32 s1, 0, s75
	v_mac_f32_e32 v3, 0x4f800000, v4
	v_rcp_f32_e32 v3, v3
	v_mul_f32_e32 v3, 0x5f7ffffc, v3
	v_mul_f32_e32 v4, 0x2f800000, v3
	v_trunc_f32_e32 v4, v4
	v_mac_f32_e32 v3, 0xcf800000, v4
	v_cvt_u32_f32_e32 v4, v4
	v_cvt_u32_f32_e32 v3, v3
	v_mul_lo_u32 v5, s0, v4
	v_mul_hi_u32 v7, s0, v3
	v_mul_lo_u32 v6, s1, v3
	v_add_u32_e32 v5, v7, v5
	v_mul_lo_u32 v8, s0, v3
	v_add_u32_e32 v5, v5, v6
	v_mul_lo_u32 v7, v3, v5
	v_mul_hi_u32 v9, v3, v8
	v_mul_hi_u32 v6, v3, v5
	v_add_co_u32_e32 v7, vcc, v9, v7
	v_addc_co_u32_e32 v6, vcc, 0, v6, vcc
	v_mul_hi_u32 v10, v4, v8
	v_mul_lo_u32 v8, v4, v8
	v_add_co_u32_e32 v7, vcc, v7, v8
	v_mul_hi_u32 v9, v4, v5
	v_addc_co_u32_e32 v6, vcc, v6, v10, vcc
	v_addc_co_u32_e32 v7, vcc, 0, v9, vcc
	v_mul_lo_u32 v5, v4, v5
	v_add_co_u32_e32 v5, vcc, v6, v5
	v_addc_co_u32_e32 v6, vcc, 0, v7, vcc
	v_add_co_u32_e32 v3, vcc, v3, v5
	v_addc_co_u32_e32 v4, vcc, v4, v6, vcc
	v_mul_lo_u32 v5, s0, v4
	v_mul_hi_u32 v6, s0, v3
	v_add_u32_e32 v5, v6, v5
	v_mul_lo_u32 v6, s1, v3
	v_add_u32_e32 v5, v5, v6
	v_mul_lo_u32 v7, s0, v3
	v_mul_hi_u32 v8, v4, v7
	v_mul_lo_u32 v9, v4, v7
	v_mul_lo_u32 v11, v3, v5
	v_mul_hi_u32 v7, v3, v7
	v_mul_hi_u32 v10, v3, v5
	v_add_co_u32_e32 v7, vcc, v7, v11
	v_addc_co_u32_e32 v10, vcc, 0, v10, vcc
	v_add_co_u32_e32 v7, vcc, v7, v9
	v_mul_hi_u32 v6, v4, v5
	v_addc_co_u32_e32 v7, vcc, v10, v8, vcc
	v_addc_co_u32_e32 v6, vcc, 0, v6, vcc
	v_mul_lo_u32 v5, v4, v5
	v_add_co_u32_e32 v5, vcc, v7, v5
	v_addc_co_u32_e32 v6, vcc, 0, v6, vcc
	v_add_co_u32_e32 v3, vcc, v3, v5
	v_addc_co_u32_e32 v6, vcc, v4, v6, vcc
	v_ashrrev_i32_e32 v8, 31, v1
	v_add_co_u32_e32 v4, vcc, v0, v8
	v_addc_co_u32_e32 v5, vcc, v1, v8, vcc
	v_xor_b32_e32 v10, v4, v8
	v_xor_b32_e32 v9, v5, v8
	v_mad_u64_u32 v[4:5], s[0:1], v10, v6, 0
	v_mul_hi_u32 v7, v10, v3
	v_add_co_u32_e32 v11, vcc, v7, v4
	v_addc_co_u32_e32 v12, vcc, 0, v5, vcc
	v_mad_u64_u32 v[4:5], s[0:1], v9, v6, 0
	v_mad_u64_u32 v[6:7], s[0:1], v9, v3, 0
	v_add_co_u32_e32 v3, vcc, v11, v6
	v_addc_co_u32_e32 v3, vcc, v12, v7, vcc
	v_addc_co_u32_e32 v5, vcc, 0, v5, vcc
	v_add_co_u32_e32 v3, vcc, v3, v4
	v_addc_co_u32_e32 v6, vcc, 0, v5, vcc
	v_mul_lo_u32 v7, s75, v3
	v_mul_lo_u32 v11, s74, v6
	v_mad_u64_u32 v[4:5], s[0:1], s74, v3, 0
	v_add3_u32 v5, v5, v11, v7
	v_sub_u32_e32 v7, v9, v5
	v_mov_b32_e32 v11, s75
	v_sub_co_u32_e32 v4, vcc, v10, v4
	v_subb_co_u32_e64 v7, s[0:1], v7, v11, vcc
	v_subrev_co_u32_e64 v10, s[0:1], s74, v4
	v_subbrev_co_u32_e64 v7, s[0:1], 0, v7, s[0:1]
	v_cmp_le_u32_e64 s[0:1], s75, v7
	v_cndmask_b32_e64 v11, 0, -1, s[0:1]
	v_cmp_le_u32_e64 s[0:1], s74, v10
	v_cndmask_b32_e64 v10, 0, -1, s[0:1]
	v_cmp_eq_u32_e64 s[0:1], s75, v7
	v_cndmask_b32_e64 v7, v11, v10, s[0:1]
	v_add_co_u32_e64 v10, s[0:1], 2, v3
	v_subb_co_u32_e32 v5, vcc, v9, v5, vcc
	v_addc_co_u32_e64 v11, s[0:1], 0, v6, s[0:1]
	v_cmp_le_u32_e32 vcc, s75, v5
	v_add_co_u32_e64 v12, s[0:1], 1, v3
	v_cndmask_b32_e64 v9, 0, -1, vcc
	v_cmp_le_u32_e32 vcc, s74, v4
	v_addc_co_u32_e64 v13, s[0:1], 0, v6, s[0:1]
	v_cndmask_b32_e64 v4, 0, -1, vcc
	v_cmp_eq_u32_e32 vcc, s75, v5
	v_cmp_ne_u32_e64 s[0:1], 0, v7
	v_cndmask_b32_e32 v4, v9, v4, vcc
	v_cmp_ne_u32_e32 vcc, 0, v4
	v_cndmask_b32_e64 v5, v12, v10, s[0:1]
	v_cndmask_b32_e64 v7, v13, v11, s[0:1]
	v_cndmask_b32_e32 v3, v3, v5, vcc
	v_xor_b32_e32 v5, s72, v8
	v_cndmask_b32_e32 v4, v6, v7, vcc
	v_xor_b32_e32 v3, v3, v5
	v_xor_b32_e32 v4, v4, v5
	v_sub_co_u32_e32 v8, vcc, v3, v5
	v_subb_co_u32_e32 v9, vcc, v4, v5, vcc
.LBB31_5:                               ;   in Loop: Header=BB31_3 Depth=1
	s_andn2_saveexec_b64 s[0:1], s[70:71]
	s_cbranch_execz .LBB31_7
; %bb.6:                                ;   in Loop: Header=BB31_3 Depth=1
	s_sub_i32 s70, 0, s8
	v_mul_lo_u32 v3, s70, v27
	v_mul_hi_u32 v3, v27, v3
	v_add_u32_e32 v3, v27, v3
	v_mul_hi_u32 v3, v0, v3
	v_mul_lo_u32 v4, v3, s8
	v_sub_u32_e32 v4, v0, v4
	v_subrev_u32_e32 v5, s8, v4
	v_cmp_le_u32_e32 vcc, s8, v4
	v_cndmask_b32_e32 v4, v4, v5, vcc
	v_add_u32_e32 v5, 1, v3
	v_cndmask_b32_e32 v3, v3, v5, vcc
	v_add_u32_e32 v5, 1, v3
	v_cmp_le_u32_e32 vcc, s8, v4
	v_cndmask_b32_e32 v8, v3, v5, vcc
	v_mov_b32_e32 v9, v2
.LBB31_7:                               ;   in Loop: Header=BB31_3 Depth=1
	s_or_b64 exec, exec, s[0:1]
	v_mul_lo_u32 v10, s77, v8
	v_mul_lo_u32 v11, s78, v9
	v_mad_u64_u32 v[14:15], s[0:1], s78, v8, v[0:1]
	v_add3_u32 v15, v10, v15, v11
	v_or_b32_e32 v3, s35, v15
	v_cmp_ne_u64_e32 vcc, 0, v[2:3]
	v_ashrrev_i32_e32 v22, 31, v15
                                        ; implicit-def: $vgpr6_vgpr7
	s_and_saveexec_b64 s[0:1], vcc
	s_xor_b64 s[70:71], exec, s[0:1]
	s_cbranch_execz .LBB31_9
; %bb.8:                                ;   in Loop: Header=BB31_3 Depth=1
	s_ashr_i32 s72, s35, 31
	s_add_u32 s0, s34, s72
	s_mov_b32 s73, s72
	s_addc_u32 s1, s35, s72
	s_xor_b64 s[74:75], s[0:1], s[72:73]
	v_cvt_f32_u32_e32 v3, s74
	v_cvt_f32_u32_e32 v4, s75
	s_sub_u32 s0, 0, s74
	s_subb_u32 s1, 0, s75
	v_mac_f32_e32 v3, 0x4f800000, v4
	v_rcp_f32_e32 v3, v3
	v_mul_f32_e32 v3, 0x5f7ffffc, v3
	v_mul_f32_e32 v4, 0x2f800000, v3
	v_trunc_f32_e32 v4, v4
	v_mac_f32_e32 v3, 0xcf800000, v4
	v_cvt_u32_f32_e32 v4, v4
	v_cvt_u32_f32_e32 v3, v3
	v_mul_lo_u32 v5, s0, v4
	v_mul_hi_u32 v7, s0, v3
	v_mul_lo_u32 v6, s1, v3
	v_add_u32_e32 v5, v7, v5
	v_mul_lo_u32 v12, s0, v3
	v_add_u32_e32 v5, v5, v6
	v_mul_lo_u32 v7, v3, v5
	v_mul_hi_u32 v13, v3, v12
	v_mul_hi_u32 v6, v3, v5
	v_add_co_u32_e32 v7, vcc, v13, v7
	v_addc_co_u32_e32 v6, vcc, 0, v6, vcc
	v_mul_hi_u32 v16, v4, v12
	v_mul_lo_u32 v12, v4, v12
	v_add_co_u32_e32 v7, vcc, v7, v12
	v_mul_hi_u32 v13, v4, v5
	v_addc_co_u32_e32 v6, vcc, v6, v16, vcc
	v_addc_co_u32_e32 v7, vcc, 0, v13, vcc
	v_mul_lo_u32 v5, v4, v5
	v_add_co_u32_e32 v5, vcc, v6, v5
	v_addc_co_u32_e32 v6, vcc, 0, v7, vcc
	v_add_co_u32_e32 v3, vcc, v3, v5
	v_addc_co_u32_e32 v4, vcc, v4, v6, vcc
	v_mul_lo_u32 v5, s0, v4
	v_mul_hi_u32 v6, s0, v3
	v_add_u32_e32 v5, v6, v5
	v_mul_lo_u32 v6, s1, v3
	v_add_u32_e32 v5, v5, v6
	v_mul_lo_u32 v7, s0, v3
	v_mul_hi_u32 v12, v4, v7
	v_mul_lo_u32 v13, v4, v7
	v_mul_lo_u32 v17, v3, v5
	v_mul_hi_u32 v7, v3, v7
	v_mul_hi_u32 v16, v3, v5
	v_add_co_u32_e32 v7, vcc, v7, v17
	v_addc_co_u32_e32 v16, vcc, 0, v16, vcc
	v_add_co_u32_e32 v7, vcc, v7, v13
	v_mul_hi_u32 v6, v4, v5
	v_addc_co_u32_e32 v7, vcc, v16, v12, vcc
	v_addc_co_u32_e32 v6, vcc, 0, v6, vcc
	v_mul_lo_u32 v5, v4, v5
	v_add_co_u32_e32 v5, vcc, v7, v5
	v_addc_co_u32_e32 v6, vcc, 0, v6, vcc
	v_add_co_u32_e32 v3, vcc, v3, v5
	v_addc_co_u32_e32 v6, vcc, v4, v6, vcc
	;; [unrolled: 2-line block ×3, first 2 shown]
	v_xor_b32_e32 v13, v4, v22
	v_xor_b32_e32 v12, v5, v22
	v_mad_u64_u32 v[4:5], s[0:1], v13, v6, 0
	v_mul_hi_u32 v7, v13, v3
	v_add_co_u32_e32 v16, vcc, v7, v4
	v_addc_co_u32_e32 v17, vcc, 0, v5, vcc
	v_mad_u64_u32 v[4:5], s[0:1], v12, v6, 0
	v_mad_u64_u32 v[6:7], s[0:1], v12, v3, 0
	v_add_co_u32_e32 v3, vcc, v16, v6
	v_addc_co_u32_e32 v3, vcc, v17, v7, vcc
	v_addc_co_u32_e32 v5, vcc, 0, v5, vcc
	v_add_co_u32_e32 v3, vcc, v3, v4
	v_addc_co_u32_e32 v6, vcc, 0, v5, vcc
	v_mul_lo_u32 v7, s75, v3
	v_mul_lo_u32 v16, s74, v6
	v_mad_u64_u32 v[4:5], s[0:1], s74, v3, 0
	v_add3_u32 v5, v5, v16, v7
	v_sub_u32_e32 v7, v12, v5
	v_mov_b32_e32 v16, s75
	v_sub_co_u32_e32 v4, vcc, v13, v4
	v_subb_co_u32_e64 v7, s[0:1], v7, v16, vcc
	v_subrev_co_u32_e64 v13, s[0:1], s74, v4
	v_subbrev_co_u32_e64 v7, s[0:1], 0, v7, s[0:1]
	v_cmp_le_u32_e64 s[0:1], s75, v7
	v_cndmask_b32_e64 v16, 0, -1, s[0:1]
	v_cmp_le_u32_e64 s[0:1], s74, v13
	v_cndmask_b32_e64 v13, 0, -1, s[0:1]
	v_cmp_eq_u32_e64 s[0:1], s75, v7
	v_cndmask_b32_e64 v7, v16, v13, s[0:1]
	v_add_co_u32_e64 v13, s[0:1], 2, v3
	v_subb_co_u32_e32 v5, vcc, v12, v5, vcc
	v_addc_co_u32_e64 v16, s[0:1], 0, v6, s[0:1]
	v_cmp_le_u32_e32 vcc, s75, v5
	v_add_co_u32_e64 v17, s[0:1], 1, v3
	v_cndmask_b32_e64 v12, 0, -1, vcc
	v_cmp_le_u32_e32 vcc, s74, v4
	v_addc_co_u32_e64 v18, s[0:1], 0, v6, s[0:1]
	v_cndmask_b32_e64 v4, 0, -1, vcc
	v_cmp_eq_u32_e32 vcc, s75, v5
	v_cmp_ne_u32_e64 s[0:1], 0, v7
	v_cndmask_b32_e32 v4, v12, v4, vcc
	v_cmp_ne_u32_e32 vcc, 0, v4
	v_cndmask_b32_e64 v5, v17, v13, s[0:1]
	v_cndmask_b32_e64 v7, v18, v16, s[0:1]
	v_cndmask_b32_e32 v3, v3, v5, vcc
	v_xor_b32_e32 v5, s72, v22
	v_cndmask_b32_e32 v4, v6, v7, vcc
	v_xor_b32_e32 v3, v3, v5
	v_xor_b32_e32 v4, v4, v5
	v_sub_co_u32_e32 v6, vcc, v3, v5
	v_subb_co_u32_e32 v7, vcc, v4, v5, vcc
.LBB31_9:                               ;   in Loop: Header=BB31_3 Depth=1
	s_or_saveexec_b64 s[0:1], s[70:71]
	v_cvt_f32_u32_e32 v34, s34
	s_xor_b64 exec, exec, s[0:1]
	s_cbranch_execz .LBB31_11
; %bb.10:                               ;   in Loop: Header=BB31_3 Depth=1
	v_rcp_iflag_f32_e32 v3, v34
	s_sub_i32 s70, 0, s34
	v_mov_b32_e32 v7, v2
	v_mul_f32_e32 v3, 0x4f7ffffe, v3
	v_cvt_u32_f32_e32 v3, v3
	v_mul_lo_u32 v4, s70, v3
	v_mul_hi_u32 v4, v3, v4
	v_add_u32_e32 v3, v3, v4
	v_mul_hi_u32 v3, v14, v3
	v_mul_lo_u32 v4, v3, s34
	v_sub_u32_e32 v4, v14, v4
	v_add_u32_e32 v5, 1, v3
	v_subrev_u32_e32 v6, s34, v4
	v_cmp_le_u32_e32 vcc, s34, v4
	v_cndmask_b32_e32 v4, v4, v6, vcc
	v_cndmask_b32_e32 v3, v3, v5, vcc
	v_add_u32_e32 v5, 1, v3
	v_cmp_le_u32_e32 vcc, s34, v4
	v_cndmask_b32_e32 v6, v3, v5, vcc
.LBB31_11:                              ;   in Loop: Header=BB31_3 Depth=1
	s_or_b64 exec, exec, s[0:1]
	v_mad_u64_u32 v[4:5], s[0:1], s78, v8, 0
	v_add3_u32 v31, v5, v11, v10
	v_mul_lo_u32 v3, v7, s34
	v_mul_lo_u32 v5, v6, s35
	v_mad_u64_u32 v[10:11], s[0:1], v6, s34, 0
	v_add3_u32 v3, v11, v5, v3
	v_sub_co_u32_e32 v5, vcc, v4, v10
	v_subb_co_u32_e32 v3, vcc, v31, v3, vcc
	v_add_co_u32_e32 v5, vcc, v0, v5
	v_addc_co_u32_e32 v3, vcc, v1, v3, vcc
	v_mul_lo_u32 v3, v3, s14
	v_mul_lo_u32 v12, v5, s15
	v_mad_u64_u32 v[10:11], s[0:1], v5, s14, 0
	v_add3_u32 v11, v11, v12, v3
	v_mul_lo_u32 v3, v7, s12
	v_mul_lo_u32 v5, v6, s13
	v_mad_u64_u32 v[6:7], s[0:1], v6, s12, 0
	v_add3_u32 v7, v7, v5, v3
	v_lshlrev_b64 v[6:7], 1, v[6:7]
	v_mov_b32_e32 v3, s3
	v_add_co_u32_e32 v5, vcc, s2, v6
	v_addc_co_u32_e32 v3, vcc, v3, v7, vcc
	v_lshlrev_b64 v[6:7], 1, v[10:11]
	v_add_co_u32_e32 v6, vcc, v5, v6
	v_addc_co_u32_e32 v7, vcc, v3, v7, vcc
	global_load_ushort v30, v[6:7], off
	v_lshl_add_u32 v9, v9, 1, v9
	v_mad_u64_u32 v[6:7], s[0:1], v8, 3, 1
	v_add_u32_e32 v3, v9, v7
	v_mul_lo_u32 v12, s9, v6
	v_mul_lo_u32 v13, s8, v3
	v_mad_u64_u32 v[16:17], s[0:1], s8, v6, v[0:1]
	v_add3_u32 v17, v12, v17, v13
	v_or_b32_e32 v3, s35, v17
	v_cmp_ne_u64_e32 vcc, 0, v[2:3]
	v_ashrrev_i32_e32 v5, 31, v17
                                        ; implicit-def: $vgpr10_vgpr11
	s_and_saveexec_b64 s[0:1], vcc
	s_xor_b64 s[70:71], exec, s[0:1]
	s_cbranch_execz .LBB31_13
; %bb.12:                               ;   in Loop: Header=BB31_3 Depth=1
	s_ashr_i32 s72, s35, 31
	s_add_u32 s0, s34, s72
	s_mov_b32 s73, s72
	s_addc_u32 s1, s35, s72
	s_xor_b64 s[74:75], s[0:1], s[72:73]
	v_cvt_f32_u32_e32 v3, s74
	v_cvt_f32_u32_e32 v7, s75
	s_sub_u32 s0, 0, s74
	s_subb_u32 s1, 0, s75
	v_mac_f32_e32 v3, 0x4f800000, v7
	v_rcp_f32_e32 v3, v3
	v_mul_f32_e32 v3, 0x5f7ffffc, v3
	v_mul_f32_e32 v7, 0x2f800000, v3
	v_trunc_f32_e32 v7, v7
	v_mac_f32_e32 v3, 0xcf800000, v7
	v_cvt_u32_f32_e32 v7, v7
	v_cvt_u32_f32_e32 v3, v3
	v_mul_lo_u32 v10, s0, v7
	v_mul_hi_u32 v18, s0, v3
	v_mul_lo_u32 v11, s1, v3
	v_add_u32_e32 v10, v18, v10
	v_mul_lo_u32 v19, s0, v3
	v_add_u32_e32 v10, v10, v11
	v_mul_lo_u32 v18, v3, v10
	v_mul_hi_u32 v20, v3, v19
	v_mul_hi_u32 v11, v3, v10
	v_add_co_u32_e32 v18, vcc, v20, v18
	v_addc_co_u32_e32 v11, vcc, 0, v11, vcc
	v_mul_hi_u32 v21, v7, v19
	v_mul_lo_u32 v19, v7, v19
	v_add_co_u32_e32 v18, vcc, v18, v19
	v_mul_hi_u32 v20, v7, v10
	v_addc_co_u32_e32 v11, vcc, v11, v21, vcc
	v_addc_co_u32_e32 v18, vcc, 0, v20, vcc
	v_mul_lo_u32 v10, v7, v10
	v_add_co_u32_e32 v10, vcc, v11, v10
	v_addc_co_u32_e32 v11, vcc, 0, v18, vcc
	v_add_co_u32_e32 v3, vcc, v3, v10
	v_addc_co_u32_e32 v7, vcc, v7, v11, vcc
	v_mul_lo_u32 v10, s0, v7
	v_mul_hi_u32 v11, s0, v3
	v_add_u32_e32 v10, v11, v10
	v_mul_lo_u32 v11, s1, v3
	v_add_u32_e32 v10, v10, v11
	v_mul_lo_u32 v18, s0, v3
	v_mul_hi_u32 v19, v7, v18
	v_mul_lo_u32 v20, v7, v18
	v_mul_lo_u32 v23, v3, v10
	v_mul_hi_u32 v18, v3, v18
	v_mul_hi_u32 v21, v3, v10
	v_add_co_u32_e32 v18, vcc, v18, v23
	v_addc_co_u32_e32 v21, vcc, 0, v21, vcc
	v_add_co_u32_e32 v18, vcc, v18, v20
	v_mul_hi_u32 v11, v7, v10
	v_addc_co_u32_e32 v18, vcc, v21, v19, vcc
	v_addc_co_u32_e32 v11, vcc, 0, v11, vcc
	v_mul_lo_u32 v10, v7, v10
	v_add_co_u32_e32 v10, vcc, v18, v10
	v_addc_co_u32_e32 v11, vcc, 0, v11, vcc
	v_add_co_u32_e32 v3, vcc, v3, v10
	v_addc_co_u32_e32 v7, vcc, v7, v11, vcc
	;; [unrolled: 2-line block ×3, first 2 shown]
	v_xor_b32_e32 v21, v10, v5
	v_xor_b32_e32 v20, v11, v5
	v_mad_u64_u32 v[10:11], s[0:1], v21, v7, 0
	v_mul_hi_u32 v18, v21, v3
	v_add_co_u32_e32 v23, vcc, v18, v10
	v_addc_co_u32_e32 v32, vcc, 0, v11, vcc
	v_mad_u64_u32 v[18:19], s[0:1], v20, v3, 0
	v_add_co_u32_e32 v3, vcc, v23, v18
	v_mad_u64_u32 v[10:11], s[0:1], v20, v7, 0
	v_addc_co_u32_e32 v3, vcc, v32, v19, vcc
	v_addc_co_u32_e32 v7, vcc, 0, v11, vcc
	v_add_co_u32_e32 v3, vcc, v3, v10
	v_addc_co_u32_e32 v7, vcc, 0, v7, vcc
	v_mul_lo_u32 v18, s75, v3
	v_mul_lo_u32 v19, s74, v7
	v_mad_u64_u32 v[10:11], s[0:1], s74, v3, 0
	v_add3_u32 v11, v11, v19, v18
	v_sub_u32_e32 v18, v20, v11
	v_mov_b32_e32 v19, s75
	v_sub_co_u32_e32 v10, vcc, v21, v10
	v_subb_co_u32_e64 v18, s[0:1], v18, v19, vcc
	v_subrev_co_u32_e64 v19, s[0:1], s74, v10
	v_subbrev_co_u32_e64 v18, s[0:1], 0, v18, s[0:1]
	v_cmp_le_u32_e64 s[0:1], s75, v18
	v_cndmask_b32_e64 v21, 0, -1, s[0:1]
	v_cmp_le_u32_e64 s[0:1], s74, v19
	v_cndmask_b32_e64 v19, 0, -1, s[0:1]
	v_cmp_eq_u32_e64 s[0:1], s75, v18
	v_cndmask_b32_e64 v18, v21, v19, s[0:1]
	v_add_co_u32_e64 v19, s[0:1], 2, v3
	v_subb_co_u32_e32 v11, vcc, v20, v11, vcc
	v_addc_co_u32_e64 v21, s[0:1], 0, v7, s[0:1]
	v_cmp_le_u32_e32 vcc, s75, v11
	v_add_co_u32_e64 v23, s[0:1], 1, v3
	v_cndmask_b32_e64 v20, 0, -1, vcc
	v_cmp_le_u32_e32 vcc, s74, v10
	v_addc_co_u32_e64 v32, s[0:1], 0, v7, s[0:1]
	v_cndmask_b32_e64 v10, 0, -1, vcc
	v_cmp_eq_u32_e32 vcc, s75, v11
	v_cmp_ne_u32_e64 s[0:1], 0, v18
	v_cndmask_b32_e32 v10, v20, v10, vcc
	v_cmp_ne_u32_e32 vcc, 0, v10
	v_cndmask_b32_e64 v10, v23, v19, s[0:1]
	v_cndmask_b32_e64 v18, v32, v21, s[0:1]
	v_cndmask_b32_e32 v3, v3, v10, vcc
	v_xor_b32_e32 v11, s72, v5
	v_cndmask_b32_e32 v7, v7, v18, vcc
	v_xor_b32_e32 v3, v3, v11
	v_xor_b32_e32 v7, v7, v11
	v_sub_co_u32_e32 v10, vcc, v3, v11
	v_subb_co_u32_e32 v11, vcc, v7, v11, vcc
.LBB31_13:                              ;   in Loop: Header=BB31_3 Depth=1
	s_andn2_saveexec_b64 s[0:1], s[70:71]
	s_cbranch_execz .LBB31_15
; %bb.14:                               ;   in Loop: Header=BB31_3 Depth=1
	v_rcp_iflag_f32_e32 v3, v34
	s_sub_i32 s70, 0, s34
	v_mul_f32_e32 v3, 0x4f7ffffe, v3
	v_cvt_u32_f32_e32 v3, v3
	v_mul_lo_u32 v7, s70, v3
	v_mul_hi_u32 v7, v3, v7
	v_add_u32_e32 v3, v3, v7
	v_mul_hi_u32 v3, v16, v3
	v_mul_lo_u32 v7, v3, s34
	v_sub_u32_e32 v7, v16, v7
	v_add_u32_e32 v10, 1, v3
	v_subrev_u32_e32 v11, s34, v7
	v_cmp_le_u32_e32 vcc, s34, v7
	v_cndmask_b32_e32 v7, v7, v11, vcc
	v_cndmask_b32_e32 v3, v3, v10, vcc
	v_add_u32_e32 v10, 1, v3
	v_cmp_le_u32_e32 vcc, s34, v7
	v_cndmask_b32_e32 v10, v3, v10, vcc
	v_mov_b32_e32 v11, v2
.LBB31_15:                              ;   in Loop: Header=BB31_3 Depth=1
	s_or_b64 exec, exec, s[0:1]
	v_mad_u64_u32 v[6:7], s[0:1], s8, v6, 0
	v_add3_u32 v32, v7, v13, v12
	v_mul_lo_u32 v3, v11, s34
	v_mul_lo_u32 v7, v10, s35
	v_mad_u64_u32 v[12:13], s[0:1], v10, s34, 0
	v_add3_u32 v3, v13, v7, v3
	v_sub_co_u32_e32 v7, vcc, v6, v12
	v_subb_co_u32_e32 v3, vcc, v32, v3, vcc
	v_add_co_u32_e32 v7, vcc, v0, v7
	v_addc_co_u32_e32 v3, vcc, v1, v3, vcc
	v_mul_lo_u32 v3, v3, s14
	v_mul_lo_u32 v18, v7, s15
	v_mad_u64_u32 v[12:13], s[0:1], v7, s14, 0
	v_add3_u32 v13, v13, v18, v3
	v_mul_lo_u32 v3, v11, s12
	v_mul_lo_u32 v7, v10, s13
	v_mad_u64_u32 v[10:11], s[0:1], v10, s12, 0
	v_add3_u32 v11, v11, v7, v3
	v_lshlrev_b64 v[10:11], 1, v[10:11]
	v_mov_b32_e32 v3, s3
	v_add_co_u32_e32 v7, vcc, s2, v10
	v_addc_co_u32_e32 v3, vcc, v3, v11, vcc
	v_lshlrev_b64 v[10:11], 1, v[12:13]
	v_add_co_u32_e32 v10, vcc, v7, v10
	v_addc_co_u32_e32 v11, vcc, v3, v11, vcc
	global_load_ushort v7, v[10:11], off
	v_mad_u64_u32 v[10:11], s[0:1], v8, 3, 0
	v_add_u32_e32 v11, v11, v9
	v_add_co_u32_e32 v8, vcc, 2, v10
	v_addc_co_u32_e32 v3, vcc, 0, v11, vcc
	v_mul_lo_u32 v20, s9, v8
	v_mul_lo_u32 v21, s8, v3
	v_mad_u64_u32 v[18:19], s[0:1], s8, v8, v[0:1]
	v_add3_u32 v19, v20, v19, v21
	v_or_b32_e32 v3, s35, v19
	v_cmp_ne_u64_e32 vcc, 0, v[2:3]
	v_ashrrev_i32_e32 v23, 31, v19
                                        ; implicit-def: $vgpr12_vgpr13
	s_and_saveexec_b64 s[0:1], vcc
	s_xor_b64 s[70:71], exec, s[0:1]
	s_cbranch_execz .LBB31_17
; %bb.16:                               ;   in Loop: Header=BB31_3 Depth=1
	s_ashr_i32 s72, s35, 31
	s_add_u32 s0, s34, s72
	s_mov_b32 s73, s72
	s_addc_u32 s1, s35, s72
	s_xor_b64 s[74:75], s[0:1], s[72:73]
	v_cvt_f32_u32_e32 v3, s74
	v_cvt_f32_u32_e32 v9, s75
	s_sub_u32 s0, 0, s74
	s_subb_u32 s1, 0, s75
	v_mac_f32_e32 v3, 0x4f800000, v9
	v_rcp_f32_e32 v3, v3
	v_mul_f32_e32 v3, 0x5f7ffffc, v3
	v_mul_f32_e32 v9, 0x2f800000, v3
	v_trunc_f32_e32 v9, v9
	v_mac_f32_e32 v3, 0xcf800000, v9
	v_cvt_u32_f32_e32 v9, v9
	v_cvt_u32_f32_e32 v3, v3
	v_mul_lo_u32 v12, s0, v9
	v_mul_hi_u32 v33, s0, v3
	v_mul_lo_u32 v13, s1, v3
	v_add_u32_e32 v12, v33, v12
	v_mul_lo_u32 v35, s0, v3
	v_add_u32_e32 v12, v12, v13
	v_mul_lo_u32 v33, v3, v12
	v_mul_hi_u32 v36, v3, v35
	v_mul_hi_u32 v13, v3, v12
	v_add_co_u32_e32 v33, vcc, v36, v33
	v_addc_co_u32_e32 v13, vcc, 0, v13, vcc
	v_mul_hi_u32 v37, v9, v35
	v_mul_lo_u32 v35, v9, v35
	v_add_co_u32_e32 v33, vcc, v33, v35
	v_mul_hi_u32 v36, v9, v12
	v_addc_co_u32_e32 v13, vcc, v13, v37, vcc
	v_addc_co_u32_e32 v33, vcc, 0, v36, vcc
	v_mul_lo_u32 v12, v9, v12
	v_add_co_u32_e32 v12, vcc, v13, v12
	v_addc_co_u32_e32 v13, vcc, 0, v33, vcc
	v_add_co_u32_e32 v3, vcc, v3, v12
	v_addc_co_u32_e32 v9, vcc, v9, v13, vcc
	v_mul_lo_u32 v12, s0, v9
	v_mul_hi_u32 v13, s0, v3
	v_add_u32_e32 v12, v13, v12
	v_mul_lo_u32 v13, s1, v3
	v_add_u32_e32 v12, v12, v13
	v_mul_lo_u32 v33, s0, v3
	v_mul_hi_u32 v35, v9, v33
	v_mul_lo_u32 v36, v9, v33
	v_mul_lo_u32 v38, v3, v12
	v_mul_hi_u32 v33, v3, v33
	v_mul_hi_u32 v37, v3, v12
	v_add_co_u32_e32 v33, vcc, v33, v38
	v_addc_co_u32_e32 v37, vcc, 0, v37, vcc
	v_add_co_u32_e32 v33, vcc, v33, v36
	v_mul_hi_u32 v13, v9, v12
	v_addc_co_u32_e32 v33, vcc, v37, v35, vcc
	v_addc_co_u32_e32 v13, vcc, 0, v13, vcc
	v_mul_lo_u32 v12, v9, v12
	v_add_co_u32_e32 v12, vcc, v33, v12
	v_addc_co_u32_e32 v13, vcc, 0, v13, vcc
	v_add_co_u32_e32 v3, vcc, v3, v12
	v_addc_co_u32_e32 v9, vcc, v9, v13, vcc
	;; [unrolled: 2-line block ×3, first 2 shown]
	v_xor_b32_e32 v35, v12, v23
	v_xor_b32_e32 v33, v13, v23
	v_mad_u64_u32 v[12:13], s[0:1], v35, v9, 0
	v_mul_hi_u32 v36, v35, v3
	v_add_co_u32_e32 v38, vcc, v36, v12
	v_addc_co_u32_e32 v39, vcc, 0, v13, vcc
	v_mad_u64_u32 v[36:37], s[0:1], v33, v3, 0
	v_add_co_u32_e32 v3, vcc, v38, v36
	v_mad_u64_u32 v[12:13], s[0:1], v33, v9, 0
	v_addc_co_u32_e32 v3, vcc, v39, v37, vcc
	v_addc_co_u32_e32 v9, vcc, 0, v13, vcc
	v_add_co_u32_e32 v3, vcc, v3, v12
	v_addc_co_u32_e32 v9, vcc, 0, v9, vcc
	v_mul_lo_u32 v36, s75, v3
	v_mul_lo_u32 v37, s74, v9
	v_mad_u64_u32 v[12:13], s[0:1], s74, v3, 0
	v_add3_u32 v13, v13, v37, v36
	v_sub_u32_e32 v36, v33, v13
	v_mov_b32_e32 v37, s75
	v_sub_co_u32_e32 v12, vcc, v35, v12
	v_subb_co_u32_e64 v35, s[0:1], v36, v37, vcc
	v_subrev_co_u32_e64 v36, s[0:1], s74, v12
	v_subbrev_co_u32_e64 v35, s[0:1], 0, v35, s[0:1]
	v_cmp_le_u32_e64 s[0:1], s75, v35
	v_cndmask_b32_e64 v37, 0, -1, s[0:1]
	v_cmp_le_u32_e64 s[0:1], s74, v36
	v_cndmask_b32_e64 v36, 0, -1, s[0:1]
	v_cmp_eq_u32_e64 s[0:1], s75, v35
	v_cndmask_b32_e64 v35, v37, v36, s[0:1]
	v_add_co_u32_e64 v36, s[0:1], 2, v3
	v_subb_co_u32_e32 v13, vcc, v33, v13, vcc
	v_addc_co_u32_e64 v37, s[0:1], 0, v9, s[0:1]
	v_cmp_le_u32_e32 vcc, s75, v13
	v_add_co_u32_e64 v38, s[0:1], 1, v3
	v_cndmask_b32_e64 v33, 0, -1, vcc
	v_cmp_le_u32_e32 vcc, s74, v12
	v_addc_co_u32_e64 v39, s[0:1], 0, v9, s[0:1]
	v_cndmask_b32_e64 v12, 0, -1, vcc
	v_cmp_eq_u32_e32 vcc, s75, v13
	v_cmp_ne_u32_e64 s[0:1], 0, v35
	v_cndmask_b32_e32 v12, v33, v12, vcc
	v_cmp_ne_u32_e32 vcc, 0, v12
	v_cndmask_b32_e64 v12, v38, v36, s[0:1]
	v_cndmask_b32_e64 v35, v39, v37, s[0:1]
	v_cndmask_b32_e32 v3, v3, v12, vcc
	v_xor_b32_e32 v13, s72, v23
	v_cndmask_b32_e32 v9, v9, v35, vcc
	v_xor_b32_e32 v3, v3, v13
	v_xor_b32_e32 v9, v9, v13
	v_sub_co_u32_e32 v12, vcc, v3, v13
	v_subb_co_u32_e32 v13, vcc, v9, v13, vcc
.LBB31_17:                              ;   in Loop: Header=BB31_3 Depth=1
	s_andn2_saveexec_b64 s[0:1], s[70:71]
	s_cbranch_execz .LBB31_19
; %bb.18:                               ;   in Loop: Header=BB31_3 Depth=1
	v_rcp_iflag_f32_e32 v3, v34
	s_sub_i32 s70, 0, s34
	v_mul_f32_e32 v3, 0x4f7ffffe, v3
	v_cvt_u32_f32_e32 v3, v3
	v_mul_lo_u32 v9, s70, v3
	v_mul_hi_u32 v9, v3, v9
	v_add_u32_e32 v3, v3, v9
	v_mul_hi_u32 v3, v18, v3
	v_mul_lo_u32 v9, v3, s34
	v_sub_u32_e32 v9, v18, v9
	v_add_u32_e32 v12, 1, v3
	v_subrev_u32_e32 v13, s34, v9
	v_cmp_le_u32_e32 vcc, s34, v9
	v_cndmask_b32_e32 v9, v9, v13, vcc
	v_cndmask_b32_e32 v3, v3, v12, vcc
	v_add_u32_e32 v12, 1, v3
	v_cmp_le_u32_e32 vcc, s34, v9
	v_cndmask_b32_e32 v12, v3, v12, vcc
	v_mov_b32_e32 v13, v2
.LBB31_19:                              ;   in Loop: Header=BB31_3 Depth=1
	s_or_b64 exec, exec, s[0:1]
	v_mad_u64_u32 v[8:9], s[0:1], s8, v8, 0
	v_add3_u32 v33, v9, v21, v20
	v_mul_lo_u32 v3, v13, s34
	v_mul_lo_u32 v9, v12, s35
	v_mad_u64_u32 v[20:21], s[0:1], v12, s34, 0
	v_add3_u32 v3, v21, v9, v3
	v_sub_co_u32_e32 v9, vcc, v8, v20
	v_subb_co_u32_e32 v3, vcc, v33, v3, vcc
	v_add_co_u32_e32 v9, vcc, v0, v9
	v_addc_co_u32_e32 v3, vcc, v1, v3, vcc
	v_mul_lo_u32 v3, v3, s14
	v_mul_lo_u32 v35, v9, s15
	v_mad_u64_u32 v[20:21], s[0:1], v9, s14, 0
	v_add3_u32 v21, v21, v35, v3
	v_mul_lo_u32 v3, v13, s12
	v_mul_lo_u32 v9, v12, s13
	v_mad_u64_u32 v[12:13], s[0:1], v12, s12, 0
	v_add3_u32 v13, v13, v9, v3
	v_lshlrev_b64 v[12:13], 1, v[12:13]
	v_mov_b32_e32 v3, s3
	v_add_co_u32_e32 v9, vcc, s2, v12
	v_addc_co_u32_e32 v3, vcc, v3, v13, vcc
	v_lshlrev_b64 v[12:13], 1, v[20:21]
	v_add_co_u32_e32 v12, vcc, v9, v12
	v_addc_co_u32_e32 v13, vcc, v3, v13, vcc
	global_load_ushort v9, v[12:13], off
	v_add_co_u32_e32 v10, vcc, 3, v10
	v_addc_co_u32_e32 v3, vcc, 0, v11, vcc
	v_mul_lo_u32 v36, s9, v10
	v_mul_lo_u32 v37, s8, v3
	v_mad_u64_u32 v[20:21], s[0:1], s8, v10, v[0:1]
	v_add3_u32 v21, v36, v21, v37
	v_or_b32_e32 v3, s35, v21
	v_cmp_ne_u64_e32 vcc, 0, v[2:3]
	v_ashrrev_i32_e32 v35, 31, v21
                                        ; implicit-def: $vgpr12_vgpr13
	s_and_saveexec_b64 s[0:1], vcc
	s_xor_b64 s[70:71], exec, s[0:1]
	s_cbranch_execz .LBB31_21
; %bb.20:                               ;   in Loop: Header=BB31_3 Depth=1
	s_ashr_i32 s72, s35, 31
	s_add_u32 s0, s34, s72
	s_mov_b32 s73, s72
	s_addc_u32 s1, s35, s72
	s_xor_b64 s[74:75], s[0:1], s[72:73]
	v_cvt_f32_u32_e32 v3, s74
	v_cvt_f32_u32_e32 v11, s75
	s_sub_u32 s0, 0, s74
	s_subb_u32 s1, 0, s75
	v_mac_f32_e32 v3, 0x4f800000, v11
	v_rcp_f32_e32 v3, v3
	v_mul_f32_e32 v3, 0x5f7ffffc, v3
	v_mul_f32_e32 v11, 0x2f800000, v3
	v_trunc_f32_e32 v11, v11
	v_mac_f32_e32 v3, 0xcf800000, v11
	v_cvt_u32_f32_e32 v11, v11
	v_cvt_u32_f32_e32 v3, v3
	v_mul_lo_u32 v12, s0, v11
	v_mul_hi_u32 v34, s0, v3
	v_mul_lo_u32 v13, s1, v3
	v_add_u32_e32 v12, v34, v12
	v_mul_lo_u32 v38, s0, v3
	v_add_u32_e32 v12, v12, v13
	v_mul_lo_u32 v34, v3, v12
	v_mul_hi_u32 v39, v3, v38
	v_mul_hi_u32 v13, v3, v12
	v_add_co_u32_e32 v34, vcc, v39, v34
	v_addc_co_u32_e32 v13, vcc, 0, v13, vcc
	v_mul_hi_u32 v40, v11, v38
	v_mul_lo_u32 v38, v11, v38
	v_add_co_u32_e32 v34, vcc, v34, v38
	v_mul_hi_u32 v39, v11, v12
	v_addc_co_u32_e32 v13, vcc, v13, v40, vcc
	v_addc_co_u32_e32 v34, vcc, 0, v39, vcc
	v_mul_lo_u32 v12, v11, v12
	v_add_co_u32_e32 v12, vcc, v13, v12
	v_addc_co_u32_e32 v13, vcc, 0, v34, vcc
	v_add_co_u32_e32 v3, vcc, v3, v12
	v_addc_co_u32_e32 v11, vcc, v11, v13, vcc
	v_mul_lo_u32 v12, s0, v11
	v_mul_hi_u32 v13, s0, v3
	v_add_u32_e32 v12, v13, v12
	v_mul_lo_u32 v13, s1, v3
	v_add_u32_e32 v12, v12, v13
	v_mul_lo_u32 v34, s0, v3
	v_mul_hi_u32 v38, v11, v34
	v_mul_lo_u32 v39, v11, v34
	v_mul_lo_u32 v41, v3, v12
	v_mul_hi_u32 v34, v3, v34
	v_mul_hi_u32 v40, v3, v12
	v_add_co_u32_e32 v34, vcc, v34, v41
	v_addc_co_u32_e32 v40, vcc, 0, v40, vcc
	v_add_co_u32_e32 v34, vcc, v34, v39
	v_mul_hi_u32 v13, v11, v12
	v_addc_co_u32_e32 v34, vcc, v40, v38, vcc
	v_addc_co_u32_e32 v13, vcc, 0, v13, vcc
	v_mul_lo_u32 v12, v11, v12
	v_add_co_u32_e32 v12, vcc, v34, v12
	v_addc_co_u32_e32 v13, vcc, 0, v13, vcc
	v_add_co_u32_e32 v3, vcc, v3, v12
	v_addc_co_u32_e32 v11, vcc, v11, v13, vcc
	;; [unrolled: 2-line block ×3, first 2 shown]
	v_xor_b32_e32 v40, v12, v35
	v_xor_b32_e32 v34, v13, v35
	v_mad_u64_u32 v[12:13], s[0:1], v40, v11, 0
	v_mul_hi_u32 v38, v40, v3
	v_add_co_u32_e32 v41, vcc, v38, v12
	v_addc_co_u32_e32 v42, vcc, 0, v13, vcc
	v_mad_u64_u32 v[38:39], s[0:1], v34, v3, 0
	v_add_co_u32_e32 v3, vcc, v41, v38
	v_mad_u64_u32 v[12:13], s[0:1], v34, v11, 0
	v_addc_co_u32_e32 v3, vcc, v42, v39, vcc
	v_addc_co_u32_e32 v11, vcc, 0, v13, vcc
	v_add_co_u32_e32 v3, vcc, v3, v12
	v_addc_co_u32_e32 v11, vcc, 0, v11, vcc
	v_mul_lo_u32 v38, s75, v3
	v_mul_lo_u32 v39, s74, v11
	v_mad_u64_u32 v[12:13], s[0:1], s74, v3, 0
	v_add3_u32 v13, v13, v39, v38
	v_sub_u32_e32 v38, v34, v13
	v_mov_b32_e32 v39, s75
	v_sub_co_u32_e32 v12, vcc, v40, v12
	v_subb_co_u32_e64 v38, s[0:1], v38, v39, vcc
	v_subrev_co_u32_e64 v39, s[0:1], s74, v12
	v_subbrev_co_u32_e64 v38, s[0:1], 0, v38, s[0:1]
	v_cmp_le_u32_e64 s[0:1], s75, v38
	v_cndmask_b32_e64 v40, 0, -1, s[0:1]
	v_cmp_le_u32_e64 s[0:1], s74, v39
	v_cndmask_b32_e64 v39, 0, -1, s[0:1]
	v_cmp_eq_u32_e64 s[0:1], s75, v38
	v_cndmask_b32_e64 v38, v40, v39, s[0:1]
	v_add_co_u32_e64 v39, s[0:1], 2, v3
	v_subb_co_u32_e32 v13, vcc, v34, v13, vcc
	v_addc_co_u32_e64 v40, s[0:1], 0, v11, s[0:1]
	v_cmp_le_u32_e32 vcc, s75, v13
	v_add_co_u32_e64 v41, s[0:1], 1, v3
	v_cndmask_b32_e64 v34, 0, -1, vcc
	v_cmp_le_u32_e32 vcc, s74, v12
	v_addc_co_u32_e64 v42, s[0:1], 0, v11, s[0:1]
	v_cndmask_b32_e64 v12, 0, -1, vcc
	v_cmp_eq_u32_e32 vcc, s75, v13
	v_cmp_ne_u32_e64 s[0:1], 0, v38
	v_cndmask_b32_e32 v12, v34, v12, vcc
	v_cmp_ne_u32_e32 vcc, 0, v12
	v_cndmask_b32_e64 v12, v41, v39, s[0:1]
	v_cndmask_b32_e64 v38, v42, v40, s[0:1]
	v_cndmask_b32_e32 v3, v3, v12, vcc
	v_xor_b32_e32 v13, s72, v35
	v_cndmask_b32_e32 v11, v11, v38, vcc
	v_xor_b32_e32 v3, v3, v13
	v_xor_b32_e32 v11, v11, v13
	v_sub_co_u32_e32 v12, vcc, v3, v13
	v_subb_co_u32_e32 v13, vcc, v11, v13, vcc
                                        ; implicit-def: $vgpr34
.LBB31_21:                              ;   in Loop: Header=BB31_3 Depth=1
	s_andn2_saveexec_b64 s[0:1], s[70:71]
	s_cbranch_execz .LBB31_23
; %bb.22:                               ;   in Loop: Header=BB31_3 Depth=1
	v_rcp_iflag_f32_e32 v3, v34
	s_sub_i32 s70, 0, s34
	v_mul_f32_e32 v3, 0x4f7ffffe, v3
	v_cvt_u32_f32_e32 v3, v3
	v_mul_lo_u32 v11, s70, v3
	v_mul_hi_u32 v11, v3, v11
	v_add_u32_e32 v3, v3, v11
	v_mul_hi_u32 v3, v20, v3
	v_mul_lo_u32 v11, v3, s34
	v_sub_u32_e32 v11, v20, v11
	v_add_u32_e32 v12, 1, v3
	v_subrev_u32_e32 v13, s34, v11
	v_cmp_le_u32_e32 vcc, s34, v11
	v_cndmask_b32_e32 v11, v11, v13, vcc
	v_cndmask_b32_e32 v3, v3, v12, vcc
	v_add_u32_e32 v12, 1, v3
	v_cmp_le_u32_e32 vcc, s34, v11
	v_cndmask_b32_e32 v12, v3, v12, vcc
	v_mov_b32_e32 v13, v2
.LBB31_23:                              ;   in Loop: Header=BB31_3 Depth=1
	s_or_b64 exec, exec, s[0:1]
	v_mad_u64_u32 v[10:11], s[0:1], s8, v10, 0
	v_add3_u32 v11, v11, v37, v36
	v_mul_lo_u32 v3, v13, s34
	v_mul_lo_u32 v34, v12, s35
	v_mad_u64_u32 v[36:37], s[0:1], v12, s34, 0
	v_add3_u32 v3, v37, v34, v3
	v_sub_co_u32_e32 v34, vcc, v10, v36
	v_subb_co_u32_e32 v3, vcc, v11, v3, vcc
	v_add_co_u32_e32 v34, vcc, v0, v34
	v_addc_co_u32_e32 v3, vcc, v1, v3, vcc
	v_mul_lo_u32 v3, v3, s14
	v_mul_lo_u32 v38, v34, s15
	v_mad_u64_u32 v[36:37], s[0:1], v34, s14, 0
	v_add3_u32 v37, v37, v38, v3
	v_mul_lo_u32 v3, v13, s12
	v_mul_lo_u32 v34, v12, s13
	v_mad_u64_u32 v[12:13], s[0:1], v12, s12, 0
	v_add3_u32 v13, v13, v34, v3
	v_lshlrev_b64 v[12:13], 1, v[12:13]
	v_mov_b32_e32 v3, s3
	v_add_co_u32_e32 v34, vcc, s2, v12
	v_addc_co_u32_e32 v3, vcc, v3, v13, vcc
	v_lshlrev_b64 v[12:13], 1, v[36:37]
	v_add_co_u32_e32 v12, vcc, v34, v12
	v_addc_co_u32_e32 v13, vcc, v3, v13, vcc
	global_load_ushort v34, v[12:13], off
	s_waitcnt lgkmcnt(0)
	v_or_b32_e32 v3, s67, v15
	v_cmp_ne_u64_e32 vcc, 0, v[2:3]
                                        ; implicit-def: $vgpr12_vgpr13
	s_and_saveexec_b64 s[0:1], vcc
	s_xor_b64 s[70:71], exec, s[0:1]
	s_cbranch_execz .LBB31_25
; %bb.24:                               ;   in Loop: Header=BB31_3 Depth=1
	s_ashr_i32 s72, s67, 31
	s_add_u32 s0, s66, s72
	s_mov_b32 s73, s72
	s_addc_u32 s1, s67, s72
	s_xor_b64 s[74:75], s[0:1], s[72:73]
	v_cvt_f32_u32_e32 v3, s74
	v_cvt_f32_u32_e32 v12, s75
	s_sub_u32 s0, 0, s74
	s_subb_u32 s1, 0, s75
	v_mac_f32_e32 v3, 0x4f800000, v12
	v_rcp_f32_e32 v3, v3
	v_mul_f32_e32 v3, 0x5f7ffffc, v3
	v_mul_f32_e32 v12, 0x2f800000, v3
	v_trunc_f32_e32 v12, v12
	v_mac_f32_e32 v3, 0xcf800000, v12
	v_cvt_u32_f32_e32 v12, v12
	v_cvt_u32_f32_e32 v3, v3
	v_mul_lo_u32 v13, s0, v12
	v_mul_hi_u32 v37, s0, v3
	v_mul_lo_u32 v36, s1, v3
	v_add_u32_e32 v13, v37, v13
	v_mul_lo_u32 v38, s0, v3
	v_add_u32_e32 v13, v13, v36
	v_mul_lo_u32 v37, v3, v13
	v_mul_hi_u32 v39, v3, v38
	v_mul_hi_u32 v36, v3, v13
	v_add_co_u32_e32 v37, vcc, v39, v37
	v_addc_co_u32_e32 v36, vcc, 0, v36, vcc
	v_mul_hi_u32 v40, v12, v38
	v_mul_lo_u32 v38, v12, v38
	v_add_co_u32_e32 v37, vcc, v37, v38
	v_mul_hi_u32 v39, v12, v13
	v_addc_co_u32_e32 v36, vcc, v36, v40, vcc
	v_addc_co_u32_e32 v37, vcc, 0, v39, vcc
	v_mul_lo_u32 v13, v12, v13
	v_add_co_u32_e32 v13, vcc, v36, v13
	v_addc_co_u32_e32 v36, vcc, 0, v37, vcc
	v_add_co_u32_e32 v3, vcc, v3, v13
	v_addc_co_u32_e32 v12, vcc, v12, v36, vcc
	v_mul_lo_u32 v13, s0, v12
	v_mul_hi_u32 v36, s0, v3
	v_add_u32_e32 v13, v36, v13
	v_mul_lo_u32 v36, s1, v3
	v_add_u32_e32 v13, v13, v36
	v_mul_lo_u32 v37, s0, v3
	v_mul_hi_u32 v38, v12, v37
	v_mul_lo_u32 v39, v12, v37
	v_mul_lo_u32 v41, v3, v13
	v_mul_hi_u32 v37, v3, v37
	v_mul_hi_u32 v40, v3, v13
	v_add_co_u32_e32 v37, vcc, v37, v41
	v_addc_co_u32_e32 v40, vcc, 0, v40, vcc
	v_add_co_u32_e32 v37, vcc, v37, v39
	v_mul_hi_u32 v36, v12, v13
	v_addc_co_u32_e32 v37, vcc, v40, v38, vcc
	v_addc_co_u32_e32 v36, vcc, 0, v36, vcc
	v_mul_lo_u32 v13, v12, v13
	v_add_co_u32_e32 v13, vcc, v37, v13
	v_addc_co_u32_e32 v36, vcc, 0, v36, vcc
	v_add_co_u32_e32 v3, vcc, v3, v13
	v_addc_co_u32_e32 v36, vcc, v12, v36, vcc
	;; [unrolled: 2-line block ×3, first 2 shown]
	v_xor_b32_e32 v38, v12, v22
	v_xor_b32_e32 v37, v13, v22
	v_mad_u64_u32 v[12:13], s[0:1], v38, v36, 0
	v_mul_hi_u32 v14, v38, v3
	v_add_co_u32_e32 v39, vcc, v14, v12
	v_addc_co_u32_e32 v40, vcc, 0, v13, vcc
	v_mad_u64_u32 v[14:15], s[0:1], v37, v3, 0
	v_add_co_u32_e32 v3, vcc, v39, v14
	v_mad_u64_u32 v[12:13], s[0:1], v37, v36, 0
	v_addc_co_u32_e32 v3, vcc, v40, v15, vcc
	v_addc_co_u32_e32 v13, vcc, 0, v13, vcc
	v_add_co_u32_e32 v3, vcc, v3, v12
	v_addc_co_u32_e32 v14, vcc, 0, v13, vcc
	v_mul_lo_u32 v15, s75, v3
	v_mul_lo_u32 v36, s74, v14
	v_mad_u64_u32 v[12:13], s[0:1], s74, v3, 0
	v_add3_u32 v13, v13, v36, v15
	v_sub_u32_e32 v15, v37, v13
	v_mov_b32_e32 v36, s75
	v_sub_co_u32_e32 v12, vcc, v38, v12
	v_subb_co_u32_e64 v15, s[0:1], v15, v36, vcc
	v_subrev_co_u32_e64 v36, s[0:1], s74, v12
	v_subbrev_co_u32_e64 v15, s[0:1], 0, v15, s[0:1]
	v_cmp_le_u32_e64 s[0:1], s75, v15
	v_cndmask_b32_e64 v38, 0, -1, s[0:1]
	v_cmp_le_u32_e64 s[0:1], s74, v36
	v_cndmask_b32_e64 v36, 0, -1, s[0:1]
	v_cmp_eq_u32_e64 s[0:1], s75, v15
	v_cndmask_b32_e64 v15, v38, v36, s[0:1]
	v_add_co_u32_e64 v36, s[0:1], 2, v3
	v_subb_co_u32_e32 v13, vcc, v37, v13, vcc
	v_addc_co_u32_e64 v38, s[0:1], 0, v14, s[0:1]
	v_cmp_le_u32_e32 vcc, s75, v13
	v_add_co_u32_e64 v39, s[0:1], 1, v3
	v_cndmask_b32_e64 v37, 0, -1, vcc
	v_cmp_le_u32_e32 vcc, s74, v12
	v_addc_co_u32_e64 v40, s[0:1], 0, v14, s[0:1]
	v_cndmask_b32_e64 v12, 0, -1, vcc
	v_cmp_eq_u32_e32 vcc, s75, v13
	v_cmp_ne_u32_e64 s[0:1], 0, v15
	v_cndmask_b32_e32 v12, v37, v12, vcc
	v_cmp_ne_u32_e32 vcc, 0, v12
	v_cndmask_b32_e64 v13, v39, v36, s[0:1]
	v_cndmask_b32_e64 v15, v40, v38, s[0:1]
	v_cndmask_b32_e32 v3, v3, v13, vcc
	v_xor_b32_e32 v13, s72, v22
	v_cndmask_b32_e32 v12, v14, v15, vcc
	v_xor_b32_e32 v3, v3, v13
	v_xor_b32_e32 v14, v12, v13
	v_sub_co_u32_e32 v12, vcc, v3, v13
	v_subb_co_u32_e32 v13, vcc, v14, v13, vcc
                                        ; implicit-def: $vgpr14_vgpr15
.LBB31_25:                              ;   in Loop: Header=BB31_3 Depth=1
	s_or_saveexec_b64 s[0:1], s[70:71]
	v_cvt_f32_u32_e32 v22, s66
	s_xor_b64 exec, exec, s[0:1]
	s_cbranch_execz .LBB31_27
; %bb.26:                               ;   in Loop: Header=BB31_3 Depth=1
	v_rcp_iflag_f32_e32 v3, v22
	s_sub_i32 s70, 0, s66
	v_mul_f32_e32 v3, 0x4f7ffffe, v3
	v_cvt_u32_f32_e32 v3, v3
	v_mul_lo_u32 v12, s70, v3
	v_mul_hi_u32 v12, v3, v12
	v_add_u32_e32 v3, v3, v12
	v_mul_hi_u32 v3, v14, v3
	v_mul_lo_u32 v12, v3, s66
	v_sub_u32_e32 v12, v14, v12
	v_add_u32_e32 v13, 1, v3
	v_subrev_u32_e32 v14, s66, v12
	v_cmp_le_u32_e32 vcc, s66, v12
	v_cndmask_b32_e32 v12, v12, v14, vcc
	v_cndmask_b32_e32 v3, v3, v13, vcc
	v_add_u32_e32 v13, 1, v3
	v_cmp_le_u32_e32 vcc, s66, v12
	v_cndmask_b32_e32 v12, v3, v13, vcc
	v_mov_b32_e32 v13, v2
.LBB31_27:                              ;   in Loop: Header=BB31_3 Depth=1
	s_or_b64 exec, exec, s[0:1]
	v_or_b32_e32 v3, s67, v17
	v_cmp_ne_u64_e32 vcc, 0, v[2:3]
                                        ; implicit-def: $vgpr14_vgpr15
	s_and_saveexec_b64 s[0:1], vcc
	s_xor_b64 s[70:71], exec, s[0:1]
	s_cbranch_execz .LBB31_29
; %bb.28:                               ;   in Loop: Header=BB31_3 Depth=1
	s_ashr_i32 s72, s67, 31
	s_add_u32 s0, s66, s72
	s_mov_b32 s73, s72
	s_addc_u32 s1, s67, s72
	s_xor_b64 s[74:75], s[0:1], s[72:73]
	v_cvt_f32_u32_e32 v3, s74
	v_cvt_f32_u32_e32 v14, s75
	s_sub_u32 s0, 0, s74
	s_subb_u32 s1, 0, s75
	v_mac_f32_e32 v3, 0x4f800000, v14
	v_rcp_f32_e32 v3, v3
	v_mul_f32_e32 v3, 0x5f7ffffc, v3
	v_mul_f32_e32 v14, 0x2f800000, v3
	v_trunc_f32_e32 v14, v14
	v_mac_f32_e32 v3, 0xcf800000, v14
	v_cvt_u32_f32_e32 v14, v14
	v_cvt_u32_f32_e32 v3, v3
	v_mul_lo_u32 v15, s0, v14
	v_mul_hi_u32 v37, s0, v3
	v_mul_lo_u32 v36, s1, v3
	v_add_u32_e32 v15, v37, v15
	v_mul_lo_u32 v38, s0, v3
	v_add_u32_e32 v15, v15, v36
	v_mul_lo_u32 v37, v3, v15
	v_mul_hi_u32 v39, v3, v38
	v_mul_hi_u32 v36, v3, v15
	v_add_co_u32_e32 v37, vcc, v39, v37
	v_addc_co_u32_e32 v36, vcc, 0, v36, vcc
	v_mul_hi_u32 v40, v14, v38
	v_mul_lo_u32 v38, v14, v38
	v_add_co_u32_e32 v37, vcc, v37, v38
	v_mul_hi_u32 v39, v14, v15
	v_addc_co_u32_e32 v36, vcc, v36, v40, vcc
	v_addc_co_u32_e32 v37, vcc, 0, v39, vcc
	v_mul_lo_u32 v15, v14, v15
	v_add_co_u32_e32 v15, vcc, v36, v15
	v_addc_co_u32_e32 v36, vcc, 0, v37, vcc
	v_add_co_u32_e32 v3, vcc, v3, v15
	v_addc_co_u32_e32 v14, vcc, v14, v36, vcc
	v_mul_lo_u32 v15, s0, v14
	v_mul_hi_u32 v36, s0, v3
	v_add_u32_e32 v15, v36, v15
	v_mul_lo_u32 v36, s1, v3
	v_add_u32_e32 v15, v15, v36
	v_mul_lo_u32 v37, s0, v3
	v_mul_hi_u32 v38, v14, v37
	v_mul_lo_u32 v39, v14, v37
	v_mul_lo_u32 v41, v3, v15
	v_mul_hi_u32 v37, v3, v37
	v_mul_hi_u32 v40, v3, v15
	v_add_co_u32_e32 v37, vcc, v37, v41
	v_addc_co_u32_e32 v40, vcc, 0, v40, vcc
	v_add_co_u32_e32 v37, vcc, v37, v39
	v_mul_hi_u32 v36, v14, v15
	v_addc_co_u32_e32 v37, vcc, v40, v38, vcc
	v_addc_co_u32_e32 v36, vcc, 0, v36, vcc
	v_mul_lo_u32 v15, v14, v15
	v_add_co_u32_e32 v15, vcc, v37, v15
	v_addc_co_u32_e32 v36, vcc, 0, v36, vcc
	v_add_co_u32_e32 v3, vcc, v3, v15
	v_addc_co_u32_e32 v36, vcc, v14, v36, vcc
	;; [unrolled: 2-line block ×3, first 2 shown]
	v_xor_b32_e32 v38, v14, v5
	v_xor_b32_e32 v37, v15, v5
	v_mad_u64_u32 v[14:15], s[0:1], v38, v36, 0
	v_mul_hi_u32 v16, v38, v3
	v_add_co_u32_e32 v39, vcc, v16, v14
	v_addc_co_u32_e32 v40, vcc, 0, v15, vcc
	v_mad_u64_u32 v[16:17], s[0:1], v37, v3, 0
	v_add_co_u32_e32 v3, vcc, v39, v16
	v_mad_u64_u32 v[14:15], s[0:1], v37, v36, 0
	v_addc_co_u32_e32 v3, vcc, v40, v17, vcc
	v_addc_co_u32_e32 v15, vcc, 0, v15, vcc
	v_add_co_u32_e32 v3, vcc, v3, v14
	v_addc_co_u32_e32 v16, vcc, 0, v15, vcc
	v_mul_lo_u32 v17, s75, v3
	v_mul_lo_u32 v36, s74, v16
	v_mad_u64_u32 v[14:15], s[0:1], s74, v3, 0
	v_add3_u32 v15, v15, v36, v17
	v_sub_u32_e32 v17, v37, v15
	v_mov_b32_e32 v36, s75
	v_sub_co_u32_e32 v14, vcc, v38, v14
	v_subb_co_u32_e64 v17, s[0:1], v17, v36, vcc
	v_subrev_co_u32_e64 v36, s[0:1], s74, v14
	v_subbrev_co_u32_e64 v17, s[0:1], 0, v17, s[0:1]
	v_cmp_le_u32_e64 s[0:1], s75, v17
	v_cndmask_b32_e64 v38, 0, -1, s[0:1]
	v_cmp_le_u32_e64 s[0:1], s74, v36
	v_cndmask_b32_e64 v36, 0, -1, s[0:1]
	v_cmp_eq_u32_e64 s[0:1], s75, v17
	v_cndmask_b32_e64 v17, v38, v36, s[0:1]
	v_add_co_u32_e64 v36, s[0:1], 2, v3
	v_subb_co_u32_e32 v15, vcc, v37, v15, vcc
	v_addc_co_u32_e64 v38, s[0:1], 0, v16, s[0:1]
	v_cmp_le_u32_e32 vcc, s75, v15
	v_add_co_u32_e64 v39, s[0:1], 1, v3
	v_cndmask_b32_e64 v37, 0, -1, vcc
	v_cmp_le_u32_e32 vcc, s74, v14
	v_addc_co_u32_e64 v40, s[0:1], 0, v16, s[0:1]
	v_cndmask_b32_e64 v14, 0, -1, vcc
	v_cmp_eq_u32_e32 vcc, s75, v15
	v_cmp_ne_u32_e64 s[0:1], 0, v17
	v_cndmask_b32_e32 v14, v37, v14, vcc
	v_cmp_ne_u32_e32 vcc, 0, v14
	v_cndmask_b32_e64 v15, v39, v36, s[0:1]
	v_cndmask_b32_e64 v17, v40, v38, s[0:1]
	v_cndmask_b32_e32 v3, v3, v15, vcc
	v_xor_b32_e32 v5, s72, v5
	v_cndmask_b32_e32 v14, v16, v17, vcc
	v_xor_b32_e32 v3, v3, v5
	v_xor_b32_e32 v15, v14, v5
	v_sub_co_u32_e32 v14, vcc, v3, v5
	v_subb_co_u32_e32 v15, vcc, v15, v5, vcc
                                        ; implicit-def: $vgpr16_vgpr17
.LBB31_29:                              ;   in Loop: Header=BB31_3 Depth=1
	s_andn2_saveexec_b64 s[0:1], s[70:71]
	s_cbranch_execz .LBB31_31
; %bb.30:                               ;   in Loop: Header=BB31_3 Depth=1
	v_rcp_iflag_f32_e32 v3, v22
	s_sub_i32 s70, 0, s66
	v_mul_f32_e32 v3, 0x4f7ffffe, v3
	v_cvt_u32_f32_e32 v3, v3
	v_mul_lo_u32 v5, s70, v3
	v_mul_hi_u32 v5, v3, v5
	v_add_u32_e32 v3, v3, v5
	v_mul_hi_u32 v3, v16, v3
	v_mul_lo_u32 v5, v3, s66
	v_sub_u32_e32 v5, v16, v5
	v_add_u32_e32 v14, 1, v3
	v_subrev_u32_e32 v15, s66, v5
	v_cmp_le_u32_e32 vcc, s66, v5
	v_cndmask_b32_e32 v5, v5, v15, vcc
	v_cndmask_b32_e32 v3, v3, v14, vcc
	v_add_u32_e32 v14, 1, v3
	v_cmp_le_u32_e32 vcc, s66, v5
	v_cndmask_b32_e32 v14, v3, v14, vcc
	v_mov_b32_e32 v15, v2
.LBB31_31:                              ;   in Loop: Header=BB31_3 Depth=1
	s_or_b64 exec, exec, s[0:1]
	v_or_b32_e32 v3, s67, v19
	v_cmp_ne_u64_e32 vcc, 0, v[2:3]
                                        ; implicit-def: $vgpr16_vgpr17
	s_and_saveexec_b64 s[0:1], vcc
	s_xor_b64 s[70:71], exec, s[0:1]
	s_cbranch_execz .LBB31_33
; %bb.32:                               ;   in Loop: Header=BB31_3 Depth=1
	s_ashr_i32 s72, s67, 31
	s_add_u32 s0, s66, s72
	s_mov_b32 s73, s72
	s_addc_u32 s1, s67, s72
	s_xor_b64 s[74:75], s[0:1], s[72:73]
	v_cvt_f32_u32_e32 v3, s74
	v_cvt_f32_u32_e32 v5, s75
	s_sub_u32 s0, 0, s74
	s_subb_u32 s1, 0, s75
	v_mac_f32_e32 v3, 0x4f800000, v5
	v_rcp_f32_e32 v3, v3
	v_mul_f32_e32 v3, 0x5f7ffffc, v3
	v_mul_f32_e32 v5, 0x2f800000, v3
	v_trunc_f32_e32 v5, v5
	v_mac_f32_e32 v3, 0xcf800000, v5
	v_cvt_u32_f32_e32 v5, v5
	v_cvt_u32_f32_e32 v3, v3
	v_mul_lo_u32 v16, s0, v5
	v_mul_hi_u32 v36, s0, v3
	v_mul_lo_u32 v17, s1, v3
	v_add_u32_e32 v16, v36, v16
	v_mul_lo_u32 v37, s0, v3
	v_add_u32_e32 v16, v16, v17
	v_mul_lo_u32 v36, v3, v16
	v_mul_hi_u32 v38, v3, v37
	v_mul_hi_u32 v17, v3, v16
	v_add_co_u32_e32 v36, vcc, v38, v36
	v_addc_co_u32_e32 v17, vcc, 0, v17, vcc
	v_mul_hi_u32 v39, v5, v37
	v_mul_lo_u32 v37, v5, v37
	v_add_co_u32_e32 v36, vcc, v36, v37
	v_mul_hi_u32 v38, v5, v16
	v_addc_co_u32_e32 v17, vcc, v17, v39, vcc
	v_addc_co_u32_e32 v36, vcc, 0, v38, vcc
	v_mul_lo_u32 v16, v5, v16
	v_add_co_u32_e32 v16, vcc, v17, v16
	v_addc_co_u32_e32 v17, vcc, 0, v36, vcc
	v_add_co_u32_e32 v3, vcc, v3, v16
	v_addc_co_u32_e32 v5, vcc, v5, v17, vcc
	v_mul_lo_u32 v16, s0, v5
	v_mul_hi_u32 v17, s0, v3
	v_add_u32_e32 v16, v17, v16
	v_mul_lo_u32 v17, s1, v3
	v_add_u32_e32 v16, v16, v17
	v_mul_lo_u32 v36, s0, v3
	v_mul_hi_u32 v37, v5, v36
	v_mul_lo_u32 v38, v5, v36
	v_mul_lo_u32 v40, v3, v16
	v_mul_hi_u32 v36, v3, v36
	v_mul_hi_u32 v39, v3, v16
	v_add_co_u32_e32 v36, vcc, v36, v40
	v_addc_co_u32_e32 v39, vcc, 0, v39, vcc
	v_add_co_u32_e32 v36, vcc, v36, v38
	v_mul_hi_u32 v17, v5, v16
	v_addc_co_u32_e32 v36, vcc, v39, v37, vcc
	v_addc_co_u32_e32 v17, vcc, 0, v17, vcc
	v_mul_lo_u32 v16, v5, v16
	v_add_co_u32_e32 v16, vcc, v36, v16
	v_addc_co_u32_e32 v17, vcc, 0, v17, vcc
	v_add_co_u32_e32 v3, vcc, v3, v16
	v_addc_co_u32_e32 v5, vcc, v5, v17, vcc
	;; [unrolled: 2-line block ×3, first 2 shown]
	v_xor_b32_e32 v37, v16, v23
	v_xor_b32_e32 v36, v17, v23
	v_mad_u64_u32 v[16:17], s[0:1], v37, v5, 0
	v_mul_hi_u32 v18, v37, v3
	v_add_co_u32_e32 v38, vcc, v18, v16
	v_addc_co_u32_e32 v39, vcc, 0, v17, vcc
	v_mad_u64_u32 v[18:19], s[0:1], v36, v3, 0
	v_add_co_u32_e32 v3, vcc, v38, v18
	v_mad_u64_u32 v[16:17], s[0:1], v36, v5, 0
	v_addc_co_u32_e32 v3, vcc, v39, v19, vcc
	v_addc_co_u32_e32 v5, vcc, 0, v17, vcc
	v_add_co_u32_e32 v3, vcc, v3, v16
	v_addc_co_u32_e32 v5, vcc, 0, v5, vcc
	v_mul_lo_u32 v18, s75, v3
	v_mul_lo_u32 v19, s74, v5
	v_mad_u64_u32 v[16:17], s[0:1], s74, v3, 0
	v_add3_u32 v17, v17, v19, v18
	v_sub_u32_e32 v18, v36, v17
	v_mov_b32_e32 v19, s75
	v_sub_co_u32_e32 v16, vcc, v37, v16
	v_subb_co_u32_e64 v18, s[0:1], v18, v19, vcc
	v_subrev_co_u32_e64 v19, s[0:1], s74, v16
	v_subbrev_co_u32_e64 v18, s[0:1], 0, v18, s[0:1]
	v_cmp_le_u32_e64 s[0:1], s75, v18
	v_cndmask_b32_e64 v37, 0, -1, s[0:1]
	v_cmp_le_u32_e64 s[0:1], s74, v19
	v_cndmask_b32_e64 v19, 0, -1, s[0:1]
	v_cmp_eq_u32_e64 s[0:1], s75, v18
	v_cndmask_b32_e64 v18, v37, v19, s[0:1]
	v_add_co_u32_e64 v19, s[0:1], 2, v3
	v_subb_co_u32_e32 v17, vcc, v36, v17, vcc
	v_addc_co_u32_e64 v37, s[0:1], 0, v5, s[0:1]
	v_cmp_le_u32_e32 vcc, s75, v17
	v_add_co_u32_e64 v38, s[0:1], 1, v3
	v_cndmask_b32_e64 v36, 0, -1, vcc
	v_cmp_le_u32_e32 vcc, s74, v16
	v_addc_co_u32_e64 v39, s[0:1], 0, v5, s[0:1]
	v_cndmask_b32_e64 v16, 0, -1, vcc
	v_cmp_eq_u32_e32 vcc, s75, v17
	v_cmp_ne_u32_e64 s[0:1], 0, v18
	v_cndmask_b32_e32 v16, v36, v16, vcc
	v_cmp_ne_u32_e32 vcc, 0, v16
	v_cndmask_b32_e64 v16, v38, v19, s[0:1]
	v_cndmask_b32_e64 v18, v39, v37, s[0:1]
	v_cndmask_b32_e32 v3, v3, v16, vcc
	v_xor_b32_e32 v17, s72, v23
	v_cndmask_b32_e32 v5, v5, v18, vcc
	v_xor_b32_e32 v3, v3, v17
	v_xor_b32_e32 v5, v5, v17
	v_sub_co_u32_e32 v16, vcc, v3, v17
	v_subb_co_u32_e32 v17, vcc, v5, v17, vcc
                                        ; implicit-def: $vgpr18_vgpr19
.LBB31_33:                              ;   in Loop: Header=BB31_3 Depth=1
	s_andn2_saveexec_b64 s[0:1], s[70:71]
	s_cbranch_execz .LBB31_35
; %bb.34:                               ;   in Loop: Header=BB31_3 Depth=1
	v_rcp_iflag_f32_e32 v3, v22
	s_sub_i32 s70, 0, s66
	v_mul_f32_e32 v3, 0x4f7ffffe, v3
	v_cvt_u32_f32_e32 v3, v3
	v_mul_lo_u32 v5, s70, v3
	v_mul_hi_u32 v5, v3, v5
	v_add_u32_e32 v3, v3, v5
	v_mul_hi_u32 v3, v18, v3
	v_mul_lo_u32 v5, v3, s66
	v_sub_u32_e32 v5, v18, v5
	v_add_u32_e32 v16, 1, v3
	v_subrev_u32_e32 v17, s66, v5
	v_cmp_le_u32_e32 vcc, s66, v5
	v_cndmask_b32_e32 v5, v5, v17, vcc
	v_cndmask_b32_e32 v3, v3, v16, vcc
	v_add_u32_e32 v16, 1, v3
	v_cmp_le_u32_e32 vcc, s66, v5
	v_cndmask_b32_e32 v16, v3, v16, vcc
	v_mov_b32_e32 v17, v2
.LBB31_35:                              ;   in Loop: Header=BB31_3 Depth=1
	s_or_b64 exec, exec, s[0:1]
	v_or_b32_e32 v3, s67, v21
	v_cmp_ne_u64_e32 vcc, 0, v[2:3]
                                        ; implicit-def: $vgpr18_vgpr19
	s_and_saveexec_b64 s[0:1], vcc
	s_xor_b64 s[70:71], exec, s[0:1]
	s_cbranch_execz .LBB31_37
; %bb.36:                               ;   in Loop: Header=BB31_3 Depth=1
	s_ashr_i32 s72, s67, 31
	s_add_u32 s0, s66, s72
	s_mov_b32 s73, s72
	s_addc_u32 s1, s67, s72
	s_xor_b64 s[74:75], s[0:1], s[72:73]
	v_cvt_f32_u32_e32 v3, s74
	v_cvt_f32_u32_e32 v5, s75
	s_sub_u32 s0, 0, s74
	s_subb_u32 s1, 0, s75
	v_mac_f32_e32 v3, 0x4f800000, v5
	v_rcp_f32_e32 v3, v3
	v_mul_f32_e32 v3, 0x5f7ffffc, v3
	v_mul_f32_e32 v5, 0x2f800000, v3
	v_trunc_f32_e32 v5, v5
	v_mac_f32_e32 v3, 0xcf800000, v5
	v_cvt_u32_f32_e32 v5, v5
	v_cvt_u32_f32_e32 v3, v3
	v_mul_lo_u32 v18, s0, v5
	v_mul_hi_u32 v22, s0, v3
	v_mul_lo_u32 v19, s1, v3
	v_add_u32_e32 v18, v22, v18
	v_mul_lo_u32 v23, s0, v3
	v_add_u32_e32 v18, v18, v19
	v_mul_lo_u32 v22, v3, v18
	v_mul_hi_u32 v36, v3, v23
	v_mul_hi_u32 v19, v3, v18
	v_add_co_u32_e32 v22, vcc, v36, v22
	v_addc_co_u32_e32 v19, vcc, 0, v19, vcc
	v_mul_hi_u32 v37, v5, v23
	v_mul_lo_u32 v23, v5, v23
	v_add_co_u32_e32 v22, vcc, v22, v23
	v_mul_hi_u32 v36, v5, v18
	v_addc_co_u32_e32 v19, vcc, v19, v37, vcc
	v_addc_co_u32_e32 v22, vcc, 0, v36, vcc
	v_mul_lo_u32 v18, v5, v18
	v_add_co_u32_e32 v18, vcc, v19, v18
	v_addc_co_u32_e32 v19, vcc, 0, v22, vcc
	v_add_co_u32_e32 v3, vcc, v3, v18
	v_addc_co_u32_e32 v5, vcc, v5, v19, vcc
	v_mul_lo_u32 v18, s0, v5
	v_mul_hi_u32 v19, s0, v3
	v_add_u32_e32 v18, v19, v18
	v_mul_lo_u32 v19, s1, v3
	v_add_u32_e32 v18, v18, v19
	v_mul_lo_u32 v22, s0, v3
	v_mul_hi_u32 v23, v5, v22
	v_mul_lo_u32 v36, v5, v22
	v_mul_lo_u32 v38, v3, v18
	v_mul_hi_u32 v22, v3, v22
	v_mul_hi_u32 v37, v3, v18
	v_add_co_u32_e32 v22, vcc, v22, v38
	v_addc_co_u32_e32 v37, vcc, 0, v37, vcc
	v_add_co_u32_e32 v22, vcc, v22, v36
	v_mul_hi_u32 v19, v5, v18
	v_addc_co_u32_e32 v22, vcc, v37, v23, vcc
	v_addc_co_u32_e32 v19, vcc, 0, v19, vcc
	v_mul_lo_u32 v18, v5, v18
	v_add_co_u32_e32 v18, vcc, v22, v18
	v_addc_co_u32_e32 v19, vcc, 0, v19, vcc
	v_add_co_u32_e32 v3, vcc, v3, v18
	v_addc_co_u32_e32 v5, vcc, v5, v19, vcc
	;; [unrolled: 2-line block ×3, first 2 shown]
	v_xor_b32_e32 v23, v18, v35
	v_xor_b32_e32 v22, v19, v35
	v_mad_u64_u32 v[18:19], s[0:1], v23, v5, 0
	v_mul_hi_u32 v20, v23, v3
	v_add_co_u32_e32 v36, vcc, v20, v18
	v_addc_co_u32_e32 v37, vcc, 0, v19, vcc
	v_mad_u64_u32 v[20:21], s[0:1], v22, v3, 0
	v_add_co_u32_e32 v3, vcc, v36, v20
	v_mad_u64_u32 v[18:19], s[0:1], v22, v5, 0
	v_addc_co_u32_e32 v3, vcc, v37, v21, vcc
	v_addc_co_u32_e32 v5, vcc, 0, v19, vcc
	v_add_co_u32_e32 v3, vcc, v3, v18
	v_addc_co_u32_e32 v5, vcc, 0, v5, vcc
	v_mul_lo_u32 v20, s75, v3
	v_mul_lo_u32 v21, s74, v5
	v_mad_u64_u32 v[18:19], s[0:1], s74, v3, 0
	v_add3_u32 v19, v19, v21, v20
	v_sub_u32_e32 v20, v22, v19
	v_mov_b32_e32 v21, s75
	v_sub_co_u32_e32 v18, vcc, v23, v18
	v_subb_co_u32_e64 v20, s[0:1], v20, v21, vcc
	v_subrev_co_u32_e64 v21, s[0:1], s74, v18
	v_subbrev_co_u32_e64 v20, s[0:1], 0, v20, s[0:1]
	v_cmp_le_u32_e64 s[0:1], s75, v20
	v_cndmask_b32_e64 v23, 0, -1, s[0:1]
	v_cmp_le_u32_e64 s[0:1], s74, v21
	v_cndmask_b32_e64 v21, 0, -1, s[0:1]
	v_cmp_eq_u32_e64 s[0:1], s75, v20
	v_cndmask_b32_e64 v20, v23, v21, s[0:1]
	v_add_co_u32_e64 v21, s[0:1], 2, v3
	v_subb_co_u32_e32 v19, vcc, v22, v19, vcc
	v_addc_co_u32_e64 v23, s[0:1], 0, v5, s[0:1]
	v_cmp_le_u32_e32 vcc, s75, v19
	v_add_co_u32_e64 v36, s[0:1], 1, v3
	v_cndmask_b32_e64 v22, 0, -1, vcc
	v_cmp_le_u32_e32 vcc, s74, v18
	v_addc_co_u32_e64 v37, s[0:1], 0, v5, s[0:1]
	v_cndmask_b32_e64 v18, 0, -1, vcc
	v_cmp_eq_u32_e32 vcc, s75, v19
	v_cmp_ne_u32_e64 s[0:1], 0, v20
	v_cndmask_b32_e32 v18, v22, v18, vcc
	v_cmp_ne_u32_e32 vcc, 0, v18
	v_cndmask_b32_e64 v18, v36, v21, s[0:1]
	v_cndmask_b32_e64 v20, v37, v23, s[0:1]
	v_cndmask_b32_e32 v3, v3, v18, vcc
	v_xor_b32_e32 v19, s72, v35
	v_cndmask_b32_e32 v5, v5, v20, vcc
	v_xor_b32_e32 v3, v3, v19
	v_xor_b32_e32 v5, v5, v19
	v_sub_co_u32_e32 v18, vcc, v3, v19
	v_subb_co_u32_e32 v19, vcc, v5, v19, vcc
                                        ; implicit-def: $vgpr22
                                        ; implicit-def: $vgpr20_vgpr21
.LBB31_37:                              ;   in Loop: Header=BB31_3 Depth=1
	s_andn2_saveexec_b64 s[0:1], s[70:71]
	s_cbranch_execz .LBB31_39
; %bb.38:                               ;   in Loop: Header=BB31_3 Depth=1
	v_rcp_iflag_f32_e32 v3, v22
	s_sub_i32 s70, 0, s66
	v_mul_f32_e32 v3, 0x4f7ffffe, v3
	v_cvt_u32_f32_e32 v3, v3
	v_mul_lo_u32 v5, s70, v3
	v_mul_hi_u32 v5, v3, v5
	v_add_u32_e32 v3, v3, v5
	v_mul_hi_u32 v3, v20, v3
	v_mul_lo_u32 v5, v3, s66
	v_sub_u32_e32 v5, v20, v5
	v_add_u32_e32 v18, 1, v3
	v_subrev_u32_e32 v19, s66, v5
	v_cmp_le_u32_e32 vcc, s66, v5
	v_cndmask_b32_e32 v5, v5, v19, vcc
	v_cndmask_b32_e32 v3, v3, v18, vcc
	v_add_u32_e32 v18, 1, v3
	v_cmp_le_u32_e32 vcc, s66, v5
	v_cndmask_b32_e32 v18, v3, v18, vcc
	v_mov_b32_e32 v19, v2
.LBB31_39:                              ;   in Loop: Header=BB31_3 Depth=1
	s_or_b64 exec, exec, s[0:1]
	v_or_b32_e32 v3, s45, v1
	v_cmp_ne_u64_e32 vcc, 0, v[2:3]
                                        ; implicit-def: $vgpr20_vgpr21
	s_and_saveexec_b64 s[0:1], vcc
	s_xor_b64 s[70:71], exec, s[0:1]
	s_cbranch_execz .LBB31_41
; %bb.40:                               ;   in Loop: Header=BB31_3 Depth=1
	s_ashr_i32 s72, s45, 31
	s_add_u32 s0, s44, s72
	s_mov_b32 s73, s72
	s_addc_u32 s1, s45, s72
	s_xor_b64 s[74:75], s[0:1], s[72:73]
	v_cvt_f32_u32_e32 v3, s74
	v_cvt_f32_u32_e32 v5, s75
	s_sub_u32 s0, 0, s74
	s_subb_u32 s1, 0, s75
	v_mac_f32_e32 v3, 0x4f800000, v5
	v_rcp_f32_e32 v3, v3
	v_mul_f32_e32 v3, 0x5f7ffffc, v3
	v_mul_f32_e32 v5, 0x2f800000, v3
	v_trunc_f32_e32 v5, v5
	v_mac_f32_e32 v3, 0xcf800000, v5
	v_cvt_u32_f32_e32 v5, v5
	v_cvt_u32_f32_e32 v3, v3
	v_mul_lo_u32 v20, s0, v5
	v_mul_hi_u32 v22, s0, v3
	v_mul_lo_u32 v21, s1, v3
	v_add_u32_e32 v20, v22, v20
	v_mul_lo_u32 v23, s0, v3
	v_add_u32_e32 v20, v20, v21
	v_mul_lo_u32 v22, v3, v20
	v_mul_hi_u32 v35, v3, v23
	v_mul_hi_u32 v21, v3, v20
	v_add_co_u32_e32 v22, vcc, v35, v22
	v_addc_co_u32_e32 v21, vcc, 0, v21, vcc
	v_mul_hi_u32 v36, v5, v23
	v_mul_lo_u32 v23, v5, v23
	v_add_co_u32_e32 v22, vcc, v22, v23
	v_mul_hi_u32 v35, v5, v20
	v_addc_co_u32_e32 v21, vcc, v21, v36, vcc
	v_addc_co_u32_e32 v22, vcc, 0, v35, vcc
	v_mul_lo_u32 v20, v5, v20
	v_add_co_u32_e32 v20, vcc, v21, v20
	v_addc_co_u32_e32 v21, vcc, 0, v22, vcc
	v_add_co_u32_e32 v3, vcc, v3, v20
	v_addc_co_u32_e32 v5, vcc, v5, v21, vcc
	v_mul_lo_u32 v20, s0, v5
	v_mul_hi_u32 v21, s0, v3
	v_add_u32_e32 v20, v21, v20
	v_mul_lo_u32 v21, s1, v3
	v_add_u32_e32 v20, v20, v21
	v_mul_lo_u32 v22, s0, v3
	v_mul_hi_u32 v23, v5, v22
	v_mul_lo_u32 v35, v5, v22
	v_mul_lo_u32 v37, v3, v20
	v_mul_hi_u32 v22, v3, v22
	v_mul_hi_u32 v36, v3, v20
	v_add_co_u32_e32 v22, vcc, v22, v37
	v_addc_co_u32_e32 v36, vcc, 0, v36, vcc
	v_add_co_u32_e32 v22, vcc, v22, v35
	v_mul_hi_u32 v21, v5, v20
	v_addc_co_u32_e32 v22, vcc, v36, v23, vcc
	v_addc_co_u32_e32 v21, vcc, 0, v21, vcc
	v_mul_lo_u32 v20, v5, v20
	v_add_co_u32_e32 v20, vcc, v22, v20
	v_addc_co_u32_e32 v21, vcc, 0, v21, vcc
	v_add_co_u32_e32 v3, vcc, v3, v20
	v_addc_co_u32_e32 v5, vcc, v5, v21, vcc
	v_ashrrev_i32_e32 v35, 31, v1
	v_add_co_u32_e32 v20, vcc, v0, v35
	v_addc_co_u32_e32 v21, vcc, v1, v35, vcc
	v_xor_b32_e32 v37, v20, v35
	v_xor_b32_e32 v36, v21, v35
	v_mad_u64_u32 v[20:21], s[0:1], v37, v5, 0
	v_mul_hi_u32 v22, v37, v3
	v_add_co_u32_e32 v38, vcc, v22, v20
	v_addc_co_u32_e32 v39, vcc, 0, v21, vcc
	v_mad_u64_u32 v[22:23], s[0:1], v36, v3, 0
	v_add_co_u32_e32 v3, vcc, v38, v22
	v_mad_u64_u32 v[20:21], s[0:1], v36, v5, 0
	v_addc_co_u32_e32 v3, vcc, v39, v23, vcc
	v_addc_co_u32_e32 v5, vcc, 0, v21, vcc
	v_add_co_u32_e32 v3, vcc, v3, v20
	v_addc_co_u32_e32 v5, vcc, 0, v5, vcc
	v_mul_lo_u32 v22, s75, v3
	v_mul_lo_u32 v23, s74, v5
	v_mad_u64_u32 v[20:21], s[0:1], s74, v3, 0
	v_add3_u32 v21, v21, v23, v22
	v_sub_u32_e32 v22, v36, v21
	v_mov_b32_e32 v23, s75
	v_sub_co_u32_e32 v20, vcc, v37, v20
	v_subb_co_u32_e64 v22, s[0:1], v22, v23, vcc
	v_subrev_co_u32_e64 v23, s[0:1], s74, v20
	v_subbrev_co_u32_e64 v22, s[0:1], 0, v22, s[0:1]
	v_cmp_le_u32_e64 s[0:1], s75, v22
	v_cndmask_b32_e64 v37, 0, -1, s[0:1]
	v_cmp_le_u32_e64 s[0:1], s74, v23
	v_cndmask_b32_e64 v23, 0, -1, s[0:1]
	v_cmp_eq_u32_e64 s[0:1], s75, v22
	v_cndmask_b32_e64 v22, v37, v23, s[0:1]
	v_add_co_u32_e64 v23, s[0:1], 2, v3
	v_subb_co_u32_e32 v21, vcc, v36, v21, vcc
	v_addc_co_u32_e64 v37, s[0:1], 0, v5, s[0:1]
	v_cmp_le_u32_e32 vcc, s75, v21
	v_add_co_u32_e64 v38, s[0:1], 1, v3
	v_cndmask_b32_e64 v36, 0, -1, vcc
	v_cmp_le_u32_e32 vcc, s74, v20
	v_addc_co_u32_e64 v39, s[0:1], 0, v5, s[0:1]
	v_cndmask_b32_e64 v20, 0, -1, vcc
	v_cmp_eq_u32_e32 vcc, s75, v21
	v_cmp_ne_u32_e64 s[0:1], 0, v22
	v_cndmask_b32_e32 v20, v36, v20, vcc
	v_cmp_ne_u32_e32 vcc, 0, v20
	v_cndmask_b32_e64 v20, v38, v23, s[0:1]
	v_cndmask_b32_e64 v22, v39, v37, s[0:1]
	v_cndmask_b32_e32 v3, v3, v20, vcc
	v_xor_b32_e32 v21, s72, v35
	v_cndmask_b32_e32 v5, v5, v22, vcc
	v_xor_b32_e32 v3, v3, v21
	v_xor_b32_e32 v5, v5, v21
	v_sub_co_u32_e32 v20, vcc, v3, v21
	v_subb_co_u32_e32 v21, vcc, v5, v21, vcc
.LBB31_41:                              ;   in Loop: Header=BB31_3 Depth=1
	s_andn2_saveexec_b64 s[0:1], s[70:71]
	s_cbranch_execz .LBB31_43
; %bb.42:                               ;   in Loop: Header=BB31_3 Depth=1
	v_cvt_f32_u32_e32 v3, s44
	s_sub_i32 s70, 0, s44
	v_rcp_iflag_f32_e32 v3, v3
	v_mul_f32_e32 v3, 0x4f7ffffe, v3
	v_cvt_u32_f32_e32 v3, v3
	v_mul_lo_u32 v5, s70, v3
	v_mul_hi_u32 v5, v3, v5
	v_add_u32_e32 v3, v3, v5
	v_mul_hi_u32 v3, v0, v3
	v_mul_lo_u32 v5, v3, s44
	v_sub_u32_e32 v5, v0, v5
	v_add_u32_e32 v20, 1, v3
	v_subrev_u32_e32 v21, s44, v5
	v_cmp_le_u32_e32 vcc, s44, v5
	v_cndmask_b32_e32 v5, v5, v21, vcc
	v_cndmask_b32_e32 v3, v3, v20, vcc
	v_add_u32_e32 v20, 1, v3
	v_cmp_le_u32_e32 vcc, s44, v5
	v_cndmask_b32_e32 v20, v3, v20, vcc
	v_mov_b32_e32 v21, v2
.LBB31_43:                              ;   in Loop: Header=BB31_3 Depth=1
	s_or_b64 exec, exec, s[0:1]
	v_mad_u64_u32 v[22:23], s[0:1], s79, v20, v[0:1]
	v_mul_lo_u32 v3, s79, v21
	v_mul_lo_u32 v5, s80, v20
	v_add3_u32 v3, v5, v23, v3
	v_mul_lo_u32 v5, v22, s19
	v_mul_lo_u32 v3, v3, s18
	v_mad_u64_u32 v[22:23], s[0:1], v22, s18, 0
	v_add3_u32 v23, v23, v5, v3
	v_mul_lo_u32 v3, v21, s16
	v_mul_lo_u32 v5, v20, s17
	v_mad_u64_u32 v[20:21], s[0:1], v20, s16, 0
	v_add3_u32 v21, v21, v5, v3
	v_lshlrev_b64 v[20:21], 1, v[20:21]
	v_mov_b32_e32 v3, s43
	v_add_co_u32_e32 v5, vcc, s42, v20
	v_addc_co_u32_e32 v3, vcc, v3, v21, vcc
	v_lshlrev_b64 v[20:21], 1, v[22:23]
	v_add_co_u32_e32 v20, vcc, v5, v20
	v_addc_co_u32_e32 v21, vcc, v3, v21, vcc
	global_load_ushort v35, v[20:21], off
	v_or_b32_e32 v3, s49, v1
	v_cmp_ne_u64_e32 vcc, 0, v[2:3]
                                        ; implicit-def: $vgpr20_vgpr21
	s_and_saveexec_b64 s[0:1], vcc
	s_xor_b64 s[70:71], exec, s[0:1]
	s_cbranch_execz .LBB31_45
; %bb.44:                               ;   in Loop: Header=BB31_3 Depth=1
	s_ashr_i32 s72, s49, 31
	s_add_u32 s0, s48, s72
	s_mov_b32 s73, s72
	s_addc_u32 s1, s49, s72
	s_xor_b64 s[74:75], s[0:1], s[72:73]
	v_cvt_f32_u32_e32 v3, s74
	v_cvt_f32_u32_e32 v5, s75
	s_sub_u32 s0, 0, s74
	s_subb_u32 s1, 0, s75
	v_mac_f32_e32 v3, 0x4f800000, v5
	v_rcp_f32_e32 v3, v3
	v_mul_f32_e32 v3, 0x5f7ffffc, v3
	v_mul_f32_e32 v5, 0x2f800000, v3
	v_trunc_f32_e32 v5, v5
	v_mac_f32_e32 v3, 0xcf800000, v5
	v_cvt_u32_f32_e32 v5, v5
	v_cvt_u32_f32_e32 v3, v3
	v_mul_lo_u32 v20, s0, v5
	v_mul_hi_u32 v22, s0, v3
	v_mul_lo_u32 v21, s1, v3
	v_add_u32_e32 v20, v22, v20
	v_mul_lo_u32 v23, s0, v3
	v_add_u32_e32 v20, v20, v21
	v_mul_lo_u32 v22, v3, v20
	v_mul_hi_u32 v36, v3, v23
	v_mul_hi_u32 v21, v3, v20
	v_add_co_u32_e32 v22, vcc, v36, v22
	v_addc_co_u32_e32 v21, vcc, 0, v21, vcc
	v_mul_hi_u32 v37, v5, v23
	v_mul_lo_u32 v23, v5, v23
	v_add_co_u32_e32 v22, vcc, v22, v23
	v_mul_hi_u32 v36, v5, v20
	v_addc_co_u32_e32 v21, vcc, v21, v37, vcc
	v_addc_co_u32_e32 v22, vcc, 0, v36, vcc
	v_mul_lo_u32 v20, v5, v20
	v_add_co_u32_e32 v20, vcc, v21, v20
	v_addc_co_u32_e32 v21, vcc, 0, v22, vcc
	v_add_co_u32_e32 v3, vcc, v3, v20
	v_addc_co_u32_e32 v5, vcc, v5, v21, vcc
	v_mul_lo_u32 v20, s0, v5
	v_mul_hi_u32 v21, s0, v3
	v_add_u32_e32 v20, v21, v20
	v_mul_lo_u32 v21, s1, v3
	v_add_u32_e32 v20, v20, v21
	v_mul_lo_u32 v22, s0, v3
	v_mul_hi_u32 v23, v5, v22
	v_mul_lo_u32 v36, v5, v22
	v_mul_lo_u32 v38, v3, v20
	v_mul_hi_u32 v22, v3, v22
	v_mul_hi_u32 v37, v3, v20
	v_add_co_u32_e32 v22, vcc, v22, v38
	v_addc_co_u32_e32 v37, vcc, 0, v37, vcc
	v_add_co_u32_e32 v22, vcc, v22, v36
	v_mul_hi_u32 v21, v5, v20
	v_addc_co_u32_e32 v22, vcc, v37, v23, vcc
	v_addc_co_u32_e32 v21, vcc, 0, v21, vcc
	v_mul_lo_u32 v20, v5, v20
	v_add_co_u32_e32 v20, vcc, v22, v20
	v_addc_co_u32_e32 v21, vcc, 0, v21, vcc
	v_add_co_u32_e32 v3, vcc, v3, v20
	v_addc_co_u32_e32 v5, vcc, v5, v21, vcc
	v_ashrrev_i32_e32 v36, 31, v1
	v_add_co_u32_e32 v20, vcc, v0, v36
	v_addc_co_u32_e32 v21, vcc, v1, v36, vcc
	v_xor_b32_e32 v38, v20, v36
	v_xor_b32_e32 v37, v21, v36
	v_mad_u64_u32 v[20:21], s[0:1], v38, v5, 0
	v_mul_hi_u32 v22, v38, v3
	v_add_co_u32_e32 v39, vcc, v22, v20
	v_addc_co_u32_e32 v40, vcc, 0, v21, vcc
	v_mad_u64_u32 v[22:23], s[0:1], v37, v3, 0
	v_add_co_u32_e32 v3, vcc, v39, v22
	v_mad_u64_u32 v[20:21], s[0:1], v37, v5, 0
	v_addc_co_u32_e32 v3, vcc, v40, v23, vcc
	v_addc_co_u32_e32 v5, vcc, 0, v21, vcc
	v_add_co_u32_e32 v3, vcc, v3, v20
	v_addc_co_u32_e32 v5, vcc, 0, v5, vcc
	v_mul_lo_u32 v22, s75, v3
	v_mul_lo_u32 v23, s74, v5
	v_mad_u64_u32 v[20:21], s[0:1], s74, v3, 0
	v_add3_u32 v21, v21, v23, v22
	v_sub_u32_e32 v22, v37, v21
	v_mov_b32_e32 v23, s75
	v_sub_co_u32_e32 v20, vcc, v38, v20
	v_subb_co_u32_e64 v22, s[0:1], v22, v23, vcc
	v_subrev_co_u32_e64 v23, s[0:1], s74, v20
	v_subbrev_co_u32_e64 v22, s[0:1], 0, v22, s[0:1]
	v_cmp_le_u32_e64 s[0:1], s75, v22
	v_cndmask_b32_e64 v38, 0, -1, s[0:1]
	v_cmp_le_u32_e64 s[0:1], s74, v23
	v_cndmask_b32_e64 v23, 0, -1, s[0:1]
	v_cmp_eq_u32_e64 s[0:1], s75, v22
	v_cndmask_b32_e64 v22, v38, v23, s[0:1]
	v_add_co_u32_e64 v23, s[0:1], 2, v3
	v_subb_co_u32_e32 v21, vcc, v37, v21, vcc
	v_addc_co_u32_e64 v38, s[0:1], 0, v5, s[0:1]
	v_cmp_le_u32_e32 vcc, s75, v21
	v_add_co_u32_e64 v39, s[0:1], 1, v3
	v_cndmask_b32_e64 v37, 0, -1, vcc
	v_cmp_le_u32_e32 vcc, s74, v20
	v_addc_co_u32_e64 v40, s[0:1], 0, v5, s[0:1]
	v_cndmask_b32_e64 v20, 0, -1, vcc
	v_cmp_eq_u32_e32 vcc, s75, v21
	v_cmp_ne_u32_e64 s[0:1], 0, v22
	v_cndmask_b32_e32 v20, v37, v20, vcc
	v_cmp_ne_u32_e32 vcc, 0, v20
	v_cndmask_b32_e64 v20, v39, v23, s[0:1]
	v_cndmask_b32_e64 v22, v40, v38, s[0:1]
	v_cndmask_b32_e32 v3, v3, v20, vcc
	v_xor_b32_e32 v21, s72, v36
	v_cndmask_b32_e32 v5, v5, v22, vcc
	v_xor_b32_e32 v3, v3, v21
	v_xor_b32_e32 v5, v5, v21
	v_sub_co_u32_e32 v20, vcc, v3, v21
	v_subb_co_u32_e32 v21, vcc, v5, v21, vcc
.LBB31_45:                              ;   in Loop: Header=BB31_3 Depth=1
	s_andn2_saveexec_b64 s[0:1], s[70:71]
	s_cbranch_execz .LBB31_47
; %bb.46:                               ;   in Loop: Header=BB31_3 Depth=1
	v_cvt_f32_u32_e32 v3, s48
	s_sub_i32 s70, 0, s48
	v_rcp_iflag_f32_e32 v3, v3
	v_mul_f32_e32 v3, 0x4f7ffffe, v3
	v_cvt_u32_f32_e32 v3, v3
	v_mul_lo_u32 v5, s70, v3
	v_mul_hi_u32 v5, v3, v5
	v_add_u32_e32 v3, v3, v5
	v_mul_hi_u32 v3, v0, v3
	v_mul_lo_u32 v5, v3, s48
	v_sub_u32_e32 v5, v0, v5
	v_add_u32_e32 v20, 1, v3
	v_subrev_u32_e32 v21, s48, v5
	v_cmp_le_u32_e32 vcc, s48, v5
	v_cndmask_b32_e32 v5, v5, v21, vcc
	v_cndmask_b32_e32 v3, v3, v20, vcc
	v_add_u32_e32 v20, 1, v3
	v_cmp_le_u32_e32 vcc, s48, v5
	v_cndmask_b32_e32 v20, v3, v20, vcc
	v_mov_b32_e32 v21, v2
.LBB31_47:                              ;   in Loop: Header=BB31_3 Depth=1
	s_or_b64 exec, exec, s[0:1]
	v_mad_u64_u32 v[22:23], s[0:1], s81, v20, v[0:1]
	v_mul_lo_u32 v3, s81, v21
	v_mul_lo_u32 v5, s82, v20
	v_add3_u32 v3, v5, v23, v3
	v_mul_lo_u32 v5, v22, s23
	v_mul_lo_u32 v3, v3, s22
	v_mad_u64_u32 v[22:23], s[0:1], v22, s22, 0
	v_add3_u32 v23, v23, v5, v3
	v_mul_lo_u32 v3, v21, s20
	v_mul_lo_u32 v5, v20, s21
	v_mad_u64_u32 v[20:21], s[0:1], v20, s20, 0
	v_add3_u32 v21, v21, v5, v3
	v_lshlrev_b64 v[20:21], 1, v[20:21]
	v_mov_b32_e32 v3, s47
	v_add_co_u32_e32 v5, vcc, s46, v20
	v_addc_co_u32_e32 v3, vcc, v3, v21, vcc
	v_lshlrev_b64 v[20:21], 1, v[22:23]
	v_add_co_u32_e32 v20, vcc, v5, v20
	v_addc_co_u32_e32 v21, vcc, v3, v21, vcc
	global_load_ushort v36, v[20:21], off
	v_or_b32_e32 v3, s61, v1
	v_cmp_ne_u64_e32 vcc, 0, v[2:3]
                                        ; implicit-def: $vgpr20_vgpr21
	s_and_saveexec_b64 s[0:1], vcc
	s_xor_b64 s[70:71], exec, s[0:1]
	s_cbranch_execnz .LBB31_60
; %bb.48:                               ;   in Loop: Header=BB31_3 Depth=1
	s_andn2_saveexec_b64 s[0:1], s[70:71]
	s_cbranch_execnz .LBB31_61
.LBB31_49:                              ;   in Loop: Header=BB31_3 Depth=1
	s_or_b64 exec, exec, s[0:1]
	s_andn2_b64 vcc, exec, s[62:63]
	s_cbranch_vccnz .LBB31_62
.LBB31_50:                              ;   in Loop: Header=BB31_3 Depth=1
	v_or_b32_e32 v3, s53, v1
	v_cmp_ne_u64_e32 vcc, 0, v[2:3]
                                        ; implicit-def: $vgpr22_vgpr23
	s_and_saveexec_b64 s[0:1], vcc
	s_xor_b64 s[70:71], exec, s[0:1]
	s_cbranch_execz .LBB31_52
; %bb.51:                               ;   in Loop: Header=BB31_3 Depth=1
	s_ashr_i32 s72, s53, 31
	s_add_u32 s0, s52, s72
	s_mov_b32 s73, s72
	s_addc_u32 s1, s53, s72
	s_xor_b64 s[74:75], s[0:1], s[72:73]
	v_cvt_f32_u32_e32 v3, s74
	v_cvt_f32_u32_e32 v5, s75
	s_sub_u32 s0, 0, s74
	s_subb_u32 s1, 0, s75
	v_mac_f32_e32 v3, 0x4f800000, v5
	v_rcp_f32_e32 v3, v3
	v_mul_f32_e32 v3, 0x5f7ffffc, v3
	v_mul_f32_e32 v5, 0x2f800000, v3
	v_trunc_f32_e32 v5, v5
	v_mac_f32_e32 v3, 0xcf800000, v5
	v_cvt_u32_f32_e32 v5, v5
	v_cvt_u32_f32_e32 v3, v3
	v_mul_lo_u32 v22, s0, v5
	v_mul_hi_u32 v37, s0, v3
	v_mul_lo_u32 v23, s1, v3
	v_add_u32_e32 v22, v37, v22
	v_mul_lo_u32 v38, s0, v3
	v_add_u32_e32 v22, v22, v23
	v_mul_lo_u32 v37, v3, v22
	v_mul_hi_u32 v39, v3, v38
	v_mul_hi_u32 v23, v3, v22
	v_add_co_u32_e32 v37, vcc, v39, v37
	v_addc_co_u32_e32 v23, vcc, 0, v23, vcc
	v_mul_hi_u32 v40, v5, v38
	v_mul_lo_u32 v38, v5, v38
	v_add_co_u32_e32 v37, vcc, v37, v38
	v_mul_hi_u32 v39, v5, v22
	v_addc_co_u32_e32 v23, vcc, v23, v40, vcc
	v_addc_co_u32_e32 v37, vcc, 0, v39, vcc
	v_mul_lo_u32 v22, v5, v22
	v_add_co_u32_e32 v22, vcc, v23, v22
	v_addc_co_u32_e32 v23, vcc, 0, v37, vcc
	v_add_co_u32_e32 v3, vcc, v3, v22
	v_addc_co_u32_e32 v5, vcc, v5, v23, vcc
	v_mul_lo_u32 v22, s0, v5
	v_mul_hi_u32 v23, s0, v3
	v_add_u32_e32 v22, v23, v22
	v_mul_lo_u32 v23, s1, v3
	v_add_u32_e32 v22, v22, v23
	v_mul_lo_u32 v37, s0, v3
	v_mul_hi_u32 v38, v5, v37
	v_mul_lo_u32 v39, v5, v37
	v_mul_lo_u32 v41, v3, v22
	v_mul_hi_u32 v37, v3, v37
	v_mul_hi_u32 v40, v3, v22
	v_add_co_u32_e32 v37, vcc, v37, v41
	v_addc_co_u32_e32 v40, vcc, 0, v40, vcc
	v_add_co_u32_e32 v37, vcc, v37, v39
	v_mul_hi_u32 v23, v5, v22
	v_addc_co_u32_e32 v37, vcc, v40, v38, vcc
	v_addc_co_u32_e32 v23, vcc, 0, v23, vcc
	v_mul_lo_u32 v22, v5, v22
	v_add_co_u32_e32 v22, vcc, v37, v22
	v_addc_co_u32_e32 v23, vcc, 0, v23, vcc
	v_add_co_u32_e32 v3, vcc, v3, v22
	v_addc_co_u32_e32 v5, vcc, v5, v23, vcc
	v_ashrrev_i32_e32 v37, 31, v1
	v_add_co_u32_e32 v22, vcc, v0, v37
	v_addc_co_u32_e32 v23, vcc, v1, v37, vcc
	v_xor_b32_e32 v41, v22, v37
	v_xor_b32_e32 v40, v23, v37
	v_mad_u64_u32 v[22:23], s[0:1], v41, v5, 0
	v_mul_hi_u32 v38, v41, v3
	v_add_co_u32_e32 v42, vcc, v38, v22
	v_addc_co_u32_e32 v43, vcc, 0, v23, vcc
	v_mad_u64_u32 v[38:39], s[0:1], v40, v3, 0
	v_add_co_u32_e32 v3, vcc, v42, v38
	v_mad_u64_u32 v[22:23], s[0:1], v40, v5, 0
	v_addc_co_u32_e32 v3, vcc, v43, v39, vcc
	v_addc_co_u32_e32 v5, vcc, 0, v23, vcc
	v_add_co_u32_e32 v3, vcc, v3, v22
	v_addc_co_u32_e32 v5, vcc, 0, v5, vcc
	v_mul_lo_u32 v38, s75, v3
	v_mul_lo_u32 v39, s74, v5
	v_mad_u64_u32 v[22:23], s[0:1], s74, v3, 0
	v_add3_u32 v23, v23, v39, v38
	v_sub_u32_e32 v38, v40, v23
	v_mov_b32_e32 v39, s75
	v_sub_co_u32_e32 v22, vcc, v41, v22
	v_subb_co_u32_e64 v38, s[0:1], v38, v39, vcc
	v_subrev_co_u32_e64 v39, s[0:1], s74, v22
	v_subbrev_co_u32_e64 v38, s[0:1], 0, v38, s[0:1]
	v_cmp_le_u32_e64 s[0:1], s75, v38
	v_cndmask_b32_e64 v41, 0, -1, s[0:1]
	v_cmp_le_u32_e64 s[0:1], s74, v39
	v_cndmask_b32_e64 v39, 0, -1, s[0:1]
	v_cmp_eq_u32_e64 s[0:1], s75, v38
	v_cndmask_b32_e64 v38, v41, v39, s[0:1]
	v_add_co_u32_e64 v39, s[0:1], 2, v3
	v_subb_co_u32_e32 v23, vcc, v40, v23, vcc
	v_addc_co_u32_e64 v41, s[0:1], 0, v5, s[0:1]
	v_cmp_le_u32_e32 vcc, s75, v23
	v_add_co_u32_e64 v42, s[0:1], 1, v3
	v_cndmask_b32_e64 v40, 0, -1, vcc
	v_cmp_le_u32_e32 vcc, s74, v22
	v_addc_co_u32_e64 v43, s[0:1], 0, v5, s[0:1]
	v_cndmask_b32_e64 v22, 0, -1, vcc
	v_cmp_eq_u32_e32 vcc, s75, v23
	v_cmp_ne_u32_e64 s[0:1], 0, v38
	v_cndmask_b32_e32 v22, v40, v22, vcc
	v_cmp_ne_u32_e32 vcc, 0, v22
	v_cndmask_b32_e64 v22, v42, v39, s[0:1]
	v_cndmask_b32_e64 v38, v43, v41, s[0:1]
	v_cndmask_b32_e32 v3, v3, v22, vcc
	v_xor_b32_e32 v23, s72, v37
	v_cndmask_b32_e32 v5, v5, v38, vcc
	v_xor_b32_e32 v3, v3, v23
	v_xor_b32_e32 v5, v5, v23
	v_sub_co_u32_e32 v22, vcc, v3, v23
	v_subb_co_u32_e32 v23, vcc, v5, v23, vcc
.LBB31_52:                              ;   in Loop: Header=BB31_3 Depth=1
	s_andn2_saveexec_b64 s[0:1], s[70:71]
	s_cbranch_execz .LBB31_54
; %bb.53:                               ;   in Loop: Header=BB31_3 Depth=1
	v_cvt_f32_u32_e32 v3, s52
	s_sub_i32 s70, 0, s52
	v_rcp_iflag_f32_e32 v3, v3
	v_mul_f32_e32 v3, 0x4f7ffffe, v3
	v_cvt_u32_f32_e32 v3, v3
	v_mul_lo_u32 v5, s70, v3
	v_mul_hi_u32 v5, v3, v5
	v_add_u32_e32 v3, v3, v5
	v_mul_hi_u32 v3, v0, v3
	v_mul_lo_u32 v5, v3, s52
	v_sub_u32_e32 v5, v0, v5
	v_add_u32_e32 v22, 1, v3
	v_subrev_u32_e32 v23, s52, v5
	v_cmp_le_u32_e32 vcc, s52, v5
	v_cndmask_b32_e32 v5, v5, v23, vcc
	v_cndmask_b32_e32 v3, v3, v22, vcc
	v_add_u32_e32 v22, 1, v3
	v_cmp_le_u32_e32 vcc, s52, v5
	v_cndmask_b32_e32 v22, v3, v22, vcc
	v_mov_b32_e32 v23, v2
.LBB31_54:                              ;   in Loop: Header=BB31_3 Depth=1
	s_or_b64 exec, exec, s[0:1]
	v_mad_u64_u32 v[38:39], s[0:1], s85, v22, v[0:1]
	v_mul_lo_u32 v3, s85, v23
	v_mul_lo_u32 v5, s86, v22
	v_add3_u32 v3, v5, v39, v3
	v_mul_lo_u32 v5, v38, s27
	v_mul_lo_u32 v3, v3, s26
	v_mad_u64_u32 v[38:39], s[0:1], v38, s26, 0
	v_add3_u32 v39, v39, v5, v3
	v_mul_lo_u32 v3, v23, s24
	v_mul_lo_u32 v5, v22, s25
	v_mad_u64_u32 v[22:23], s[0:1], v22, s24, 0
	v_add3_u32 v23, v23, v5, v3
	v_lshlrev_b64 v[22:23], 1, v[22:23]
	v_mov_b32_e32 v3, s51
	v_add_co_u32_e32 v5, vcc, s50, v22
	v_addc_co_u32_e32 v3, vcc, v3, v23, vcc
	v_lshlrev_b64 v[22:23], 1, v[38:39]
	v_add_co_u32_e32 v22, vcc, v5, v22
	v_addc_co_u32_e32 v23, vcc, v3, v23, vcc
	global_load_ushort v3, v[22:23], off
	s_waitcnt vmcnt(0)
	v_lshlrev_b32_e32 v37, 16, v3
	s_andn2_b64 vcc, exec, s[64:65]
	s_cbranch_vccnz .LBB31_63
.LBB31_55:                              ;   in Loop: Header=BB31_3 Depth=1
	v_or_b32_e32 v3, s57, v1
	v_cmp_ne_u64_e32 vcc, 0, v[2:3]
                                        ; implicit-def: $vgpr22_vgpr23
	s_and_saveexec_b64 s[0:1], vcc
	s_xor_b64 s[70:71], exec, s[0:1]
	s_cbranch_execz .LBB31_57
; %bb.56:                               ;   in Loop: Header=BB31_3 Depth=1
	s_ashr_i32 s72, s57, 31
	s_add_u32 s0, s56, s72
	s_mov_b32 s73, s72
	s_addc_u32 s1, s57, s72
	s_xor_b64 s[74:75], s[0:1], s[72:73]
	v_cvt_f32_u32_e32 v3, s74
	v_cvt_f32_u32_e32 v5, s75
	s_sub_u32 s0, 0, s74
	s_subb_u32 s1, 0, s75
	v_mac_f32_e32 v3, 0x4f800000, v5
	v_rcp_f32_e32 v3, v3
	v_mul_f32_e32 v3, 0x5f7ffffc, v3
	v_mul_f32_e32 v5, 0x2f800000, v3
	v_trunc_f32_e32 v5, v5
	v_mac_f32_e32 v3, 0xcf800000, v5
	v_cvt_u32_f32_e32 v5, v5
	v_cvt_u32_f32_e32 v3, v3
	v_mul_lo_u32 v22, s0, v5
	v_mul_hi_u32 v38, s0, v3
	v_mul_lo_u32 v23, s1, v3
	v_add_u32_e32 v22, v38, v22
	v_mul_lo_u32 v39, s0, v3
	v_add_u32_e32 v22, v22, v23
	v_mul_lo_u32 v38, v3, v22
	v_mul_hi_u32 v40, v3, v39
	v_mul_hi_u32 v23, v3, v22
	v_add_co_u32_e32 v38, vcc, v40, v38
	v_addc_co_u32_e32 v23, vcc, 0, v23, vcc
	v_mul_hi_u32 v41, v5, v39
	v_mul_lo_u32 v39, v5, v39
	v_add_co_u32_e32 v38, vcc, v38, v39
	v_mul_hi_u32 v40, v5, v22
	v_addc_co_u32_e32 v23, vcc, v23, v41, vcc
	v_addc_co_u32_e32 v38, vcc, 0, v40, vcc
	v_mul_lo_u32 v22, v5, v22
	v_add_co_u32_e32 v22, vcc, v23, v22
	v_addc_co_u32_e32 v23, vcc, 0, v38, vcc
	v_add_co_u32_e32 v3, vcc, v3, v22
	v_addc_co_u32_e32 v5, vcc, v5, v23, vcc
	v_mul_lo_u32 v22, s0, v5
	v_mul_hi_u32 v23, s0, v3
	v_add_u32_e32 v22, v23, v22
	v_mul_lo_u32 v23, s1, v3
	v_add_u32_e32 v22, v22, v23
	v_mul_lo_u32 v38, s0, v3
	v_mul_hi_u32 v39, v5, v38
	v_mul_lo_u32 v40, v5, v38
	v_mul_lo_u32 v42, v3, v22
	v_mul_hi_u32 v38, v3, v38
	v_mul_hi_u32 v41, v3, v22
	v_add_co_u32_e32 v38, vcc, v38, v42
	v_addc_co_u32_e32 v41, vcc, 0, v41, vcc
	v_add_co_u32_e32 v38, vcc, v38, v40
	v_mul_hi_u32 v23, v5, v22
	v_addc_co_u32_e32 v38, vcc, v41, v39, vcc
	v_addc_co_u32_e32 v23, vcc, 0, v23, vcc
	v_mul_lo_u32 v22, v5, v22
	v_add_co_u32_e32 v22, vcc, v38, v22
	v_addc_co_u32_e32 v23, vcc, 0, v23, vcc
	v_add_co_u32_e32 v3, vcc, v3, v22
	v_addc_co_u32_e32 v5, vcc, v5, v23, vcc
	v_ashrrev_i32_e32 v40, 31, v1
	v_add_co_u32_e32 v22, vcc, v0, v40
	v_addc_co_u32_e32 v23, vcc, v1, v40, vcc
	v_xor_b32_e32 v42, v22, v40
	v_xor_b32_e32 v41, v23, v40
	v_mad_u64_u32 v[22:23], s[0:1], v42, v5, 0
	v_mul_hi_u32 v38, v42, v3
	v_add_co_u32_e32 v43, vcc, v38, v22
	v_addc_co_u32_e32 v44, vcc, 0, v23, vcc
	v_mad_u64_u32 v[38:39], s[0:1], v41, v3, 0
	v_add_co_u32_e32 v3, vcc, v43, v38
	v_mad_u64_u32 v[22:23], s[0:1], v41, v5, 0
	v_addc_co_u32_e32 v3, vcc, v44, v39, vcc
	v_addc_co_u32_e32 v5, vcc, 0, v23, vcc
	v_add_co_u32_e32 v3, vcc, v3, v22
	v_addc_co_u32_e32 v5, vcc, 0, v5, vcc
	v_mul_lo_u32 v38, s75, v3
	v_mul_lo_u32 v39, s74, v5
	v_mad_u64_u32 v[22:23], s[0:1], s74, v3, 0
	v_add3_u32 v23, v23, v39, v38
	v_sub_u32_e32 v38, v41, v23
	v_mov_b32_e32 v39, s75
	v_sub_co_u32_e32 v22, vcc, v42, v22
	v_subb_co_u32_e64 v38, s[0:1], v38, v39, vcc
	v_subrev_co_u32_e64 v39, s[0:1], s74, v22
	v_subbrev_co_u32_e64 v38, s[0:1], 0, v38, s[0:1]
	v_cmp_le_u32_e64 s[0:1], s75, v38
	v_cndmask_b32_e64 v42, 0, -1, s[0:1]
	v_cmp_le_u32_e64 s[0:1], s74, v39
	v_cndmask_b32_e64 v39, 0, -1, s[0:1]
	v_cmp_eq_u32_e64 s[0:1], s75, v38
	v_cndmask_b32_e64 v38, v42, v39, s[0:1]
	v_add_co_u32_e64 v39, s[0:1], 2, v3
	v_subb_co_u32_e32 v23, vcc, v41, v23, vcc
	v_addc_co_u32_e64 v42, s[0:1], 0, v5, s[0:1]
	v_cmp_le_u32_e32 vcc, s75, v23
	v_add_co_u32_e64 v43, s[0:1], 1, v3
	v_cndmask_b32_e64 v41, 0, -1, vcc
	v_cmp_le_u32_e32 vcc, s74, v22
	v_addc_co_u32_e64 v44, s[0:1], 0, v5, s[0:1]
	v_cndmask_b32_e64 v22, 0, -1, vcc
	v_cmp_eq_u32_e32 vcc, s75, v23
	v_cmp_ne_u32_e64 s[0:1], 0, v38
	v_cndmask_b32_e32 v22, v41, v22, vcc
	v_cmp_ne_u32_e32 vcc, 0, v22
	v_cndmask_b32_e64 v22, v43, v39, s[0:1]
	v_cndmask_b32_e64 v38, v44, v42, s[0:1]
	v_cndmask_b32_e32 v3, v3, v22, vcc
	v_xor_b32_e32 v23, s72, v40
	v_cndmask_b32_e32 v5, v5, v38, vcc
	v_xor_b32_e32 v3, v3, v23
	v_xor_b32_e32 v5, v5, v23
	v_sub_co_u32_e32 v22, vcc, v3, v23
	v_subb_co_u32_e32 v23, vcc, v5, v23, vcc
.LBB31_57:                              ;   in Loop: Header=BB31_3 Depth=1
	s_andn2_saveexec_b64 s[0:1], s[70:71]
	s_cbranch_execz .LBB31_59
; %bb.58:                               ;   in Loop: Header=BB31_3 Depth=1
	v_cvt_f32_u32_e32 v3, s56
	s_sub_i32 s70, 0, s56
	v_rcp_iflag_f32_e32 v3, v3
	v_mul_f32_e32 v3, 0x4f7ffffe, v3
	v_cvt_u32_f32_e32 v3, v3
	v_mul_lo_u32 v5, s70, v3
	v_mul_hi_u32 v5, v3, v5
	v_add_u32_e32 v3, v3, v5
	v_mul_hi_u32 v3, v0, v3
	v_mul_lo_u32 v5, v3, s56
	v_sub_u32_e32 v5, v0, v5
	v_add_u32_e32 v22, 1, v3
	v_subrev_u32_e32 v23, s56, v5
	v_cmp_le_u32_e32 vcc, s56, v5
	v_cndmask_b32_e32 v5, v5, v23, vcc
	v_cndmask_b32_e32 v3, v3, v22, vcc
	v_add_u32_e32 v22, 1, v3
	v_cmp_le_u32_e32 vcc, s56, v5
	v_cndmask_b32_e32 v22, v3, v22, vcc
	v_mov_b32_e32 v23, v2
.LBB31_59:                              ;   in Loop: Header=BB31_3 Depth=1
	s_or_b64 exec, exec, s[0:1]
	v_mad_u64_u32 v[38:39], s[0:1], s87, v22, v[0:1]
	v_mul_lo_u32 v3, s87, v23
	v_mul_lo_u32 v5, s88, v22
	v_add3_u32 v3, v5, v39, v3
	v_mul_lo_u32 v5, v38, s31
	v_mul_lo_u32 v3, v3, s30
	v_mad_u64_u32 v[38:39], s[0:1], v38, s30, 0
	v_add3_u32 v39, v39, v5, v3
	v_mul_lo_u32 v3, v23, s28
	v_mul_lo_u32 v5, v22, s29
	v_mad_u64_u32 v[22:23], s[0:1], v22, s28, 0
	v_add3_u32 v23, v23, v5, v3
	v_lshlrev_b64 v[22:23], 1, v[22:23]
	v_mov_b32_e32 v3, s55
	v_add_co_u32_e32 v5, vcc, s54, v22
	v_addc_co_u32_e32 v3, vcc, v3, v23, vcc
	v_lshlrev_b64 v[22:23], 1, v[38:39]
	v_add_co_u32_e32 v22, vcc, v5, v22
	v_addc_co_u32_e32 v23, vcc, v3, v23, vcc
	global_load_ushort v3, v[22:23], off
	s_waitcnt vmcnt(0)
	v_lshlrev_b32_e32 v5, 16, v3
	s_branch .LBB31_64
.LBB31_60:                              ;   in Loop: Header=BB31_3 Depth=1
	s_ashr_i32 s72, s61, 31
	s_add_u32 s0, s60, s72
	s_mov_b32 s73, s72
	s_addc_u32 s1, s61, s72
	s_xor_b64 s[74:75], s[0:1], s[72:73]
	v_cvt_f32_u32_e32 v3, s74
	v_cvt_f32_u32_e32 v5, s75
	s_sub_u32 s0, 0, s74
	s_subb_u32 s1, 0, s75
	v_mac_f32_e32 v3, 0x4f800000, v5
	v_rcp_f32_e32 v3, v3
	v_mul_f32_e32 v3, 0x5f7ffffc, v3
	v_mul_f32_e32 v5, 0x2f800000, v3
	v_trunc_f32_e32 v5, v5
	v_mac_f32_e32 v3, 0xcf800000, v5
	v_cvt_u32_f32_e32 v5, v5
	v_cvt_u32_f32_e32 v3, v3
	v_mul_lo_u32 v20, s0, v5
	v_mul_hi_u32 v22, s0, v3
	v_mul_lo_u32 v21, s1, v3
	v_add_u32_e32 v20, v22, v20
	v_mul_lo_u32 v23, s0, v3
	v_add_u32_e32 v20, v20, v21
	v_mul_lo_u32 v22, v3, v20
	v_mul_hi_u32 v37, v3, v23
	v_mul_hi_u32 v21, v3, v20
	v_add_co_u32_e32 v22, vcc, v37, v22
	v_addc_co_u32_e32 v21, vcc, 0, v21, vcc
	v_mul_hi_u32 v38, v5, v23
	v_mul_lo_u32 v23, v5, v23
	v_add_co_u32_e32 v22, vcc, v22, v23
	v_mul_hi_u32 v37, v5, v20
	v_addc_co_u32_e32 v21, vcc, v21, v38, vcc
	v_addc_co_u32_e32 v22, vcc, 0, v37, vcc
	v_mul_lo_u32 v20, v5, v20
	v_add_co_u32_e32 v20, vcc, v21, v20
	v_addc_co_u32_e32 v21, vcc, 0, v22, vcc
	v_add_co_u32_e32 v3, vcc, v3, v20
	v_addc_co_u32_e32 v5, vcc, v5, v21, vcc
	v_mul_lo_u32 v20, s0, v5
	v_mul_hi_u32 v21, s0, v3
	v_add_u32_e32 v20, v21, v20
	v_mul_lo_u32 v21, s1, v3
	v_add_u32_e32 v20, v20, v21
	v_mul_lo_u32 v22, s0, v3
	v_mul_hi_u32 v23, v5, v22
	v_mul_lo_u32 v37, v5, v22
	v_mul_lo_u32 v39, v3, v20
	v_mul_hi_u32 v22, v3, v22
	v_mul_hi_u32 v38, v3, v20
	v_add_co_u32_e32 v22, vcc, v22, v39
	v_addc_co_u32_e32 v38, vcc, 0, v38, vcc
	v_add_co_u32_e32 v22, vcc, v22, v37
	v_mul_hi_u32 v21, v5, v20
	v_addc_co_u32_e32 v22, vcc, v38, v23, vcc
	v_addc_co_u32_e32 v21, vcc, 0, v21, vcc
	v_mul_lo_u32 v20, v5, v20
	v_add_co_u32_e32 v20, vcc, v22, v20
	v_addc_co_u32_e32 v21, vcc, 0, v21, vcc
	v_add_co_u32_e32 v3, vcc, v3, v20
	v_addc_co_u32_e32 v5, vcc, v5, v21, vcc
	v_ashrrev_i32_e32 v37, 31, v1
	v_add_co_u32_e32 v20, vcc, v0, v37
	v_addc_co_u32_e32 v21, vcc, v1, v37, vcc
	v_xor_b32_e32 v39, v20, v37
	v_xor_b32_e32 v38, v21, v37
	v_mad_u64_u32 v[20:21], s[0:1], v39, v5, 0
	v_mul_hi_u32 v22, v39, v3
	v_add_co_u32_e32 v40, vcc, v22, v20
	v_addc_co_u32_e32 v41, vcc, 0, v21, vcc
	v_mad_u64_u32 v[22:23], s[0:1], v38, v3, 0
	v_add_co_u32_e32 v3, vcc, v40, v22
	v_mad_u64_u32 v[20:21], s[0:1], v38, v5, 0
	v_addc_co_u32_e32 v3, vcc, v41, v23, vcc
	v_addc_co_u32_e32 v5, vcc, 0, v21, vcc
	v_add_co_u32_e32 v3, vcc, v3, v20
	v_addc_co_u32_e32 v5, vcc, 0, v5, vcc
	v_mul_lo_u32 v22, s75, v3
	v_mul_lo_u32 v23, s74, v5
	v_mad_u64_u32 v[20:21], s[0:1], s74, v3, 0
	v_add3_u32 v21, v21, v23, v22
	v_sub_u32_e32 v22, v38, v21
	v_mov_b32_e32 v23, s75
	v_sub_co_u32_e32 v20, vcc, v39, v20
	v_subb_co_u32_e64 v22, s[0:1], v22, v23, vcc
	v_subrev_co_u32_e64 v23, s[0:1], s74, v20
	v_subbrev_co_u32_e64 v22, s[0:1], 0, v22, s[0:1]
	v_cmp_le_u32_e64 s[0:1], s75, v22
	v_cndmask_b32_e64 v39, 0, -1, s[0:1]
	v_cmp_le_u32_e64 s[0:1], s74, v23
	v_cndmask_b32_e64 v23, 0, -1, s[0:1]
	v_cmp_eq_u32_e64 s[0:1], s75, v22
	v_cndmask_b32_e64 v22, v39, v23, s[0:1]
	v_add_co_u32_e64 v23, s[0:1], 2, v3
	v_subb_co_u32_e32 v21, vcc, v38, v21, vcc
	v_addc_co_u32_e64 v39, s[0:1], 0, v5, s[0:1]
	v_cmp_le_u32_e32 vcc, s75, v21
	v_add_co_u32_e64 v40, s[0:1], 1, v3
	v_cndmask_b32_e64 v38, 0, -1, vcc
	v_cmp_le_u32_e32 vcc, s74, v20
	v_addc_co_u32_e64 v41, s[0:1], 0, v5, s[0:1]
	v_cndmask_b32_e64 v20, 0, -1, vcc
	v_cmp_eq_u32_e32 vcc, s75, v21
	v_cmp_ne_u32_e64 s[0:1], 0, v22
	v_cndmask_b32_e32 v20, v38, v20, vcc
	v_cmp_ne_u32_e32 vcc, 0, v20
	v_cndmask_b32_e64 v20, v40, v23, s[0:1]
	v_cndmask_b32_e64 v22, v41, v39, s[0:1]
	v_cndmask_b32_e32 v3, v3, v20, vcc
	v_xor_b32_e32 v21, s72, v37
	v_cndmask_b32_e32 v5, v5, v22, vcc
	v_xor_b32_e32 v3, v3, v21
	v_xor_b32_e32 v5, v5, v21
	v_sub_co_u32_e32 v20, vcc, v3, v21
	v_subb_co_u32_e32 v21, vcc, v5, v21, vcc
	s_andn2_saveexec_b64 s[0:1], s[70:71]
	s_cbranch_execz .LBB31_49
.LBB31_61:                              ;   in Loop: Header=BB31_3 Depth=1
	v_cvt_f32_u32_e32 v3, s60
	s_sub_i32 s70, 0, s60
	v_rcp_iflag_f32_e32 v3, v3
	v_mul_f32_e32 v3, 0x4f7ffffe, v3
	v_cvt_u32_f32_e32 v3, v3
	v_mul_lo_u32 v5, s70, v3
	v_mul_hi_u32 v5, v3, v5
	v_add_u32_e32 v3, v3, v5
	v_mul_hi_u32 v3, v0, v3
	v_mul_lo_u32 v5, v3, s60
	v_sub_u32_e32 v5, v0, v5
	v_add_u32_e32 v20, 1, v3
	v_subrev_u32_e32 v21, s60, v5
	v_cmp_le_u32_e32 vcc, s60, v5
	v_cndmask_b32_e32 v5, v5, v21, vcc
	v_cndmask_b32_e32 v3, v3, v20, vcc
	v_add_u32_e32 v20, 1, v3
	v_cmp_le_u32_e32 vcc, s60, v5
	v_cndmask_b32_e32 v20, v3, v20, vcc
	v_mov_b32_e32 v21, v2
	s_or_b64 exec, exec, s[0:1]
	s_andn2_b64 vcc, exec, s[62:63]
	s_cbranch_vccz .LBB31_50
.LBB31_62:                              ;   in Loop: Header=BB31_3 Depth=1
	v_mov_b32_e32 v37, 0
	s_andn2_b64 vcc, exec, s[64:65]
	s_cbranch_vccz .LBB31_55
.LBB31_63:                              ;   in Loop: Header=BB31_3 Depth=1
	v_mov_b32_e32 v5, 0
.LBB31_64:                              ;   in Loop: Header=BB31_3 Depth=1
	s_waitcnt vmcnt(0)
	v_lshlrev_b32_e32 v3, 16, v36
	v_cmp_nlt_f32_e64 s[0:1], |v3|, s89
                                        ; implicit-def: $vgpr22
	s_and_saveexec_b64 s[70:71], s[0:1]
	s_xor_b64 s[0:1], exec, s[70:71]
	s_cbranch_execz .LBB31_66
; %bb.65:                               ;   in Loop: Header=BB31_3 Depth=1
	v_add_f32_e64 v22, |v3|, |v3|
	v_mul_f32_e32 v23, 0x3fb8aa3b, v22
	v_rndne_f32_e32 v36, v23
	v_sub_f32_e32 v38, v23, v36
	v_fma_f32 v23, v22, s90, -v23
	v_fmac_f32_e32 v23, 0x32a5705f, v22
	v_add_f32_e32 v23, v38, v23
	v_cvt_i32_f32_e32 v36, v36
	v_exp_f32_e32 v23, v23
	v_cmp_ngt_f32_e32 vcc, s91, v22
	v_ldexp_f32 v23, v23, v36
	v_cndmask_b32_e32 v23, 0, v23, vcc
	v_cmp_nlt_f32_e32 vcc, s92, v22
	v_cndmask_b32_e32 v22, v28, v23, vcc
	v_add_f32_e32 v22, 1.0, v22
	v_rcp_f32_e32 v22, v22
	v_fma_f32 v22, v22, -2.0, 1.0
.LBB31_66:                              ;   in Loop: Header=BB31_3 Depth=1
	s_andn2_saveexec_b64 s[0:1], s[0:1]
	s_cbranch_execz .LBB31_2
; %bb.67:                               ;   in Loop: Header=BB31_3 Depth=1
	v_mul_f32_e32 v22, v3, v3
	v_mov_b32_e32 v23, 0x3ca908c9
	v_fmac_f32_e32 v23, 0xbbbac73d, v22
	v_fma_f32 v23, v22, v23, v24
	v_fma_f32 v23, v22, v23, v25
	;; [unrolled: 1-line block ×3, first 2 shown]
	v_mul_f32_e64 v23, |v3|, v23
	v_fma_f32 v22, v22, v23, |v3|
	s_branch .LBB31_2
.LBB31_68:
	s_endpgm
	.section	.rodata,"a",@progbits
	.p2align	6, 0x0
	.amdhsa_kernel _ZN2at6native12_GLOBAL__N_16kernel18lstm_cell_backwardIN3c108BFloat16EflLi2EEEvNS_4cuda6detail10TensorInfoIT_T1_EESB_SB_SB_SB_SB_SB_SA_SA_
		.amdhsa_group_segment_fixed_size 0
		.amdhsa_private_segment_fixed_size 0
		.amdhsa_kernarg_size 3184
		.amdhsa_user_sgpr_count 6
		.amdhsa_user_sgpr_private_segment_buffer 1
		.amdhsa_user_sgpr_dispatch_ptr 0
		.amdhsa_user_sgpr_queue_ptr 0
		.amdhsa_user_sgpr_kernarg_segment_ptr 1
		.amdhsa_user_sgpr_dispatch_id 0
		.amdhsa_user_sgpr_flat_scratch_init 0
		.amdhsa_user_sgpr_kernarg_preload_length 0
		.amdhsa_user_sgpr_kernarg_preload_offset 0
		.amdhsa_user_sgpr_private_segment_size 0
		.amdhsa_uses_dynamic_stack 0
		.amdhsa_system_sgpr_private_segment_wavefront_offset 0
		.amdhsa_system_sgpr_workgroup_id_x 1
		.amdhsa_system_sgpr_workgroup_id_y 0
		.amdhsa_system_sgpr_workgroup_id_z 0
		.amdhsa_system_sgpr_workgroup_info 0
		.amdhsa_system_vgpr_workitem_id 0
		.amdhsa_next_free_vgpr 45
		.amdhsa_next_free_sgpr 95
		.amdhsa_accum_offset 48
		.amdhsa_reserve_vcc 1
		.amdhsa_reserve_flat_scratch 0
		.amdhsa_float_round_mode_32 0
		.amdhsa_float_round_mode_16_64 0
		.amdhsa_float_denorm_mode_32 3
		.amdhsa_float_denorm_mode_16_64 3
		.amdhsa_dx10_clamp 1
		.amdhsa_ieee_mode 1
		.amdhsa_fp16_overflow 0
		.amdhsa_tg_split 0
		.amdhsa_exception_fp_ieee_invalid_op 0
		.amdhsa_exception_fp_denorm_src 0
		.amdhsa_exception_fp_ieee_div_zero 0
		.amdhsa_exception_fp_ieee_overflow 0
		.amdhsa_exception_fp_ieee_underflow 0
		.amdhsa_exception_fp_ieee_inexact 0
		.amdhsa_exception_int_div_zero 0
	.end_amdhsa_kernel
	.section	.text._ZN2at6native12_GLOBAL__N_16kernel18lstm_cell_backwardIN3c108BFloat16EflLi2EEEvNS_4cuda6detail10TensorInfoIT_T1_EESB_SB_SB_SB_SB_SB_SA_SA_,"axG",@progbits,_ZN2at6native12_GLOBAL__N_16kernel18lstm_cell_backwardIN3c108BFloat16EflLi2EEEvNS_4cuda6detail10TensorInfoIT_T1_EESB_SB_SB_SB_SB_SB_SA_SA_,comdat
.Lfunc_end31:
	.size	_ZN2at6native12_GLOBAL__N_16kernel18lstm_cell_backwardIN3c108BFloat16EflLi2EEEvNS_4cuda6detail10TensorInfoIT_T1_EESB_SB_SB_SB_SB_SB_SA_SA_, .Lfunc_end31-_ZN2at6native12_GLOBAL__N_16kernel18lstm_cell_backwardIN3c108BFloat16EflLi2EEEvNS_4cuda6detail10TensorInfoIT_T1_EESB_SB_SB_SB_SB_SB_SA_SA_
                                        ; -- End function
	.section	.AMDGPU.csdata,"",@progbits
; Kernel info:
; codeLenInByte = 14328
; NumSgprs: 99
; NumVgprs: 45
; NumAgprs: 0
; TotalNumVgprs: 45
; ScratchSize: 0
; MemoryBound: 0
; FloatMode: 240
; IeeeMode: 1
; LDSByteSize: 0 bytes/workgroup (compile time only)
; SGPRBlocks: 12
; VGPRBlocks: 5
; NumSGPRsForWavesPerEU: 99
; NumVGPRsForWavesPerEU: 45
; AccumOffset: 48
; Occupancy: 8
; WaveLimiterHint : 1
; COMPUTE_PGM_RSRC2:SCRATCH_EN: 0
; COMPUTE_PGM_RSRC2:USER_SGPR: 6
; COMPUTE_PGM_RSRC2:TRAP_HANDLER: 0
; COMPUTE_PGM_RSRC2:TGID_X_EN: 1
; COMPUTE_PGM_RSRC2:TGID_Y_EN: 0
; COMPUTE_PGM_RSRC2:TGID_Z_EN: 0
; COMPUTE_PGM_RSRC2:TIDIG_COMP_CNT: 0
; COMPUTE_PGM_RSRC3_GFX90A:ACCUM_OFFSET: 11
; COMPUTE_PGM_RSRC3_GFX90A:TG_SPLIT: 0
	.section	.text._ZN2at6native12_GLOBAL__N_16kernel16gru_cell_forwardIddiLi1EEEvNS_4cuda6detail10TensorInfoIT_T1_EES9_S9_S9_S9_S9_S9_S8_S8_,"axG",@progbits,_ZN2at6native12_GLOBAL__N_16kernel16gru_cell_forwardIddiLi1EEEvNS_4cuda6detail10TensorInfoIT_T1_EES9_S9_S9_S9_S9_S9_S8_S8_,comdat
	.globl	_ZN2at6native12_GLOBAL__N_16kernel16gru_cell_forwardIddiLi1EEEvNS_4cuda6detail10TensorInfoIT_T1_EES9_S9_S9_S9_S9_S9_S8_S8_ ; -- Begin function _ZN2at6native12_GLOBAL__N_16kernel16gru_cell_forwardIddiLi1EEEvNS_4cuda6detail10TensorInfoIT_T1_EES9_S9_S9_S9_S9_S9_S8_S8_
	.p2align	8
	.type	_ZN2at6native12_GLOBAL__N_16kernel16gru_cell_forwardIddiLi1EEEvNS_4cuda6detail10TensorInfoIT_T1_EES9_S9_S9_S9_S9_S9_S8_S8_,@function
_ZN2at6native12_GLOBAL__N_16kernel16gru_cell_forwardIddiLi1EEEvNS_4cuda6detail10TensorInfoIT_T1_EES9_S9_S9_S9_S9_S9_S8_S8_: ; @_ZN2at6native12_GLOBAL__N_16kernel16gru_cell_forwardIddiLi1EEEvNS_4cuda6detail10TensorInfoIT_T1_EES9_S9_S9_S9_S9_S9_S8_S8_
; %bb.0:
	s_load_dword s2, s[4:5], 0x5fc
	s_load_dwordx2 s[8:9], s[4:5], 0x5e8
	s_add_u32 s0, s4, 0x5f0
	s_addc_u32 s1, s5, 0
	s_waitcnt lgkmcnt(0)
	s_and_b32 s2, s2, 0xffff
	s_mul_i32 s6, s6, s2
	v_add_u32_e32 v0, s6, v0
	v_cmp_gt_i32_e32 vcc, s9, v0
	s_and_saveexec_b64 s[6:7], vcc
	s_cbranch_execz .LBB32_5
; %bb.1:
	s_load_dwordx2 s[6:7], s[4:5], 0x1b0
	s_load_dwordx2 s[10:11], s[4:5], 0x0
	s_load_dword s33, s[4:5], 0x6c
	s_load_dwordx2 s[12:13], s[4:5], 0xd8
	s_load_dword s66, s[4:5], 0x144
	s_load_dword s67, s[4:5], 0x21c
	s_load_dwordx2 s[14:15], s[4:5], 0x288
	s_load_dword s68, s[4:5], 0x2f4
	s_waitcnt lgkmcnt(0)
	s_cmp_lg_u64 s[6:7], 0
	s_cselect_b64 s[22:23], -1, 0
	s_abs_i32 s69, s8
	v_cvt_f32_u32_e32 v1, s69
	s_load_dwordx2 s[16:17], s[4:5], 0x360
	s_load_dword s3, s[4:5], 0x3cc
	s_load_dwordx2 s[18:19], s[4:5], 0x438
	s_load_dword s24, s[4:5], 0x4a4
	s_load_dword s71, s[0:1], 0x0
	s_load_dwordx2 s[20:21], s[4:5], 0x510
	s_load_dword s70, s[4:5], 0x57c
	s_sub_i32 s0, 0, s69
	v_rcp_iflag_f32_e32 v1, v1
	s_waitcnt lgkmcnt(0)
	v_mul_lo_u32 v4, v0, s24
	s_mul_i32 s71, s71, s2
	s_mul_i32 s77, s71, s24
	v_mul_f32_e32 v1, 0x4f7ffffe, v1
	v_cvt_u32_f32_e32 v1, v1
	v_cndmask_b32_e64 v3, 0, 1, s[22:23]
	s_mov_b32 s22, 0x652b82fe
	s_mov_b32 s24, 0xfefa39ef
	v_mul_lo_u32 v2, s0, v1
	v_mul_hi_u32 v2, v1, v2
	s_mov_b32 s26, 0x3b39803f
	s_mov_b32 s28, 0xfca7ab0c
	;; [unrolled: 1-line block ×17, first 2 shown]
	s_mov_b64 s[4:5], 0
	s_ashr_i32 s72, s8, 31
	v_add_u32_e32 v1, v1, v2
	s_lshl_b32 s73, s8, 1
	s_lshl_b32 s74, s8, 2
	s_sub_i32 s75, 0, s8
	v_mul_lo_u32 v2, v0, s3
	s_mul_i32 s76, s71, s3
	v_mov_b32_e32 v32, s11
	v_mov_b32_e32 v33, s13
	;; [unrolled: 1-line block ×3, first 2 shown]
	v_cmp_ne_u32_e64 s[0:1], 1, v3
	s_mov_b32 s23, 0xbff71547
	s_mov_b32 s25, 0xbfe62e42
	;; [unrolled: 1-line block ×15, first 2 shown]
	s_brev_b32 s11, -2
	s_mov_b32 s55, 0x3ff71547
	s_mov_b32 s56, 0xfefa3000
	;; [unrolled: 1-line block ×6, first 2 shown]
	v_mov_b32_e32 v35, 0x3ff00000
	s_branch .LBB32_3
.LBB32_2:                               ;   in Loop: Header=BB32_3 Depth=1
	s_waitcnt vmcnt(3)
	v_add_f64 v[10:11], v[10:11], v[12:13]
	v_add_f64 v[10:11], v[10:11], v[28:29]
	s_waitcnt vmcnt(2)
	v_add_f64 v[28:29], v[30:31], v[10:11]
	v_mul_f64 v[10:11], v[28:29], s[22:23]
	v_rndne_f64_e32 v[10:11], v[10:11]
	v_fma_f64 v[12:13], v[10:11], s[24:25], -v[28:29]
	v_fmac_f64_e32 v[12:13], s[26:27], v[10:11]
	v_pk_mov_b32 v[30:31], s[28:29], s[28:29] op_sel:[0,1]
	v_fma_f64 v[42:43], s[30:31], v[12:13], v[30:31]
	v_fma_f64 v[42:43], v[12:13], v[42:43], s[34:35]
	;; [unrolled: 1-line block ×4, first 2 shown]
	v_add_f64 v[16:17], v[16:17], v[18:19]
	v_fma_f64 v[42:43], v[12:13], v[42:43], s[40:41]
	v_add_f64 v[16:17], v[16:17], v[24:25]
	v_fma_f64 v[42:43], v[12:13], v[42:43], s[42:43]
	s_waitcnt vmcnt(1)
	v_add_f64 v[18:19], v[16:17], v[26:27]
	v_fma_f64 v[42:43], v[12:13], v[42:43], s[44:45]
	v_mul_f64 v[16:17], v[18:19], s[22:23]
	v_fma_f64 v[42:43], v[12:13], v[42:43], s[46:47]
	v_rndne_f64_e32 v[16:17], v[16:17]
	v_fma_f64 v[42:43], v[12:13], v[42:43], s[48:49]
	v_fma_f64 v[24:25], v[16:17], s[24:25], -v[18:19]
	v_ashrrev_i32_e32 v5, 31, v4
	v_fma_f64 v[42:43], v[12:13], v[42:43], 1.0
	v_fmac_f64_e32 v[24:25], s[26:27], v[16:17]
	v_lshlrev_b64 v[40:41], 3, v[4:5]
	v_fma_f64 v[12:13], v[12:13], v[42:43], 1.0
	v_cvt_i32_f64_e32 v5, v[10:11]
	v_fma_f64 v[26:27], s[30:31], v[24:25], v[30:31]
	v_ldexp_f64 v[10:11], v[12:13], v5
	v_fma_f64 v[26:27], v[24:25], v[26:27], s[34:35]
	v_add_f64 v[42:43], v[10:11], 1.0
	v_fma_f64 v[26:27], v[24:25], v[26:27], s[36:37]
	v_div_scale_f64 v[44:45], s[2:3], v[42:43], v[42:43], 1.0
	v_fma_f64 v[26:27], v[24:25], v[26:27], s[38:39]
	v_rcp_f64_e32 v[46:47], v[44:45]
	v_fma_f64 v[26:27], v[24:25], v[26:27], s[40:41]
	v_fma_f64 v[26:27], v[24:25], v[26:27], s[42:43]
	;; [unrolled: 1-line block ×4, first 2 shown]
	v_mad_u64_u32 v[12:13], s[2:3], s74, v38, v[0:1]
	v_fma_f64 v[38:39], -v[44:45], v[46:47], 1.0
	v_fma_f64 v[26:27], v[24:25], v[26:27], s[48:49]
	v_mov_b32_e32 v3, s19
	v_add_co_u32_e32 v10, vcc, s18, v40
	v_fmac_f64_e32 v[46:47], v[46:47], v[38:39]
	v_fma_f64 v[26:27], v[24:25], v[26:27], 1.0
	v_addc_co_u32_e32 v11, vcc, v3, v41, vcc
	v_fma_f64 v[38:39], -v[44:45], v[46:47], 1.0
	v_fma_f64 v[24:25], v[24:25], v[26:27], 1.0
	v_cvt_i32_f64_e32 v5, v[16:17]
	v_fmac_f64_e32 v[46:47], v[46:47], v[38:39]
	v_div_scale_f64 v[38:39], vcc, 1.0, v[42:43], 1.0
	v_ldexp_f64 v[16:17], v[24:25], v5
	v_mul_f64 v[40:41], v[38:39], v[46:47]
	v_add_f64 v[24:25], v[16:17], 1.0
	v_fma_f64 v[38:39], -v[44:45], v[40:41], v[38:39]
	v_div_scale_f64 v[26:27], s[2:3], v[24:25], v[24:25], 1.0
	v_div_fmas_f64 v[38:39], v[38:39], v[46:47], v[40:41]
	v_rcp_f64_e32 v[40:41], v[26:27]
	v_cmp_ngt_f64_e32 vcc, s[50:51], v[28:29]
	v_cmp_nlt_f64_e64 s[2:3], s[52:53], v[28:29]
	v_div_fixup_f64 v[38:39], v[38:39], v[42:43], 1.0
	v_fma_f64 v[28:29], -v[26:27], v[40:41], 1.0
	v_fmac_f64_e32 v[40:41], v[40:41], v[28:29]
	v_cndmask_b32_e32 v3, 0, v39, vcc
	s_and_b64 vcc, s[2:3], vcc
	v_fma_f64 v[28:29], -v[26:27], v[40:41], 1.0
	v_cndmask_b32_e32 v16, 0, v38, vcc
	v_fmac_f64_e32 v[40:41], v[40:41], v[28:29]
	v_div_scale_f64 v[28:29], vcc, 1.0, v[24:25], 1.0
	v_cndmask_b32_e64 v17, v35, v3, s[2:3]
	v_mul_f64 v[38:39], v[28:29], v[40:41]
	v_add_f64 v[20:21], v[8:9], v[20:21]
	s_waitcnt vmcnt(0)
	v_add_f64 v[8:9], v[14:15], v[22:23]
	v_fma_f64 v[26:27], -v[26:27], v[38:39], v[28:29]
	v_fmac_f64_e32 v[20:21], v[8:9], v[16:17]
	s_mov_b32 s54, s22
	v_div_fmas_f64 v[26:27], v[26:27], v[40:41], v[38:39]
	v_mul_f64 v[14:15], |v[20:21]|, s[54:55]
	v_div_fixup_f64 v[24:25], v[26:27], v[24:25], 1.0
	v_cmp_ngt_f64_e32 vcc, s[50:51], v[18:19]
	v_cmp_nlt_f64_e64 s[2:3], s[52:53], v[18:19]
	v_rndne_f64_e32 v[14:15], v[14:15]
	s_mov_b32 s57, s25
	v_cndmask_b32_e32 v3, 0, v25, vcc
	s_and_b64 vcc, s[2:3], vcc
	v_fma_f64 v[22:23], v[14:15], s[56:57], |v[20:21]|
	v_cndmask_b32_e32 v18, 0, v24, vcc
	v_add_f64 v[24:25], v[22:23], 0
	v_mul_f64 v[26:27], v[14:15], s[58:59]
	v_add_f64 v[28:29], v[24:25], v[26:27]
	v_add_f64 v[22:23], v[22:23], -v[24:25]
	v_add_f64 v[24:25], v[24:25], -v[28:29]
	v_add_f64 v[22:23], v[22:23], 0
	v_add_f64 v[24:25], v[24:25], v[26:27]
	;; [unrolled: 1-line block ×4, first 2 shown]
	v_add_f64 v[26:27], v[28:29], -v[24:25]
	v_add_f64 v[22:23], v[22:23], v[26:27]
	v_mul_f64 v[26:27], v[14:15], s[60:61]
	v_add_f64 v[28:29], v[24:25], v[26:27]
	v_add_f64 v[24:25], v[24:25], -v[28:29]
	v_add_f64 v[24:25], v[24:25], v[26:27]
	v_add_f64 v[22:23], v[22:23], v[24:25]
	;; [unrolled: 1-line block ×3, first 2 shown]
	v_add_f64 v[26:27], v[28:29], -v[24:25]
	v_add_f64 v[22:23], v[22:23], v[26:27]
	v_fma_f64 v[26:27], s[30:31], v[24:25], v[30:31]
	v_fma_f64 v[26:27], v[24:25], v[26:27], s[34:35]
	;; [unrolled: 1-line block ×5, first 2 shown]
	v_mul_f64 v[28:29], v[24:25], v[24:25]
	v_fma_f64 v[26:27], v[24:25], v[26:27], s[42:43]
	v_fma_f64 v[30:31], v[24:25], v[24:25], -v[28:29]
	v_add_f64 v[38:39], v[22:23], v[22:23]
	v_fma_f64 v[26:27], v[24:25], v[26:27], s[44:45]
	v_fmac_f64_e32 v[30:31], v[24:25], v[38:39]
	v_fma_f64 v[26:27], v[24:25], v[26:27], s[46:47]
	v_add_f64 v[38:39], v[28:29], v[30:31]
	v_fma_f64 v[26:27], v[24:25], v[26:27], s[48:49]
	v_add_f64 v[28:29], v[38:39], -v[28:29]
	v_add_f64 v[28:29], v[30:31], -v[28:29]
	v_mul_f64 v[30:31], v[38:39], v[26:27]
	v_fma_f64 v[38:39], v[38:39], v[26:27], -v[30:31]
	v_fmac_f64_e32 v[38:39], v[28:29], v[26:27]
	v_add_f64 v[26:27], v[30:31], v[38:39]
	v_add_f64 v[28:29], v[26:27], -v[30:31]
	v_add_f64 v[30:31], v[24:25], v[26:27]
	v_add_f64 v[28:29], v[38:39], -v[28:29]
	v_add_f64 v[24:25], v[30:31], -v[24:25]
	;; [unrolled: 1-line block ×3, first 2 shown]
	v_add_f64 v[22:23], v[22:23], v[28:29]
	v_add_f64 v[22:23], v[22:23], v[24:25]
	;; [unrolled: 1-line block ×3, first 2 shown]
	v_add_f64 v[26:27], v[24:25], -v[30:31]
	v_add_f64 v[22:23], v[22:23], -v[26:27]
	v_add_f64 v[26:27], v[24:25], 1.0
	v_add_f64 v[28:29], v[26:27], -1.0
	v_add_f64 v[24:25], v[24:25], -v[28:29]
	v_add_f64 v[22:23], v[22:23], v[24:25]
	v_add_f64 v[24:25], v[26:27], v[22:23]
	v_cvt_i32_f64_e32 v5, v[14:15]
	v_ldexp_f64 v[14:15], v[24:25], v5
	v_rcp_f64_e32 v[28:29], v[14:15]
	v_add_f64 v[24:25], v[24:25], -v[26:27]
	v_add_f64 v[22:23], v[22:23], -v[24:25]
	v_ldexp_f64 v[22:23], v[22:23], v5
	v_fma_f64 v[24:25], -v[14:15], v[28:29], 1.0
	v_fmac_f64_e32 v[28:29], v[24:25], v[28:29]
	v_fma_f64 v[24:25], -v[14:15], v[28:29], 1.0
	v_fmac_f64_e32 v[28:29], v[24:25], v[28:29]
	v_mul_f64 v[24:25], v[14:15], v[28:29]
	v_fma_f64 v[26:27], v[28:29], v[14:15], -v[24:25]
	v_fmac_f64_e32 v[26:27], v[28:29], v[22:23]
	v_add_f64 v[30:31], v[24:25], v[26:27]
	v_add_f64 v[38:39], -v[30:31], 1.0
	v_add_f64 v[24:25], v[30:31], -v[24:25]
	v_add_f64 v[40:41], -v[38:39], 1.0
	v_add_f64 v[30:31], v[40:41], -v[30:31]
	v_add_f64 v[24:25], v[24:25], -v[26:27]
	v_add_f64 v[24:25], v[24:25], v[30:31]
	v_add_f64 v[26:27], v[38:39], v[24:25]
	v_add_f64 v[30:31], v[38:39], -v[26:27]
	v_add_f64 v[24:25], v[24:25], v[30:31]
	v_mul_f64 v[30:31], v[28:29], v[26:27]
	v_mul_f64 v[38:39], v[14:15], v[30:31]
	v_fma_f64 v[40:41], v[30:31], v[14:15], -v[38:39]
	v_fmac_f64_e32 v[40:41], v[30:31], v[22:23]
	v_add_f64 v[42:43], v[38:39], v[40:41]
	v_add_f64 v[44:45], v[26:27], -v[42:43]
	v_add_f64 v[26:27], v[26:27], -v[44:45]
	;; [unrolled: 1-line block ×4, first 2 shown]
	v_add_f64 v[24:25], v[24:25], v[26:27]
	v_add_f64 v[26:27], v[38:39], -v[40:41]
	v_add_f64 v[24:25], v[26:27], v[24:25]
	v_add_f64 v[24:25], v[44:45], v[24:25]
	;; [unrolled: 1-line block ×3, first 2 shown]
	v_mul_f64 v[24:25], v[28:29], v[24:25]
	v_add_f64 v[28:29], v[26:27], -v[28:29]
	v_add_f64 v[28:29], v[30:31], -v[28:29]
	v_add_f64 v[24:25], v[28:29], v[24:25]
	v_add_f64 v[28:29], v[26:27], v[24:25]
	v_add_f64 v[26:27], v[28:29], -v[26:27]
	v_add_f64 v[24:25], v[24:25], -v[26:27]
	;; [unrolled: 1-line block ×4, first 2 shown]
	v_add_f64 v[40:41], v[14:15], v[28:29]
	v_add_f64 v[30:31], v[30:31], -v[28:29]
	v_add_f64 v[14:15], v[40:41], -v[14:15]
	v_add_f64 v[30:31], v[22:23], v[30:31]
	v_add_f64 v[14:15], v[28:29], -v[14:15]
	v_add_f64 v[22:23], v[22:23], v[24:25]
	v_add_f64 v[14:15], v[22:23], v[14:15]
	;; [unrolled: 1-line block ×3, first 2 shown]
	v_add_f64 v[30:31], v[30:31], -v[24:25]
	v_rcp_f64_e32 v[24:25], v[22:23]
	v_add_f64 v[28:29], v[22:23], -v[40:41]
	v_add_f64 v[14:15], v[14:15], -v[28:29]
	v_add_f64 v[38:39], v[26:27], v[30:31]
	v_fma_f64 v[28:29], -v[22:23], v[24:25], 1.0
	v_fmac_f64_e32 v[24:25], v[28:29], v[24:25]
	v_fma_f64 v[28:29], -v[22:23], v[24:25], 1.0
	v_fmac_f64_e32 v[24:25], v[28:29], v[24:25]
	v_add_f64 v[26:27], v[38:39], -v[26:27]
	v_mul_f64 v[28:29], v[38:39], v[24:25]
	v_add_f64 v[26:27], v[30:31], -v[26:27]
	v_mul_f64 v[30:31], v[22:23], v[28:29]
	v_fma_f64 v[22:23], v[28:29], v[22:23], -v[30:31]
	v_fmac_f64_e32 v[22:23], v[28:29], v[14:15]
	v_add_f64 v[14:15], v[30:31], v[22:23]
	v_add_f64 v[30:31], v[14:15], -v[30:31]
	v_add_f64 v[22:23], v[22:23], -v[30:31]
	;; [unrolled: 1-line block ×6, first 2 shown]
	v_add_f64 v[14:15], v[26:27], v[14:15]
	v_add_f64 v[14:15], v[30:31], v[14:15]
	v_mul_f64 v[14:15], v[24:25], v[14:15]
	v_add_f64 v[14:15], v[28:29], v[14:15]
	v_cmp_ngt_f64_e64 vcc, |v[20:21]|, s[62:63]
	v_cndmask_b32_e64 v19, v35, v3, s[2:3]
	v_and_b32_e32 v3, 0x7fffffff, v21
	v_cndmask_b32_e32 v5, v35, v15, vcc
	v_cndmask_b32_e32 v13, 0, v14, vcc
	v_cmp_lt_f64_e64 vcc, |v[20:21]|, s[64:65]
	v_cndmask_b32_e32 v3, v5, v3, vcc
	v_cndmask_b32_e32 v14, v13, v20, vcc
	v_bfi_b32 v15, s11, v3, v21
	v_add_f64 v[20:21], v[6:7], -v[14:15]
	v_fma_f64 v[20:21], v[18:19], v[20:21], v[14:15]
	global_store_dwordx2 v[10:11], v[20:21], off
	v_mul_lo_u32 v10, v12, s70
	v_ashrrev_i32_e32 v11, 31, v10
	v_lshlrev_b64 v[10:11], 3, v[10:11]
	v_mov_b32_e32 v3, s21
	v_add_co_u32_e32 v10, vcc, s20, v10
	v_addc_co_u32_e32 v11, vcc, v3, v11, vcc
	global_store_dwordx2 v[10:11], v[16:17], off
	v_lshlrev_b32_e32 v5, 2, v37
	v_lshlrev_b32_e32 v10, 2, v36
	v_sub_u32_e32 v5, v5, v10
	v_or_b32_e32 v10, 1, v5
	v_mad_u64_u32 v[10:11], s[2:3], s8, v10, v[0:1]
	v_mul_lo_u32 v10, v10, s70
	v_ashrrev_i32_e32 v11, 31, v10
	v_lshlrev_b64 v[10:11], 3, v[10:11]
	v_add_co_u32_e32 v10, vcc, s20, v10
	v_addc_co_u32_e32 v11, vcc, v3, v11, vcc
	global_store_dwordx2 v[10:11], v[18:19], off
	v_or_b32_e32 v10, 2, v5
	v_mad_u64_u32 v[10:11], s[2:3], s8, v10, v[0:1]
	v_mul_lo_u32 v10, v10, s70
	v_ashrrev_i32_e32 v11, 31, v10
	v_lshlrev_b64 v[10:11], 3, v[10:11]
	v_add_co_u32_e32 v10, vcc, s20, v10
	v_addc_co_u32_e32 v11, vcc, v3, v11, vcc
	global_store_dwordx2 v[10:11], v[14:15], off
	v_or_b32_e32 v10, 3, v5
	v_mad_u64_u32 v[10:11], s[2:3], s8, v10, v[0:1]
	v_mul_lo_u32 v10, v10, s70
	v_ashrrev_i32_e32 v11, 31, v10
	v_lshlrev_b64 v[10:11], 3, v[10:11]
	v_add_co_u32_e32 v10, vcc, s20, v10
	v_addc_co_u32_e32 v11, vcc, v3, v11, vcc
	v_add_u32_e32 v5, 4, v5
	global_store_dwordx2 v[10:11], v[6:7], off
	v_mad_u64_u32 v[6:7], s[2:3], s8, v5, v[0:1]
	v_mul_lo_u32 v6, v6, s70
	v_ashrrev_i32_e32 v7, 31, v6
	v_lshlrev_b64 v[6:7], 3, v[6:7]
	v_add_co_u32_e32 v6, vcc, s20, v6
	v_addc_co_u32_e32 v7, vcc, v3, v7, vcc
	v_add_u32_e32 v0, s71, v0
	v_cmp_le_i32_e32 vcc, s9, v0
	v_add_u32_e32 v2, s76, v2
	s_or_b64 s[4:5], vcc, s[4:5]
	v_add_u32_e32 v4, s77, v4
	global_store_dwordx2 v[6:7], v[8:9], off
	s_andn2_b64 exec, exec, s[4:5]
	s_cbranch_execz .LBB32_5
.LBB32_3:                               ; =>This Inner Loop Header: Depth=1
	v_ashrrev_i32_e32 v3, 31, v0
	v_xor_b32_e32 v36, s72, v3
	v_sub_u32_e32 v3, 0, v0
	v_max_i32_e32 v3, v0, v3
	v_mul_hi_u32 v5, v3, v1
	v_mul_lo_u32 v6, v5, s69
	v_sub_u32_e32 v3, v3, v6
	v_add_u32_e32 v6, 1, v5
	v_cmp_le_u32_e32 vcc, s69, v3
	v_cndmask_b32_e32 v5, v5, v6, vcc
	v_subrev_u32_e32 v6, s69, v3
	v_cndmask_b32_e32 v3, v3, v6, vcc
	v_add_u32_e32 v6, 1, v5
	v_cmp_le_u32_e32 vcc, s69, v3
	v_cndmask_b32_e32 v3, v5, v6, vcc
	v_xor_b32_e32 v37, v3, v36
	v_sub_u32_e32 v38, v37, v36
	v_lshlrev_b32_e32 v3, 1, v37
	v_lshlrev_b32_e32 v5, 1, v36
	v_mad_u64_u32 v[6:7], s[2:3], s73, v38, v[0:1]
	v_sub_u32_e32 v3, v3, v5
	v_mul_lo_u32 v8, v6, s33
	v_or_b32_e32 v5, 1, v3
	v_ashrrev_i32_e32 v9, 31, v8
	v_mad_u64_u32 v[12:13], s[2:3], s8, v5, v[0:1]
	v_lshlrev_b64 v[8:9], 3, v[8:9]
	v_mul_lo_u32 v10, v12, s33
	v_add_co_u32_e32 v8, vcc, s10, v8
	v_ashrrev_i32_e32 v11, 31, v10
	v_add_u32_e32 v3, 2, v3
	v_addc_co_u32_e32 v9, vcc, v32, v9, vcc
	v_lshlrev_b64 v[10:11], 3, v[10:11]
	v_mad_u64_u32 v[18:19], s[2:3], s8, v3, v[0:1]
	v_add_co_u32_e32 v14, vcc, s10, v10
	v_mul_lo_u32 v10, v18, s33
	v_addc_co_u32_e32 v15, vcc, v32, v11, vcc
	v_ashrrev_i32_e32 v11, 31, v10
	v_lshlrev_b64 v[10:11], 3, v[10:11]
	v_mul_lo_u32 v6, v6, s66
	v_add_co_u32_e32 v20, vcc, s10, v10
	v_ashrrev_i32_e32 v7, 31, v6
	v_addc_co_u32_e32 v21, vcc, v32, v11, vcc
	v_lshlrev_b64 v[6:7], 3, v[6:7]
	v_mul_lo_u32 v12, v12, s66
	v_add_co_u32_e32 v6, vcc, s12, v6
	v_ashrrev_i32_e32 v13, 31, v12
	v_addc_co_u32_e32 v7, vcc, v33, v7, vcc
	v_lshlrev_b64 v[12:13], 3, v[12:13]
	global_load_dwordx2 v[10:11], v[8:9], off
	global_load_dwordx2 v[16:17], v[14:15], off
	s_nop 0
	global_load_dwordx2 v[8:9], v[20:21], off
	v_add_co_u32_e32 v14, vcc, s12, v12
	v_mul_lo_u32 v12, v18, s66
	v_addc_co_u32_e32 v15, vcc, v33, v13, vcc
	v_ashrrev_i32_e32 v13, 31, v12
	v_lshlrev_b64 v[12:13], 3, v[12:13]
	v_add_co_u32_e32 v20, vcc, s12, v12
	v_ashrrev_i32_e32 v3, 31, v2
	v_addc_co_u32_e32 v21, vcc, v33, v13, vcc
	global_load_dwordx2 v[12:13], v[6:7], off
	global_load_dwordx2 v[18:19], v[14:15], off
	s_nop 0
	global_load_dwordx2 v[14:15], v[20:21], off
	v_lshlrev_b64 v[6:7], 3, v[2:3]
	v_add_co_u32_e32 v6, vcc, s16, v6
	v_addc_co_u32_e32 v7, vcc, v34, v7, vcc
	global_load_dwordx2 v[6:7], v[6:7], off
	v_pk_mov_b32 v[24:25], 0, 0
	s_and_b64 vcc, exec, s[0:1]
	v_pk_mov_b32 v[20:21], v[24:25], v[24:25] op_sel:[0,1]
	v_pk_mov_b32 v[30:31], v[24:25], v[24:25] op_sel:[0,1]
	;; [unrolled: 1-line block ×5, first 2 shown]
	s_cbranch_vccnz .LBB32_2
; %bb.4:                                ;   in Loop: Header=BB32_3 Depth=1
	v_mad_u64_u32 v[22:23], s[2:3], s75, v38, v[0:1]
	v_sub_u32_e32 v5, v36, v37
	v_mul_lo_u32 v20, v22, s67
	v_mul_lo_u32 v23, s8, v5
	v_ashrrev_i32_e32 v21, 31, v20
	v_add3_u32 v39, v23, s8, v0
	v_lshlrev_b64 v[20:21], 3, v[20:21]
	v_mul_lo_u32 v24, v39, s67
	v_add_u32_e32 v5, 2, v5
	v_mov_b32_e32 v3, s7
	v_add_co_u32_e32 v20, vcc, s6, v20
	v_ashrrev_i32_e32 v25, 31, v24
	v_mad_u64_u32 v[26:27], s[2:3], s8, v5, v[0:1]
	v_addc_co_u32_e32 v21, vcc, v3, v21, vcc
	v_lshlrev_b64 v[24:25], 3, v[24:25]
	v_mul_lo_u32 v28, v26, s67
	v_add_co_u32_e32 v24, vcc, s6, v24
	v_ashrrev_i32_e32 v29, 31, v28
	v_addc_co_u32_e32 v25, vcc, v3, v25, vcc
	v_lshlrev_b64 v[28:29], 3, v[28:29]
	v_mul_lo_u32 v22, v22, s68
	v_add_co_u32_e32 v30, vcc, s6, v28
	v_ashrrev_i32_e32 v23, 31, v22
	v_addc_co_u32_e32 v31, vcc, v3, v29, vcc
	global_load_dwordx2 v[28:29], v[20:21], off
	s_nop 0
	global_load_dwordx2 v[24:25], v[24:25], off
	s_nop 0
	global_load_dwordx2 v[20:21], v[30:31], off
	v_lshlrev_b64 v[22:23], 3, v[22:23]
	v_mul_lo_u32 v30, v39, s68
	v_mov_b32_e32 v3, s15
	v_add_co_u32_e32 v22, vcc, s14, v22
	v_ashrrev_i32_e32 v31, 31, v30
	v_addc_co_u32_e32 v23, vcc, v3, v23, vcc
	v_lshlrev_b64 v[30:31], 3, v[30:31]
	v_mul_lo_u32 v26, v26, s68
	v_add_co_u32_e32 v40, vcc, s14, v30
	v_ashrrev_i32_e32 v27, 31, v26
	v_addc_co_u32_e32 v41, vcc, v3, v31, vcc
	v_lshlrev_b64 v[26:27], 3, v[26:27]
	v_add_co_u32_e32 v42, vcc, s14, v26
	v_addc_co_u32_e32 v43, vcc, v3, v27, vcc
	global_load_dwordx2 v[30:31], v[22:23], off
	global_load_dwordx2 v[26:27], v[40:41], off
	s_nop 0
	global_load_dwordx2 v[22:23], v[42:43], off
	s_branch .LBB32_2
.LBB32_5:
	s_endpgm
	.section	.rodata,"a",@progbits
	.p2align	6, 0x0
	.amdhsa_kernel _ZN2at6native12_GLOBAL__N_16kernel16gru_cell_forwardIddiLi1EEEvNS_4cuda6detail10TensorInfoIT_T1_EES9_S9_S9_S9_S9_S9_S8_S8_
		.amdhsa_group_segment_fixed_size 0
		.amdhsa_private_segment_fixed_size 0
		.amdhsa_kernarg_size 1776
		.amdhsa_user_sgpr_count 6
		.amdhsa_user_sgpr_private_segment_buffer 1
		.amdhsa_user_sgpr_dispatch_ptr 0
		.amdhsa_user_sgpr_queue_ptr 0
		.amdhsa_user_sgpr_kernarg_segment_ptr 1
		.amdhsa_user_sgpr_dispatch_id 0
		.amdhsa_user_sgpr_flat_scratch_init 0
		.amdhsa_user_sgpr_kernarg_preload_length 0
		.amdhsa_user_sgpr_kernarg_preload_offset 0
		.amdhsa_user_sgpr_private_segment_size 0
		.amdhsa_uses_dynamic_stack 0
		.amdhsa_system_sgpr_private_segment_wavefront_offset 0
		.amdhsa_system_sgpr_workgroup_id_x 1
		.amdhsa_system_sgpr_workgroup_id_y 0
		.amdhsa_system_sgpr_workgroup_id_z 0
		.amdhsa_system_sgpr_workgroup_info 0
		.amdhsa_system_vgpr_workitem_id 0
		.amdhsa_next_free_vgpr 48
		.amdhsa_next_free_sgpr 78
		.amdhsa_accum_offset 48
		.amdhsa_reserve_vcc 1
		.amdhsa_reserve_flat_scratch 0
		.amdhsa_float_round_mode_32 0
		.amdhsa_float_round_mode_16_64 0
		.amdhsa_float_denorm_mode_32 3
		.amdhsa_float_denorm_mode_16_64 3
		.amdhsa_dx10_clamp 1
		.amdhsa_ieee_mode 1
		.amdhsa_fp16_overflow 0
		.amdhsa_tg_split 0
		.amdhsa_exception_fp_ieee_invalid_op 0
		.amdhsa_exception_fp_denorm_src 0
		.amdhsa_exception_fp_ieee_div_zero 0
		.amdhsa_exception_fp_ieee_overflow 0
		.amdhsa_exception_fp_ieee_underflow 0
		.amdhsa_exception_fp_ieee_inexact 0
		.amdhsa_exception_int_div_zero 0
	.end_amdhsa_kernel
	.section	.text._ZN2at6native12_GLOBAL__N_16kernel16gru_cell_forwardIddiLi1EEEvNS_4cuda6detail10TensorInfoIT_T1_EES9_S9_S9_S9_S9_S9_S8_S8_,"axG",@progbits,_ZN2at6native12_GLOBAL__N_16kernel16gru_cell_forwardIddiLi1EEEvNS_4cuda6detail10TensorInfoIT_T1_EES9_S9_S9_S9_S9_S9_S8_S8_,comdat
.Lfunc_end32:
	.size	_ZN2at6native12_GLOBAL__N_16kernel16gru_cell_forwardIddiLi1EEEvNS_4cuda6detail10TensorInfoIT_T1_EES9_S9_S9_S9_S9_S9_S8_S8_, .Lfunc_end32-_ZN2at6native12_GLOBAL__N_16kernel16gru_cell_forwardIddiLi1EEEvNS_4cuda6detail10TensorInfoIT_T1_EES9_S9_S9_S9_S9_S9_S8_S8_
                                        ; -- End function
	.section	.AMDGPU.csdata,"",@progbits
; Kernel info:
; codeLenInByte = 3348
; NumSgprs: 82
; NumVgprs: 48
; NumAgprs: 0
; TotalNumVgprs: 48
; ScratchSize: 0
; MemoryBound: 0
; FloatMode: 240
; IeeeMode: 1
; LDSByteSize: 0 bytes/workgroup (compile time only)
; SGPRBlocks: 10
; VGPRBlocks: 5
; NumSGPRsForWavesPerEU: 82
; NumVGPRsForWavesPerEU: 48
; AccumOffset: 48
; Occupancy: 8
; WaveLimiterHint : 1
; COMPUTE_PGM_RSRC2:SCRATCH_EN: 0
; COMPUTE_PGM_RSRC2:USER_SGPR: 6
; COMPUTE_PGM_RSRC2:TRAP_HANDLER: 0
; COMPUTE_PGM_RSRC2:TGID_X_EN: 1
; COMPUTE_PGM_RSRC2:TGID_Y_EN: 0
; COMPUTE_PGM_RSRC2:TGID_Z_EN: 0
; COMPUTE_PGM_RSRC2:TIDIG_COMP_CNT: 0
; COMPUTE_PGM_RSRC3_GFX90A:ACCUM_OFFSET: 11
; COMPUTE_PGM_RSRC3_GFX90A:TG_SPLIT: 0
	.section	.text._ZN2at6native12_GLOBAL__N_16kernel16gru_cell_forwardIddiLi2EEEvNS_4cuda6detail10TensorInfoIT_T1_EES9_S9_S9_S9_S9_S9_S8_S8_,"axG",@progbits,_ZN2at6native12_GLOBAL__N_16kernel16gru_cell_forwardIddiLi2EEEvNS_4cuda6detail10TensorInfoIT_T1_EES9_S9_S9_S9_S9_S9_S8_S8_,comdat
	.globl	_ZN2at6native12_GLOBAL__N_16kernel16gru_cell_forwardIddiLi2EEEvNS_4cuda6detail10TensorInfoIT_T1_EES9_S9_S9_S9_S9_S9_S8_S8_ ; -- Begin function _ZN2at6native12_GLOBAL__N_16kernel16gru_cell_forwardIddiLi2EEEvNS_4cuda6detail10TensorInfoIT_T1_EES9_S9_S9_S9_S9_S9_S8_S8_
	.p2align	8
	.type	_ZN2at6native12_GLOBAL__N_16kernel16gru_cell_forwardIddiLi2EEEvNS_4cuda6detail10TensorInfoIT_T1_EES9_S9_S9_S9_S9_S9_S8_S8_,@function
_ZN2at6native12_GLOBAL__N_16kernel16gru_cell_forwardIddiLi2EEEvNS_4cuda6detail10TensorInfoIT_T1_EES9_S9_S9_S9_S9_S9_S8_S8_: ; @_ZN2at6native12_GLOBAL__N_16kernel16gru_cell_forwardIddiLi2EEEvNS_4cuda6detail10TensorInfoIT_T1_EES9_S9_S9_S9_S9_S9_S8_S8_
; %bb.0:
	s_load_dword s0, s[4:5], 0x5fc
	s_load_dwordx2 s[8:9], s[4:5], 0x5e8
	s_add_u32 s2, s4, 0x5f0
	s_addc_u32 s3, s5, 0
	s_waitcnt lgkmcnt(0)
	s_and_b32 s20, s0, 0xffff
	s_mul_i32 s6, s6, s20
	v_add_u32_e32 v0, s6, v0
	v_cmp_gt_i32_e32 vcc, s9, v0
	s_and_saveexec_b64 s[0:1], vcc
	s_cbranch_execz .LBB33_5
; %bb.1:
	s_load_dwordx2 s[6:7], s[4:5], 0x0
	s_load_dword s33, s[4:5], 0xc
	s_load_dwordx2 s[10:11], s[4:5], 0x6c
	s_load_dwordx2 s[12:13], s[4:5], 0xd8
	s_load_dword s76, s[4:5], 0xe4
	s_load_dwordx2 s[14:15], s[4:5], 0x144
	;; [unrolled: 3-line block ×3, first 2 shown]
	s_load_dword s78, s[4:5], 0x2f4
	s_load_dwordx2 s[40:41], s[4:5], 0x360
	s_load_dword s21, s[4:5], 0x36c
	s_waitcnt lgkmcnt(0)
	s_cmp_lg_u64 s[16:17], 0
	s_cselect_b64 s[0:1], -1, 0
	s_abs_i32 s79, s8
	v_cvt_f32_u32_e32 v1, s79
	s_abs_i32 s82, s33
	v_cvt_f32_u32_e32 v2, s82
	s_load_dwordx2 s[22:23], s[4:5], 0x3cc
	s_load_dwordx2 s[24:25], s[4:5], 0x438
	s_load_dword s34, s[4:5], 0x444
	s_load_dwordx2 s[26:27], s[4:5], 0x4a4
	s_load_dword s35, s[2:3], 0x0
	v_rcp_iflag_f32_e32 v1, v1
	s_sub_i32 s2, 0, s79
	v_rcp_iflag_f32_e32 v2, v2
	s_abs_i32 s84, s76
	v_mul_f32_e32 v1, 0x4f7ffffe, v1
	v_cvt_u32_f32_e32 v1, v1
	v_mul_f32_e32 v2, 0x4f7ffffe, v2
	v_cvt_u32_f32_e32 v2, v2
	s_abs_i32 s86, s21
	v_mul_lo_u32 v3, s2, v1
	v_mul_hi_u32 v3, v1, v3
	v_add_u32_e32 v1, v1, v3
	v_cvt_f32_u32_e32 v3, s84
	s_sub_i32 s2, 0, s82
	v_mul_lo_u32 v4, s2, v2
	v_mul_hi_u32 v4, v2, v4
	v_rcp_iflag_f32_e32 v3, v3
	v_add_u32_e32 v28, v2, v4
	s_sub_i32 s2, 0, s84
	s_load_dwordx2 s[28:29], s[4:5], 0x510
	s_load_dword s80, s[4:5], 0x51c
	s_load_dwordx2 s[30:31], s[4:5], 0x57c
	v_mul_f32_e32 v2, 0x4f7ffffe, v3
	v_cvt_f32_u32_e32 v3, s86
	v_cvt_u32_f32_e32 v2, v2
	s_waitcnt lgkmcnt(0)
	s_abs_i32 s89, s34
	s_abs_i32 s90, s80
	v_rcp_iflag_f32_e32 v3, v3
	v_mul_lo_u32 v4, s2, v2
	v_mul_hi_u32 v4, v2, v4
	v_add_u32_e32 v29, v2, v4
	v_mul_f32_e32 v2, 0x4f7ffffe, v3
	v_cvt_u32_f32_e32 v2, v2
	s_sub_i32 s2, 0, s86
	v_cvt_f32_u32_e32 v3, s89
	s_mul_i32 s3, s35, s20
	v_mul_lo_u32 v4, s2, v2
	v_mul_hi_u32 v4, v2, v4
	v_add_u32_e32 v30, v2, v4
	v_cvt_f32_u32_e32 v2, s90
	v_rcp_iflag_f32_e32 v3, v3
	s_sub_i32 s2, 0, s89
	s_ashr_i32 s91, s34, 31
	v_rcp_iflag_f32_e32 v2, v2
	v_mul_f32_e32 v3, 0x4f7ffffe, v3
	v_cvt_u32_f32_e32 v3, v3
	s_sub_i32 s20, 0, s34
	v_mul_f32_e32 v2, 0x4f7ffffe, v2
	v_cvt_u32_f32_e32 v2, v2
	v_mul_lo_u32 v4, s2, v3
	v_mul_hi_u32 v4, v3, v4
	s_sub_i32 s2, 0, s90
	v_add_u32_e32 v31, v3, v4
	v_mul_lo_u32 v3, s2, v2
	v_mul_hi_u32 v3, v2, v3
	v_add_u32_e32 v32, v2, v3
	v_cndmask_b32_e64 v2, 0, 1, s[0:1]
	s_mov_b32 s34, 0x652b82fe
	s_mov_b32 s36, 0xfefa39ef
	;; [unrolled: 1-line block ×18, first 2 shown]
	s_mov_b64 s[4:5], 0
	s_ashr_i32 s83, s8, 31
	s_ashr_i32 s85, s33, 31
	;; [unrolled: 1-line block ×5, first 2 shown]
	s_lshl_b32 s93, s8, 1
	s_lshl_b32 s94, s8, 2
	s_sub_i32 s95, 0, s8
	s_sub_i32 s81, 0, s21
	v_mov_b32_e32 v33, s7
	v_mov_b32_e32 v34, s13
	s_mov_b32 s13, s3
	v_mov_b32_e32 v35, s41
	v_cmp_ne_u32_e64 s[0:1], 1, v2
	s_mov_b32 s35, 0xbff71547
	s_mov_b32 s37, 0xbfe62e42
	;; [unrolled: 1-line block ×10, first 2 shown]
	s_brev_b32 s7, -2
	v_mov_b32_e32 v36, 0x3ff00000
	s_mov_b32 s57, 0x3fc55555
	s_mov_b32 s59, 0x3fe00000
	;; [unrolled: 1-line block ×10, first 2 shown]
	s_branch .LBB33_3
.LBB33_2:                               ;   in Loop: Header=BB33_3 Depth=1
	v_mul_hi_u32 v42, v41, v31
	v_mul_lo_u32 v43, v42, s89
	v_sub_u32_e32 v41, v41, v43
	v_add_u32_e32 v43, 1, v42
	v_cmp_le_u32_e32 vcc, s89, v41
	v_cndmask_b32_e32 v42, v42, v43, vcc
	v_subrev_u32_e32 v43, s89, v41
	v_cndmask_b32_e32 v41, v41, v43, vcc
	v_add_u32_e32 v43, 1, v42
	v_cmp_le_u32_e32 vcc, s89, v41
	v_xor_b32_e32 v40, s91, v40
	v_cndmask_b32_e32 v41, v42, v43, vcc
	v_xor_b32_e32 v41, v41, v40
	v_sub_u32_e32 v42, v41, v40
	s_waitcnt vmcnt(3)
	v_add_f64 v[10:11], v[10:11], v[16:17]
	v_mad_u64_u32 v[40:41], s[2:3], s20, v42, v[0:1]
	v_add_f64 v[10:11], v[10:11], v[24:25]
	v_mul_lo_u32 v40, v40, s27
	s_waitcnt vmcnt(2)
	v_add_f64 v[24:25], v[26:27], v[10:11]
	v_mad_u64_u32 v[40:41], s[2:3], v42, s26, v[40:41]
	v_mul_f64 v[10:11], v[24:25], s[34:35]
	v_rndne_f64_e32 v[10:11], v[10:11]
	s_mov_b32 s2, 0xfca7ab0c
	v_fma_f64 v[16:17], v[10:11], s[36:37], -v[24:25]
	s_mov_b32 s3, 0x3e928af3
	v_fmac_f64_e32 v[16:17], s[38:39], v[10:11]
	v_pk_mov_b32 v[26:27], s[2:3], s[2:3] op_sel:[0,1]
	v_fma_f64 v[42:43], s[42:43], v[16:17], v[26:27]
	v_fma_f64 v[42:43], v[16:17], v[42:43], s[44:45]
	;; [unrolled: 1-line block ×5, first 2 shown]
	v_add_f64 v[6:7], v[6:7], v[12:13]
	v_fma_f64 v[42:43], v[16:17], v[42:43], s[52:53]
	v_add_f64 v[6:7], v[6:7], v[20:21]
	v_fma_f64 v[42:43], v[16:17], v[42:43], s[54:55]
	s_waitcnt vmcnt(1)
	v_add_f64 v[6:7], v[6:7], v[22:23]
	v_fma_f64 v[42:43], v[16:17], v[42:43], s[56:57]
	v_mul_f64 v[12:13], v[6:7], s[34:35]
	v_fma_f64 v[42:43], v[16:17], v[42:43], s[58:59]
	v_rndne_f64_e32 v[12:13], v[12:13]
	v_fma_f64 v[42:43], v[16:17], v[42:43], 1.0
	v_fma_f64 v[20:21], v[12:13], s[36:37], -v[6:7]
	v_fma_f64 v[16:17], v[16:17], v[42:43], 1.0
	v_cvt_i32_f64_e32 v10, v[10:11]
	v_fmac_f64_e32 v[20:21], s[38:39], v[12:13]
	v_ldexp_f64 v[10:11], v[16:17], v10
	v_fma_f64 v[22:23], s[42:43], v[20:21], v[26:27]
	v_add_f64 v[42:43], v[10:11], 1.0
	v_fma_f64 v[22:23], v[20:21], v[22:23], s[44:45]
	v_div_scale_f64 v[44:45], s[2:3], v[42:43], v[42:43], 1.0
	v_fma_f64 v[22:23], v[20:21], v[22:23], s[46:47]
	v_rcp_f64_e32 v[46:47], v[44:45]
	v_fma_f64 v[22:23], v[20:21], v[22:23], s[48:49]
	v_ashrrev_i32_e32 v41, 31, v40
	v_fma_f64 v[22:23], v[20:21], v[22:23], s[50:51]
	v_lshlrev_b64 v[40:41], 3, v[40:41]
	v_fma_f64 v[22:23], v[20:21], v[22:23], s[52:53]
	v_mov_b32_e32 v48, s25
	v_add_co_u32_e32 v10, vcc, s24, v40
	v_fma_f64 v[22:23], v[20:21], v[22:23], s[54:55]
	v_addc_co_u32_e32 v11, vcc, v48, v41, vcc
	v_fma_f64 v[40:41], -v[44:45], v[46:47], 1.0
	v_fma_f64 v[22:23], v[20:21], v[22:23], s[56:57]
	v_fmac_f64_e32 v[46:47], v[46:47], v[40:41]
	v_fma_f64 v[22:23], v[20:21], v[22:23], s[58:59]
	v_fma_f64 v[40:41], -v[44:45], v[46:47], 1.0
	v_fma_f64 v[22:23], v[20:21], v[22:23], 1.0
	v_fmac_f64_e32 v[46:47], v[46:47], v[40:41]
	v_div_scale_f64 v[40:41], vcc, 1.0, v[42:43], 1.0
	v_fma_f64 v[20:21], v[20:21], v[22:23], 1.0
	v_cvt_i32_f64_e32 v12, v[12:13]
	v_mul_f64 v[48:49], v[40:41], v[46:47]
	v_ldexp_f64 v[12:13], v[20:21], v12
	v_fma_f64 v[40:41], -v[44:45], v[48:49], v[40:41]
	v_add_f64 v[20:21], v[12:13], 1.0
	v_div_fmas_f64 v[40:41], v[40:41], v[46:47], v[48:49]
	v_div_scale_f64 v[22:23], s[2:3], v[20:21], v[20:21], 1.0
	v_div_fixup_f64 v[40:41], v[40:41], v[42:43], 1.0
	v_rcp_f64_e32 v[42:43], v[22:23]
	v_cmp_ngt_f64_e32 vcc, s[60:61], v[24:25]
	v_cmp_nlt_f64_e64 s[2:3], s[62:63], v[24:25]
	v_mul_lo_u32 v16, s94, v39
	v_fma_f64 v[24:25], -v[22:23], v[42:43], 1.0
	v_fmac_f64_e32 v[42:43], v[42:43], v[24:25]
	v_cndmask_b32_e32 v39, 0, v41, vcc
	s_and_b64 vcc, s[2:3], vcc
	v_fma_f64 v[24:25], -v[22:23], v[42:43], 1.0
	v_cndmask_b32_e32 v12, 0, v40, vcc
	v_fmac_f64_e32 v[42:43], v[42:43], v[24:25]
	v_div_scale_f64 v[24:25], vcc, 1.0, v[20:21], 1.0
	v_cndmask_b32_e64 v13, v36, v39, s[2:3]
	v_mul_f64 v[40:41], v[24:25], v[42:43]
	v_add_f64 v[14:15], v[4:5], v[14:15]
	s_waitcnt vmcnt(0)
	v_add_f64 v[4:5], v[8:9], v[18:19]
	v_fma_f64 v[22:23], -v[22:23], v[40:41], v[24:25]
	v_fmac_f64_e32 v[14:15], v[4:5], v[12:13]
	s_mov_b32 s64, s34
	v_div_fmas_f64 v[22:23], v[22:23], v[42:43], v[40:41]
	v_mul_f64 v[8:9], |v[14:15]|, s[64:65]
	v_div_fixup_f64 v[20:21], v[22:23], v[20:21], 1.0
	v_cmp_ngt_f64_e32 vcc, s[60:61], v[6:7]
	v_cmp_nlt_f64_e64 s[2:3], s[62:63], v[6:7]
	v_rndne_f64_e32 v[8:9], v[8:9]
	s_mov_b32 s67, s37
	v_cndmask_b32_e32 v21, 0, v21, vcc
	s_and_b64 vcc, s[2:3], vcc
	v_fma_f64 v[18:19], v[8:9], s[66:67], |v[14:15]|
	v_cndmask_b32_e64 v7, v36, v21, s[2:3]
	v_cndmask_b32_e32 v6, 0, v20, vcc
	v_add_f64 v[20:21], v[18:19], 0
	v_mul_f64 v[22:23], v[8:9], s[68:69]
	v_add_f64 v[24:25], v[20:21], v[22:23]
	v_add_f64 v[18:19], v[18:19], -v[20:21]
	v_add_f64 v[20:21], v[20:21], -v[24:25]
	v_add_f64 v[18:19], v[18:19], 0
	v_add_f64 v[20:21], v[20:21], v[22:23]
	;; [unrolled: 1-line block ×4, first 2 shown]
	v_add_f64 v[22:23], v[24:25], -v[20:21]
	v_add_f64 v[18:19], v[18:19], v[22:23]
	v_mul_f64 v[22:23], v[8:9], s[70:71]
	v_add_f64 v[24:25], v[20:21], v[22:23]
	v_add_f64 v[20:21], v[20:21], -v[24:25]
	v_add_f64 v[20:21], v[20:21], v[22:23]
	v_add_f64 v[18:19], v[18:19], v[20:21]
	;; [unrolled: 1-line block ×3, first 2 shown]
	v_add_f64 v[22:23], v[24:25], -v[20:21]
	v_add_f64 v[18:19], v[18:19], v[22:23]
	v_fma_f64 v[22:23], s[42:43], v[20:21], v[26:27]
	v_fma_f64 v[22:23], v[20:21], v[22:23], s[44:45]
	;; [unrolled: 1-line block ×5, first 2 shown]
	v_mul_f64 v[24:25], v[20:21], v[20:21]
	v_fma_f64 v[22:23], v[20:21], v[22:23], s[52:53]
	v_fma_f64 v[26:27], v[20:21], v[20:21], -v[24:25]
	v_add_f64 v[40:41], v[18:19], v[18:19]
	v_fma_f64 v[22:23], v[20:21], v[22:23], s[54:55]
	v_fmac_f64_e32 v[26:27], v[20:21], v[40:41]
	v_fma_f64 v[22:23], v[20:21], v[22:23], s[56:57]
	v_add_f64 v[40:41], v[24:25], v[26:27]
	v_fma_f64 v[22:23], v[20:21], v[22:23], s[58:59]
	v_add_f64 v[24:25], v[40:41], -v[24:25]
	v_add_f64 v[24:25], v[26:27], -v[24:25]
	v_mul_f64 v[26:27], v[40:41], v[22:23]
	v_fma_f64 v[40:41], v[40:41], v[22:23], -v[26:27]
	v_fmac_f64_e32 v[40:41], v[24:25], v[22:23]
	v_add_f64 v[22:23], v[26:27], v[40:41]
	v_add_f64 v[24:25], v[22:23], -v[26:27]
	v_add_f64 v[26:27], v[20:21], v[22:23]
	v_add_f64 v[24:25], v[40:41], -v[24:25]
	v_add_f64 v[20:21], v[26:27], -v[20:21]
	;; [unrolled: 1-line block ×3, first 2 shown]
	v_add_f64 v[18:19], v[18:19], v[24:25]
	v_add_f64 v[18:19], v[18:19], v[20:21]
	;; [unrolled: 1-line block ×3, first 2 shown]
	v_add_f64 v[22:23], v[20:21], -v[26:27]
	v_add_f64 v[18:19], v[18:19], -v[22:23]
	v_add_f64 v[22:23], v[20:21], 1.0
	v_add_f64 v[24:25], v[22:23], -1.0
	v_add_f64 v[20:21], v[20:21], -v[24:25]
	v_add_f64 v[18:19], v[18:19], v[20:21]
	v_add_f64 v[20:21], v[22:23], v[18:19]
	v_cvt_i32_f64_e32 v26, v[8:9]
	v_ldexp_f64 v[8:9], v[20:21], v26
	v_rcp_f64_e32 v[24:25], v[8:9]
	v_add_f64 v[20:21], v[20:21], -v[22:23]
	v_add_f64 v[18:19], v[18:19], -v[20:21]
	v_ldexp_f64 v[18:19], v[18:19], v26
	v_fma_f64 v[20:21], -v[8:9], v[24:25], 1.0
	v_fmac_f64_e32 v[24:25], v[20:21], v[24:25]
	v_fma_f64 v[20:21], -v[8:9], v[24:25], 1.0
	v_fmac_f64_e32 v[24:25], v[20:21], v[24:25]
	v_mul_f64 v[20:21], v[8:9], v[24:25]
	v_fma_f64 v[22:23], v[24:25], v[8:9], -v[20:21]
	v_fmac_f64_e32 v[22:23], v[24:25], v[18:19]
	v_add_f64 v[26:27], v[20:21], v[22:23]
	v_add_f64 v[40:41], -v[26:27], 1.0
	v_add_f64 v[20:21], v[26:27], -v[20:21]
	v_add_f64 v[42:43], -v[40:41], 1.0
	v_add_f64 v[26:27], v[42:43], -v[26:27]
	v_add_f64 v[20:21], v[20:21], -v[22:23]
	v_add_f64 v[20:21], v[20:21], v[26:27]
	v_add_f64 v[22:23], v[40:41], v[20:21]
	v_add_f64 v[26:27], v[40:41], -v[22:23]
	v_add_f64 v[20:21], v[20:21], v[26:27]
	v_mul_f64 v[26:27], v[24:25], v[22:23]
	v_mul_f64 v[40:41], v[8:9], v[26:27]
	v_fma_f64 v[42:43], v[26:27], v[8:9], -v[40:41]
	v_fmac_f64_e32 v[42:43], v[26:27], v[18:19]
	v_add_f64 v[44:45], v[40:41], v[42:43]
	v_add_f64 v[46:47], v[22:23], -v[44:45]
	v_add_f64 v[22:23], v[22:23], -v[46:47]
	;; [unrolled: 1-line block ×4, first 2 shown]
	v_add_f64 v[20:21], v[20:21], v[22:23]
	v_add_f64 v[22:23], v[40:41], -v[42:43]
	v_add_f64 v[20:21], v[22:23], v[20:21]
	v_add_f64 v[20:21], v[46:47], v[20:21]
	;; [unrolled: 1-line block ×3, first 2 shown]
	v_mul_f64 v[20:21], v[24:25], v[20:21]
	v_add_f64 v[24:25], v[22:23], -v[24:25]
	v_add_f64 v[24:25], v[26:27], -v[24:25]
	v_add_f64 v[20:21], v[24:25], v[20:21]
	v_add_f64 v[24:25], v[22:23], v[20:21]
	v_add_f64 v[22:23], v[24:25], -v[22:23]
	v_add_f64 v[20:21], v[20:21], -v[22:23]
	;; [unrolled: 1-line block ×4, first 2 shown]
	v_add_f64 v[42:43], v[8:9], v[24:25]
	v_add_f64 v[26:27], v[26:27], -v[24:25]
	v_add_f64 v[8:9], v[42:43], -v[8:9]
	v_add_f64 v[26:27], v[18:19], v[26:27]
	v_add_f64 v[8:9], v[24:25], -v[8:9]
	v_add_f64 v[18:19], v[18:19], v[20:21]
	v_add_f64 v[8:9], v[18:19], v[8:9]
	;; [unrolled: 1-line block ×3, first 2 shown]
	v_add_f64 v[26:27], v[26:27], -v[20:21]
	v_rcp_f64_e32 v[20:21], v[18:19]
	v_add_f64 v[24:25], v[18:19], -v[42:43]
	v_add_f64 v[8:9], v[8:9], -v[24:25]
	v_add_f64 v[40:41], v[22:23], v[26:27]
	v_fma_f64 v[24:25], -v[18:19], v[20:21], 1.0
	v_fmac_f64_e32 v[20:21], v[24:25], v[20:21]
	v_fma_f64 v[24:25], -v[18:19], v[20:21], 1.0
	v_fmac_f64_e32 v[20:21], v[24:25], v[20:21]
	v_add_f64 v[22:23], v[40:41], -v[22:23]
	v_mul_f64 v[24:25], v[40:41], v[20:21]
	v_add_f64 v[22:23], v[26:27], -v[22:23]
	v_mul_f64 v[26:27], v[18:19], v[24:25]
	v_fma_f64 v[18:19], v[24:25], v[18:19], -v[26:27]
	v_fmac_f64_e32 v[18:19], v[24:25], v[8:9]
	v_add_f64 v[8:9], v[26:27], v[18:19]
	v_add_f64 v[26:27], v[8:9], -v[26:27]
	v_add_f64 v[18:19], v[18:19], -v[26:27]
	;; [unrolled: 1-line block ×6, first 2 shown]
	v_add_f64 v[8:9], v[22:23], v[8:9]
	v_add_f64 v[8:9], v[26:27], v[8:9]
	v_mul_f64 v[8:9], v[20:21], v[8:9]
	v_add_f64 v[8:9], v[24:25], v[8:9]
	v_cmp_ngt_f64_e64 vcc, |v[14:15]|, s[72:73]
	v_and_b32_e32 v39, 0x7fffffff, v15
	v_cndmask_b32_e32 v9, v36, v9, vcc
	v_cndmask_b32_e32 v8, 0, v8, vcc
	v_cmp_lt_f64_e64 vcc, |v[14:15]|, s[74:75]
	v_cndmask_b32_e32 v9, v9, v39, vcc
	v_cndmask_b32_e32 v8, v8, v14, vcc
	v_bfi_b32 v9, s7, v9, v15
	v_add_f64 v[14:15], v[2:3], -v[8:9]
	v_add_u32_e32 v17, v0, v16
	v_fma_f64 v[14:15], v[6:7], v[14:15], v[8:9]
	global_store_dwordx2 v[10:11], v[14:15], off
	v_ashrrev_i32_e32 v10, 31, v17
	v_add3_u32 v14, v10, v16, v0
	v_xor_b32_e32 v11, s92, v10
	v_xor_b32_e32 v10, v14, v10
	v_mul_hi_u32 v14, v10, v32
	v_mul_lo_u32 v15, v14, s90
	v_sub_u32_e32 v10, v10, v15
	v_add_u32_e32 v15, 1, v14
	v_cmp_le_u32_e32 vcc, s90, v10
	v_cndmask_b32_e32 v14, v14, v15, vcc
	v_subrev_u32_e32 v15, s90, v10
	v_cndmask_b32_e32 v10, v10, v15, vcc
	v_add_u32_e32 v15, 1, v14
	v_cmp_le_u32_e32 vcc, s90, v10
	v_cndmask_b32_e32 v10, v14, v15, vcc
	v_xor_b32_e32 v10, v10, v11
	v_sub_u32_e32 v11, v10, v11
	v_mul_lo_u32 v10, v11, s80
	v_sub_u32_e32 v10, v16, v10
	v_add_u32_e32 v10, v0, v10
	v_mul_lo_u32 v10, v10, s31
	v_mad_u64_u32 v[10:11], s[2:3], v11, s30, v[10:11]
	v_ashrrev_i32_e32 v11, 31, v10
	v_lshlrev_b64 v[10:11], 3, v[10:11]
	v_mov_b32_e32 v14, s29
	v_add_co_u32_e32 v10, vcc, s28, v10
	v_addc_co_u32_e32 v11, vcc, v14, v11, vcc
	global_store_dwordx2 v[10:11], v[12:13], off
	v_lshlrev_b32_e32 v10, 2, v38
	v_lshlrev_b32_e32 v11, 2, v37
	v_sub_u32_e32 v12, v10, v11
	v_or_b32_e32 v10, 1, v12
	v_mul_lo_u32 v10, s8, v10
	v_add_u32_e32 v11, v0, v10
	v_ashrrev_i32_e32 v11, 31, v11
	v_add3_u32 v15, v11, v10, v0
	v_xor_b32_e32 v13, s92, v11
	v_xor_b32_e32 v11, v15, v11
	v_mul_hi_u32 v15, v11, v32
	v_mul_lo_u32 v16, v15, s90
	v_sub_u32_e32 v11, v11, v16
	v_add_u32_e32 v16, 1, v15
	v_cmp_le_u32_e32 vcc, s90, v11
	v_cndmask_b32_e32 v15, v15, v16, vcc
	v_subrev_u32_e32 v16, s90, v11
	v_cndmask_b32_e32 v11, v11, v16, vcc
	v_add_u32_e32 v16, 1, v15
	v_cmp_le_u32_e32 vcc, s90, v11
	v_cndmask_b32_e32 v11, v15, v16, vcc
	v_xor_b32_e32 v11, v11, v13
	v_sub_u32_e32 v11, v11, v13
	v_mul_lo_u32 v13, v11, s80
	v_sub_u32_e32 v10, v10, v13
	v_add_u32_e32 v10, v0, v10
	v_mul_lo_u32 v10, v10, s31
	v_mad_u64_u32 v[10:11], s[2:3], v11, s30, v[10:11]
	v_ashrrev_i32_e32 v11, 31, v10
	v_lshlrev_b64 v[10:11], 3, v[10:11]
	v_add_co_u32_e32 v10, vcc, s28, v10
	v_addc_co_u32_e32 v11, vcc, v14, v11, vcc
	global_store_dwordx2 v[10:11], v[6:7], off
	v_or_b32_e32 v6, 2, v12
	v_mul_lo_u32 v6, s8, v6
	v_add_u32_e32 v7, v0, v6
	v_ashrrev_i32_e32 v7, 31, v7
	v_add3_u32 v11, v7, v6, v0
	v_xor_b32_e32 v10, s92, v7
	v_xor_b32_e32 v7, v11, v7
	v_mul_hi_u32 v11, v7, v32
	v_mul_lo_u32 v13, v11, s90
	v_sub_u32_e32 v7, v7, v13
	v_add_u32_e32 v13, 1, v11
	v_cmp_le_u32_e32 vcc, s90, v7
	v_cndmask_b32_e32 v11, v11, v13, vcc
	v_subrev_u32_e32 v13, s90, v7
	v_cndmask_b32_e32 v7, v7, v13, vcc
	v_add_u32_e32 v13, 1, v11
	v_cmp_le_u32_e32 vcc, s90, v7
	v_cndmask_b32_e32 v7, v11, v13, vcc
	v_xor_b32_e32 v7, v7, v10
	v_sub_u32_e32 v7, v7, v10
	v_mul_lo_u32 v10, v7, s80
	v_sub_u32_e32 v6, v6, v10
	v_add_u32_e32 v6, v0, v6
	v_mul_lo_u32 v6, v6, s31
	v_mad_u64_u32 v[6:7], s[2:3], v7, s30, v[6:7]
	v_ashrrev_i32_e32 v7, 31, v6
	v_lshlrev_b64 v[6:7], 3, v[6:7]
	v_add_co_u32_e32 v6, vcc, s28, v6
	v_addc_co_u32_e32 v7, vcc, v14, v7, vcc
	global_store_dwordx2 v[6:7], v[8:9], off
	;; [unrolled: 30-line block ×3, first 2 shown]
	v_add_u32_e32 v2, 4, v12
	v_mul_lo_u32 v2, s8, v2
	v_add_u32_e32 v3, v0, v2
	v_ashrrev_i32_e32 v3, 31, v3
	v_add3_u32 v7, v3, v2, v0
	v_xor_b32_e32 v6, s92, v3
	v_xor_b32_e32 v3, v7, v3
	v_mul_hi_u32 v7, v3, v32
	v_mul_lo_u32 v8, v7, s90
	v_sub_u32_e32 v3, v3, v8
	v_add_u32_e32 v8, 1, v7
	v_cmp_le_u32_e32 vcc, s90, v3
	v_cndmask_b32_e32 v7, v7, v8, vcc
	v_subrev_u32_e32 v8, s90, v3
	v_cndmask_b32_e32 v3, v3, v8, vcc
	v_add_u32_e32 v8, 1, v7
	v_cmp_le_u32_e32 vcc, s90, v3
	v_cndmask_b32_e32 v3, v7, v8, vcc
	v_xor_b32_e32 v3, v3, v6
	v_sub_u32_e32 v3, v3, v6
	v_mul_lo_u32 v6, v3, s80
	v_sub_u32_e32 v2, v2, v6
	v_add_u32_e32 v2, v0, v2
	v_mul_lo_u32 v2, v2, s31
	v_mad_u64_u32 v[2:3], s[2:3], v3, s30, v[2:3]
	v_ashrrev_i32_e32 v3, 31, v2
	v_lshlrev_b64 v[2:3], 3, v[2:3]
	v_add_co_u32_e32 v2, vcc, s28, v2
	v_addc_co_u32_e32 v3, vcc, v14, v3, vcc
	v_add_u32_e32 v0, s13, v0
	v_cmp_le_i32_e32 vcc, s9, v0
	s_or_b64 s[4:5], vcc, s[4:5]
	global_store_dwordx2 v[2:3], v[4:5], off
	s_andn2_b64 exec, exec, s[4:5]
	s_cbranch_execz .LBB33_5
.LBB33_3:                               ; =>This Inner Loop Header: Depth=1
	v_sub_u32_e32 v2, 0, v0
	v_max_i32_e32 v41, v0, v2
	v_mul_hi_u32 v2, v41, v1
	v_mul_lo_u32 v3, v2, s79
	v_sub_u32_e32 v3, v41, v3
	v_add_u32_e32 v4, 1, v2
	v_cmp_le_u32_e32 vcc, s79, v3
	v_cndmask_b32_e32 v2, v2, v4, vcc
	v_subrev_u32_e32 v4, s79, v3
	v_cndmask_b32_e32 v3, v3, v4, vcc
	v_ashrrev_i32_e32 v40, 31, v0
	v_add_u32_e32 v4, 1, v2
	v_cmp_le_u32_e32 vcc, s79, v3
	v_xor_b32_e32 v37, s83, v40
	v_cndmask_b32_e32 v2, v2, v4, vcc
	v_xor_b32_e32 v38, v2, v37
	v_sub_u32_e32 v39, v38, v37
	v_mul_lo_u32 v12, s93, v39
	v_add_u32_e32 v2, v0, v12
	v_ashrrev_i32_e32 v13, 31, v2
	v_add3_u32 v3, v13, v12, v0
	v_xor_b32_e32 v14, v3, v13
	v_mul_hi_u32 v3, v14, v28
	v_mul_lo_u32 v4, v3, s82
	v_sub_u32_e32 v4, v14, v4
	v_add_u32_e32 v5, 1, v3
	v_cmp_le_u32_e32 vcc, s82, v4
	v_cndmask_b32_e32 v3, v3, v5, vcc
	v_subrev_u32_e32 v5, s82, v4
	v_cndmask_b32_e32 v4, v4, v5, vcc
	v_add_u32_e32 v5, 1, v3
	v_cmp_le_u32_e32 vcc, s82, v4
	v_xor_b32_e32 v2, s85, v13
	v_cndmask_b32_e32 v3, v3, v5, vcc
	v_xor_b32_e32 v3, v3, v2
	v_lshlrev_b32_e32 v4, 1, v38
	v_lshlrev_b32_e32 v5, 1, v37
	v_sub_u32_e32 v3, v3, v2
	v_sub_u32_e32 v6, v4, v5
	v_mul_lo_u32 v2, v3, s33
	v_or_b32_e32 v4, 1, v6
	v_sub_u32_e32 v2, v12, v2
	v_mul_lo_u32 v15, s8, v4
	v_add_u32_e32 v2, v0, v2
	v_add_u32_e32 v4, v0, v15
	v_mul_lo_u32 v2, v2, s11
	v_ashrrev_i32_e32 v16, 31, v4
	v_mad_u64_u32 v[2:3], s[2:3], v3, s10, v[2:3]
	v_add3_u32 v5, v16, v15, v0
	v_ashrrev_i32_e32 v3, 31, v2
	v_xor_b32_e32 v17, v5, v16
	v_lshlrev_b64 v[2:3], 3, v[2:3]
	v_mul_hi_u32 v5, v17, v28
	v_add_co_u32_e32 v2, vcc, s6, v2
	v_mul_lo_u32 v7, v5, s82
	v_addc_co_u32_e32 v3, vcc, v33, v3, vcc
	v_sub_u32_e32 v7, v17, v7
	v_add_u32_e32 v8, 1, v5
	v_cmp_le_u32_e32 vcc, s82, v7
	v_cndmask_b32_e32 v5, v5, v8, vcc
	v_subrev_u32_e32 v8, s82, v7
	v_cndmask_b32_e32 v7, v7, v8, vcc
	v_add_u32_e32 v8, 1, v5
	v_cmp_le_u32_e32 vcc, s82, v7
	v_xor_b32_e32 v4, s85, v16
	v_cndmask_b32_e32 v5, v5, v8, vcc
	v_xor_b32_e32 v5, v5, v4
	v_sub_u32_e32 v5, v5, v4
	v_mul_lo_u32 v4, v5, s33
	v_add_u32_e32 v6, 2, v6
	v_sub_u32_e32 v4, v15, v4
	v_mul_lo_u32 v18, s8, v6
	v_add_u32_e32 v4, v0, v4
	v_add_u32_e32 v6, v0, v18
	v_mul_lo_u32 v4, v4, s11
	v_ashrrev_i32_e32 v19, 31, v6
	v_mad_u64_u32 v[4:5], s[2:3], v5, s10, v[4:5]
	v_add3_u32 v7, v19, v18, v0
	v_ashrrev_i32_e32 v5, 31, v4
	v_xor_b32_e32 v20, v7, v19
	v_lshlrev_b64 v[4:5], 3, v[4:5]
	v_mul_hi_u32 v7, v20, v28
	v_add_co_u32_e32 v4, vcc, s6, v4
	v_mul_lo_u32 v8, v7, s82
	v_addc_co_u32_e32 v5, vcc, v33, v5, vcc
	v_sub_u32_e32 v8, v20, v8
	v_add_u32_e32 v9, 1, v7
	v_cmp_le_u32_e32 vcc, s82, v8
	v_cndmask_b32_e32 v7, v7, v9, vcc
	v_subrev_u32_e32 v9, s82, v8
	v_cndmask_b32_e32 v8, v8, v9, vcc
	v_add_u32_e32 v9, 1, v7
	v_cmp_le_u32_e32 vcc, s82, v8
	v_xor_b32_e32 v6, s85, v19
	v_cndmask_b32_e32 v7, v7, v9, vcc
	v_xor_b32_e32 v7, v7, v6
	v_sub_u32_e32 v7, v7, v6
	v_mul_lo_u32 v6, v7, s33
	v_sub_u32_e32 v6, v18, v6
	v_add_u32_e32 v6, v0, v6
	v_mul_lo_u32 v6, v6, s11
	v_mad_u64_u32 v[6:7], s[2:3], v7, s10, v[6:7]
	v_ashrrev_i32_e32 v7, 31, v6
	v_lshlrev_b64 v[6:7], 3, v[6:7]
	v_add_co_u32_e32 v8, vcc, s6, v6
	v_addc_co_u32_e32 v9, vcc, v33, v7, vcc
	global_load_dwordx2 v[10:11], v[2:3], off
	global_load_dwordx2 v[6:7], v[4:5], off
	s_nop 0
	global_load_dwordx2 v[4:5], v[8:9], off
	v_mul_hi_u32 v3, v14, v29
	v_mul_lo_u32 v8, v3, s84
	v_sub_u32_e32 v8, v14, v8
	v_add_u32_e32 v9, 1, v3
	v_cmp_le_u32_e32 vcc, s84, v8
	v_cndmask_b32_e32 v3, v3, v9, vcc
	v_subrev_u32_e32 v9, s84, v8
	v_cndmask_b32_e32 v8, v8, v9, vcc
	v_add_u32_e32 v9, 1, v3
	v_cmp_le_u32_e32 vcc, s84, v8
	v_xor_b32_e32 v2, s87, v13
	v_cndmask_b32_e32 v3, v3, v9, vcc
	v_xor_b32_e32 v3, v3, v2
	v_sub_u32_e32 v3, v3, v2
	v_mul_lo_u32 v2, v3, s76
	v_sub_u32_e32 v2, v12, v2
	v_add_u32_e32 v2, v0, v2
	v_mul_lo_u32 v2, v2, s15
	v_mad_u64_u32 v[2:3], s[2:3], v3, s14, v[2:3]
	v_ashrrev_i32_e32 v3, 31, v2
	v_lshlrev_b64 v[2:3], 3, v[2:3]
	v_mul_hi_u32 v9, v17, v29
	v_add_co_u32_e32 v2, vcc, s12, v2
	v_mul_lo_u32 v12, v9, s84
	v_addc_co_u32_e32 v3, vcc, v34, v3, vcc
	v_sub_u32_e32 v12, v17, v12
	v_add_u32_e32 v13, 1, v9
	v_cmp_le_u32_e32 vcc, s84, v12
	v_cndmask_b32_e32 v9, v9, v13, vcc
	v_subrev_u32_e32 v13, s84, v12
	v_cndmask_b32_e32 v12, v12, v13, vcc
	v_add_u32_e32 v13, 1, v9
	v_cmp_le_u32_e32 vcc, s84, v12
	v_xor_b32_e32 v8, s87, v16
	v_cndmask_b32_e32 v9, v9, v13, vcc
	v_xor_b32_e32 v9, v9, v8
	v_sub_u32_e32 v9, v9, v8
	v_mul_lo_u32 v8, v9, s76
	v_sub_u32_e32 v8, v15, v8
	v_add_u32_e32 v8, v0, v8
	v_mul_lo_u32 v8, v8, s15
	v_mad_u64_u32 v[8:9], s[2:3], v9, s14, v[8:9]
	v_ashrrev_i32_e32 v9, 31, v8
	v_lshlrev_b64 v[8:9], 3, v[8:9]
	v_mul_hi_u32 v13, v20, v29
	v_add_co_u32_e32 v8, vcc, s12, v8
	v_mul_lo_u32 v14, v13, s84
	v_addc_co_u32_e32 v9, vcc, v34, v9, vcc
	v_sub_u32_e32 v14, v20, v14
	v_add_u32_e32 v15, 1, v13
	v_cmp_le_u32_e32 vcc, s84, v14
	v_cndmask_b32_e32 v13, v13, v15, vcc
	v_subrev_u32_e32 v15, s84, v14
	v_cndmask_b32_e32 v14, v14, v15, vcc
	v_add_u32_e32 v15, 1, v13
	v_cmp_le_u32_e32 vcc, s84, v14
	v_xor_b32_e32 v12, s87, v19
	v_cndmask_b32_e32 v13, v13, v15, vcc
	v_xor_b32_e32 v13, v13, v12
	v_sub_u32_e32 v13, v13, v12
	v_mul_lo_u32 v12, v13, s76
	v_sub_u32_e32 v12, v18, v12
	v_add_u32_e32 v12, v0, v12
	v_mul_lo_u32 v12, v12, s15
	v_mad_u64_u32 v[12:13], s[2:3], v13, s14, v[12:13]
	v_ashrrev_i32_e32 v13, 31, v12
	v_lshlrev_b64 v[12:13], 3, v[12:13]
	v_add_co_u32_e32 v14, vcc, s12, v12
	v_addc_co_u32_e32 v15, vcc, v34, v13, vcc
	global_load_dwordx2 v[16:17], v[2:3], off
	global_load_dwordx2 v[12:13], v[8:9], off
	s_nop 0
	global_load_dwordx2 v[8:9], v[14:15], off
	v_mul_hi_u32 v3, v41, v30
	v_mul_lo_u32 v14, v3, s86
	v_sub_u32_e32 v14, v41, v14
	v_add_u32_e32 v15, 1, v3
	v_cmp_le_u32_e32 vcc, s86, v14
	v_cndmask_b32_e32 v3, v3, v15, vcc
	v_subrev_u32_e32 v15, s86, v14
	v_cndmask_b32_e32 v14, v14, v15, vcc
	v_add_u32_e32 v15, 1, v3
	v_cmp_le_u32_e32 vcc, s86, v14
	v_xor_b32_e32 v2, s88, v40
	v_cndmask_b32_e32 v3, v3, v15, vcc
	v_xor_b32_e32 v3, v3, v2
	v_sub_u32_e32 v14, v3, v2
	v_mad_u64_u32 v[2:3], s[2:3], s81, v14, v[0:1]
	v_mul_lo_u32 v2, v2, s23
	v_mad_u64_u32 v[2:3], s[2:3], v14, s22, v[2:3]
	v_ashrrev_i32_e32 v3, 31, v2
	v_lshlrev_b64 v[2:3], 3, v[2:3]
	v_add_co_u32_e32 v2, vcc, s40, v2
	v_addc_co_u32_e32 v3, vcc, v35, v3, vcc
	global_load_dwordx2 v[2:3], v[2:3], off
	v_pk_mov_b32 v[20:21], 0, 0
	s_and_b64 vcc, exec, s[0:1]
	v_pk_mov_b32 v[14:15], v[20:21], v[20:21] op_sel:[0,1]
	v_pk_mov_b32 v[26:27], v[20:21], v[20:21] op_sel:[0,1]
	;; [unrolled: 1-line block ×5, first 2 shown]
	s_cbranch_vccnz .LBB33_2
; %bb.4:                                ;   in Loop: Header=BB33_3 Depth=1
	v_mad_u64_u32 v[18:19], s[2:3], s95, v39, v[0:1]
	v_sub_u32_e32 v22, v37, v38
	v_mul_lo_u32 v14, v18, s77
	v_mul_lo_u32 v20, s8, v22
	v_ashrrev_i32_e32 v15, 31, v14
	v_add3_u32 v42, v20, s8, v0
	v_lshlrev_b64 v[14:15], 3, v[14:15]
	v_mul_lo_u32 v20, v42, s77
	v_add_u32_e32 v22, 2, v22
	v_mov_b32_e32 v19, s17
	v_add_co_u32_e32 v14, vcc, s16, v14
	v_ashrrev_i32_e32 v21, 31, v20
	v_mad_u64_u32 v[22:23], s[2:3], s8, v22, v[0:1]
	v_addc_co_u32_e32 v15, vcc, v19, v15, vcc
	v_lshlrev_b64 v[20:21], 3, v[20:21]
	v_mul_lo_u32 v24, v22, s77
	v_add_co_u32_e32 v20, vcc, s16, v20
	v_ashrrev_i32_e32 v25, 31, v24
	v_addc_co_u32_e32 v21, vcc, v19, v21, vcc
	v_lshlrev_b64 v[24:25], 3, v[24:25]
	v_add_co_u32_e32 v26, vcc, s16, v24
	v_mul_lo_u32 v18, v18, s78
	v_addc_co_u32_e32 v27, vcc, v19, v25, vcc
	v_ashrrev_i32_e32 v19, 31, v18
	global_load_dwordx2 v[24:25], v[14:15], off
	s_nop 0
	global_load_dwordx2 v[20:21], v[20:21], off
	s_nop 0
	global_load_dwordx2 v[14:15], v[26:27], off
	v_lshlrev_b64 v[18:19], 3, v[18:19]
	v_mul_lo_u32 v26, v42, s78
	v_mov_b32_e32 v45, s19
	v_add_co_u32_e32 v18, vcc, s18, v18
	v_ashrrev_i32_e32 v27, 31, v26
	v_addc_co_u32_e32 v19, vcc, v45, v19, vcc
	v_lshlrev_b64 v[26:27], 3, v[26:27]
	v_mul_lo_u32 v22, v22, s78
	v_add_co_u32_e32 v42, vcc, s18, v26
	v_ashrrev_i32_e32 v23, 31, v22
	v_addc_co_u32_e32 v43, vcc, v45, v27, vcc
	v_lshlrev_b64 v[22:23], 3, v[22:23]
	v_add_co_u32_e32 v44, vcc, s18, v22
	v_addc_co_u32_e32 v45, vcc, v45, v23, vcc
	global_load_dwordx2 v[26:27], v[18:19], off
	global_load_dwordx2 v[22:23], v[42:43], off
	s_nop 0
	global_load_dwordx2 v[18:19], v[44:45], off
	s_branch .LBB33_2
.LBB33_5:
	s_endpgm
	.section	.rodata,"a",@progbits
	.p2align	6, 0x0
	.amdhsa_kernel _ZN2at6native12_GLOBAL__N_16kernel16gru_cell_forwardIddiLi2EEEvNS_4cuda6detail10TensorInfoIT_T1_EES9_S9_S9_S9_S9_S9_S8_S8_
		.amdhsa_group_segment_fixed_size 0
		.amdhsa_private_segment_fixed_size 0
		.amdhsa_kernarg_size 1776
		.amdhsa_user_sgpr_count 6
		.amdhsa_user_sgpr_private_segment_buffer 1
		.amdhsa_user_sgpr_dispatch_ptr 0
		.amdhsa_user_sgpr_queue_ptr 0
		.amdhsa_user_sgpr_kernarg_segment_ptr 1
		.amdhsa_user_sgpr_dispatch_id 0
		.amdhsa_user_sgpr_flat_scratch_init 0
		.amdhsa_user_sgpr_kernarg_preload_length 0
		.amdhsa_user_sgpr_kernarg_preload_offset 0
		.amdhsa_user_sgpr_private_segment_size 0
		.amdhsa_uses_dynamic_stack 0
		.amdhsa_system_sgpr_private_segment_wavefront_offset 0
		.amdhsa_system_sgpr_workgroup_id_x 1
		.amdhsa_system_sgpr_workgroup_id_y 0
		.amdhsa_system_sgpr_workgroup_id_z 0
		.amdhsa_system_sgpr_workgroup_info 0
		.amdhsa_system_vgpr_workitem_id 0
		.amdhsa_next_free_vgpr 50
		.amdhsa_next_free_sgpr 96
		.amdhsa_accum_offset 52
		.amdhsa_reserve_vcc 1
		.amdhsa_reserve_flat_scratch 0
		.amdhsa_float_round_mode_32 0
		.amdhsa_float_round_mode_16_64 0
		.amdhsa_float_denorm_mode_32 3
		.amdhsa_float_denorm_mode_16_64 3
		.amdhsa_dx10_clamp 1
		.amdhsa_ieee_mode 1
		.amdhsa_fp16_overflow 0
		.amdhsa_tg_split 0
		.amdhsa_exception_fp_ieee_invalid_op 0
		.amdhsa_exception_fp_denorm_src 0
		.amdhsa_exception_fp_ieee_div_zero 0
		.amdhsa_exception_fp_ieee_overflow 0
		.amdhsa_exception_fp_ieee_underflow 0
		.amdhsa_exception_fp_ieee_inexact 0
		.amdhsa_exception_int_div_zero 0
	.end_amdhsa_kernel
	.section	.text._ZN2at6native12_GLOBAL__N_16kernel16gru_cell_forwardIddiLi2EEEvNS_4cuda6detail10TensorInfoIT_T1_EES9_S9_S9_S9_S9_S9_S8_S8_,"axG",@progbits,_ZN2at6native12_GLOBAL__N_16kernel16gru_cell_forwardIddiLi2EEEvNS_4cuda6detail10TensorInfoIT_T1_EES9_S9_S9_S9_S9_S9_S8_S8_,comdat
.Lfunc_end33:
	.size	_ZN2at6native12_GLOBAL__N_16kernel16gru_cell_forwardIddiLi2EEEvNS_4cuda6detail10TensorInfoIT_T1_EES9_S9_S9_S9_S9_S9_S8_S8_, .Lfunc_end33-_ZN2at6native12_GLOBAL__N_16kernel16gru_cell_forwardIddiLi2EEEvNS_4cuda6detail10TensorInfoIT_T1_EES9_S9_S9_S9_S9_S9_S8_S8_
                                        ; -- End function
	.section	.AMDGPU.csdata,"",@progbits
; Kernel info:
; codeLenInByte = 4932
; NumSgprs: 100
; NumVgprs: 50
; NumAgprs: 0
; TotalNumVgprs: 50
; ScratchSize: 0
; MemoryBound: 0
; FloatMode: 240
; IeeeMode: 1
; LDSByteSize: 0 bytes/workgroup (compile time only)
; SGPRBlocks: 12
; VGPRBlocks: 6
; NumSGPRsForWavesPerEU: 100
; NumVGPRsForWavesPerEU: 50
; AccumOffset: 52
; Occupancy: 8
; WaveLimiterHint : 1
; COMPUTE_PGM_RSRC2:SCRATCH_EN: 0
; COMPUTE_PGM_RSRC2:USER_SGPR: 6
; COMPUTE_PGM_RSRC2:TRAP_HANDLER: 0
; COMPUTE_PGM_RSRC2:TGID_X_EN: 1
; COMPUTE_PGM_RSRC2:TGID_Y_EN: 0
; COMPUTE_PGM_RSRC2:TGID_Z_EN: 0
; COMPUTE_PGM_RSRC2:TIDIG_COMP_CNT: 0
; COMPUTE_PGM_RSRC3_GFX90A:ACCUM_OFFSET: 12
; COMPUTE_PGM_RSRC3_GFX90A:TG_SPLIT: 0
	.section	.text._ZN2at6native12_GLOBAL__N_16kernel16gru_cell_forwardIddlLi1EEEvNS_4cuda6detail10TensorInfoIT_T1_EES9_S9_S9_S9_S9_S9_S8_S8_,"axG",@progbits,_ZN2at6native12_GLOBAL__N_16kernel16gru_cell_forwardIddlLi1EEEvNS_4cuda6detail10TensorInfoIT_T1_EES9_S9_S9_S9_S9_S9_S8_S8_,comdat
	.globl	_ZN2at6native12_GLOBAL__N_16kernel16gru_cell_forwardIddlLi1EEEvNS_4cuda6detail10TensorInfoIT_T1_EES9_S9_S9_S9_S9_S9_S8_S8_ ; -- Begin function _ZN2at6native12_GLOBAL__N_16kernel16gru_cell_forwardIddlLi1EEEvNS_4cuda6detail10TensorInfoIT_T1_EES9_S9_S9_S9_S9_S9_S8_S8_
	.p2align	8
	.type	_ZN2at6native12_GLOBAL__N_16kernel16gru_cell_forwardIddlLi1EEEvNS_4cuda6detail10TensorInfoIT_T1_EES9_S9_S9_S9_S9_S9_S8_S8_,@function
_ZN2at6native12_GLOBAL__N_16kernel16gru_cell_forwardIddlLi1EEEvNS_4cuda6detail10TensorInfoIT_T1_EES9_S9_S9_S9_S9_S9_S8_S8_: ; @_ZN2at6native12_GLOBAL__N_16kernel16gru_cell_forwardIddlLi1EEEvNS_4cuda6detail10TensorInfoIT_T1_EES9_S9_S9_S9_S9_S9_S8_S8_
; %bb.0:
	s_load_dword s2, s[4:5], 0xb7c
	s_load_dwordx4 s[8:11], s[4:5], 0xb60
	s_add_u32 s0, s4, 0xb70
	s_addc_u32 s1, s5, 0
	v_mov_b32_e32 v2, 0
	s_waitcnt lgkmcnt(0)
	s_and_b32 s30, s2, 0xffff
	s_mul_i32 s6, s6, s30
	v_add_u32_e32 v0, s6, v0
	v_mov_b32_e32 v1, v2
	v_cmp_gt_i64_e32 vcc, s[10:11], v[0:1]
	s_and_saveexec_b64 s[2:3], vcc
	s_cbranch_execz .LBB34_9
; %bb.1:
	s_load_dwordx2 s[2:3], s[4:5], 0x0
	s_load_dwordx2 s[6:7], s[4:5], 0xd0
	;; [unrolled: 1-line block ×12, first 2 shown]
	s_load_dword s31, s[0:1], 0x0
	s_load_dwordx2 s[24:25], s[4:5], 0x9c0
	s_load_dwordx2 s[26:27], s[4:5], 0xa90
	s_waitcnt lgkmcnt(0)
	s_cmp_lg_u64 s[16:17], 0
	v_mul_lo_u32 v3, 0, s38
	v_mul_lo_u32 v6, v0, s39
	v_mad_u64_u32 v[4:5], s[0:1], v0, s38, 0
	s_cselect_b64 s[28:29], -1, 0
	s_mul_i32 s33, s31, s30
	s_lshl_b64 s[30:31], s[8:9], 1
	s_lshl_b64 s[34:35], s[8:9], 2
	v_add3_u32 v5, v5, v6, v3
	s_sub_u32 s89, 0, s8
	v_lshlrev_b64 v[4:5], 3, v[4:5]
	s_mul_i32 s0, s33, s39
	s_mul_hi_u32 s1, s33, s38
	s_subb_u32 s90, 0, s9
	v_mov_b32_e32 v3, s37
	v_add_co_u32_e32 v4, vcc, s36, v4
	s_add_i32 s1, s1, s0
	s_mul_i32 s0, s33, s38
	v_addc_co_u32_e32 v5, vcc, v3, v5, vcc
	s_lshl_b64 s[36:37], s[0:1], 3
	v_mul_lo_u32 v3, 0, s42
	v_mul_lo_u32 v8, v0, s43
	v_mad_u64_u32 v[6:7], s[0:1], v0, s42, 0
	v_add3_u32 v7, v7, v8, v3
	v_lshlrev_b64 v[6:7], 3, v[6:7]
	s_mul_i32 s0, s33, s43
	s_mul_hi_u32 s1, s33, s42
	v_mov_b32_e32 v3, s41
	v_add_co_u32_e32 v6, vcc, s40, v6
	s_add_i32 s1, s1, s0
	s_mul_i32 s0, s33, s42
	s_mov_b32 s40, 0x652b82fe
	s_mov_b32 s42, 0xfefa39ef
	;; [unrolled: 1-line block ×19, first 2 shown]
	s_mov_b64 s[4:5], 0
	s_mov_b32 s88, 0
	v_addc_co_u32_e32 v7, vcc, v3, v7, vcc
	s_lshl_b64 s[38:39], s[0:1], 3
	s_mov_b32 s41, 0xbff71547
	s_mov_b32 s43, 0xbfe62e42
	;; [unrolled: 1-line block ×15, first 2 shown]
	s_brev_b32 s91, -2
	s_mov_b32 s71, 0x3ff71547
	s_mov_b32 s72, 0xfefa3000
	v_mov_b32_e32 v38, 0x3ff00000
	s_mov_b32 s75, 0xbd53de6a
	s_mov_b32 s77, 0xbac9cc01
	;; [unrolled: 1-line block ×4, first 2 shown]
	s_branch .LBB34_3
.LBB34_2:                               ;   in Loop: Header=BB34_3 Depth=1
	s_waitcnt vmcnt(3)
	v_add_f64 v[22:23], v[22:23], v[26:27]
	v_add_f64 v[22:23], v[22:23], v[34:35]
	s_waitcnt vmcnt(2)
	v_add_f64 v[22:23], v[36:37], v[22:23]
	v_mul_f64 v[26:27], v[22:23], s[40:41]
	v_rndne_f64_e32 v[26:27], v[26:27]
	v_fma_f64 v[34:35], v[26:27], s[42:43], -v[22:23]
	v_fmac_f64_e32 v[34:35], s[44:45], v[26:27]
	v_pk_mov_b32 v[36:37], s[46:47], s[46:47] op_sel:[0,1]
	v_fma_f64 v[40:41], s[48:49], v[34:35], v[36:37]
	v_fma_f64 v[40:41], v[34:35], v[40:41], s[50:51]
	v_fma_f64 v[40:41], v[34:35], v[40:41], s[52:53]
	v_fma_f64 v[40:41], v[34:35], v[40:41], s[54:55]
	v_fma_f64 v[40:41], v[34:35], v[40:41], s[56:57]
	v_add_f64 v[18:19], v[18:19], v[20:21]
	v_fma_f64 v[40:41], v[34:35], v[40:41], s[58:59]
	v_add_f64 v[18:19], v[18:19], v[30:31]
	v_fma_f64 v[40:41], v[34:35], v[40:41], s[60:61]
	s_waitcnt vmcnt(1)
	v_add_f64 v[20:21], v[18:19], v[32:33]
	v_fma_f64 v[40:41], v[34:35], v[40:41], s[62:63]
	v_mul_f64 v[18:19], v[20:21], s[40:41]
	v_fma_f64 v[40:41], v[34:35], v[40:41], s[64:65]
	v_rndne_f64_e32 v[18:19], v[18:19]
	v_fma_f64 v[40:41], v[34:35], v[40:41], 1.0
	v_fma_f64 v[30:31], v[18:19], s[42:43], -v[20:21]
	v_fma_f64 v[34:35], v[34:35], v[40:41], 1.0
	v_cvt_i32_f64_e32 v3, v[26:27]
	v_fmac_f64_e32 v[30:31], s[44:45], v[18:19]
	v_ldexp_f64 v[26:27], v[34:35], v3
	v_fma_f64 v[32:33], s[48:49], v[30:31], v[36:37]
	v_add_f64 v[26:27], v[26:27], 1.0
	v_fma_f64 v[32:33], v[30:31], v[32:33], s[50:51]
	v_div_scale_f64 v[34:35], s[0:1], v[26:27], v[26:27], 1.0
	v_fma_f64 v[32:33], v[30:31], v[32:33], s[52:53]
	v_rcp_f64_e32 v[40:41], v[34:35]
	v_fma_f64 v[32:33], v[30:31], v[32:33], s[54:55]
	v_fma_f64 v[32:33], v[30:31], v[32:33], s[56:57]
	;; [unrolled: 1-line block ×4, first 2 shown]
	v_fma_f64 v[42:43], -v[34:35], v[40:41], 1.0
	v_fma_f64 v[32:33], v[30:31], v[32:33], s[62:63]
	v_fmac_f64_e32 v[40:41], v[40:41], v[42:43]
	v_fma_f64 v[32:33], v[30:31], v[32:33], s[64:65]
	v_fma_f64 v[42:43], -v[34:35], v[40:41], 1.0
	v_fma_f64 v[32:33], v[30:31], v[32:33], 1.0
	v_fmac_f64_e32 v[40:41], v[40:41], v[42:43]
	v_div_scale_f64 v[42:43], vcc, 1.0, v[26:27], 1.0
	v_fma_f64 v[30:31], v[30:31], v[32:33], 1.0
	v_cvt_i32_f64_e32 v18, v[18:19]
	v_mul_f64 v[44:45], v[42:43], v[40:41]
	v_ldexp_f64 v[18:19], v[30:31], v18
	v_fma_f64 v[34:35], -v[34:35], v[44:45], v[42:43]
	v_add_f64 v[30:31], v[18:19], 1.0
	v_div_fmas_f64 v[34:35], v[34:35], v[40:41], v[44:45]
	v_div_scale_f64 v[32:33], s[0:1], v[30:31], v[30:31], 1.0
	v_div_fixup_f64 v[26:27], v[34:35], v[26:27], 1.0
	v_rcp_f64_e32 v[34:35], v[32:33]
	v_mad_u64_u32 v[12:13], s[0:1], s34, v8, v[0:1]
	v_cmp_ngt_f64_e32 vcc, s[66:67], v[22:23]
	v_cmp_nlt_f64_e64 s[0:1], s[68:69], v[22:23]
	v_fma_f64 v[22:23], -v[32:33], v[34:35], 1.0
	v_mul_lo_u32 v3, s34, v9
	v_mul_lo_u32 v39, s35, v8
	v_fmac_f64_e32 v[34:35], v[34:35], v[22:23]
	v_add3_u32 v3, v39, v13, v3
	v_cndmask_b32_e32 v13, 0, v27, vcc
	s_and_b64 vcc, s[0:1], vcc
	v_fma_f64 v[22:23], -v[32:33], v[34:35], 1.0
	v_cndmask_b32_e32 v18, 0, v26, vcc
	v_fmac_f64_e32 v[34:35], v[34:35], v[22:23]
	v_div_scale_f64 v[22:23], vcc, 1.0, v[30:31], 1.0
	v_mul_f64 v[26:27], v[22:23], v[34:35]
	v_fma_f64 v[22:23], -v[32:33], v[26:27], v[22:23]
	v_cndmask_b32_e64 v19, v38, v13, s[0:1]
	s_nop 0
	v_div_fmas_f64 v[22:23], v[22:23], v[34:35], v[26:27]
	v_div_fixup_f64 v[22:23], v[22:23], v[30:31], 1.0
	v_cmp_ngt_f64_e32 vcc, s[66:67], v[20:21]
	v_cmp_nlt_f64_e64 s[0:1], s[68:69], v[20:21]
	v_cndmask_b32_e32 v13, 0, v23, vcc
	s_and_b64 vcc, s[0:1], vcc
	v_cndmask_b32_e32 v20, 0, v22, vcc
	v_add_f64 v[22:23], v[14:15], v[24:25]
	s_waitcnt vmcnt(0)
	v_add_f64 v[14:15], v[16:17], v[28:29]
	v_fmac_f64_e32 v[22:23], v[14:15], v[18:19]
	s_mov_b32 s70, s40
	v_mul_f64 v[16:17], |v[22:23]|, s[70:71]
	v_rndne_f64_e32 v[16:17], v[16:17]
	s_mov_b32 s73, s43
	v_fma_f64 v[24:25], v[16:17], s[72:73], |v[22:23]|
	v_add_f64 v[26:27], v[24:25], 0
	v_mul_f64 v[28:29], v[16:17], s[74:75]
	v_add_f64 v[30:31], v[26:27], v[28:29]
	v_add_f64 v[24:25], v[24:25], -v[26:27]
	v_add_f64 v[26:27], v[26:27], -v[30:31]
	v_add_f64 v[24:25], v[24:25], 0
	v_add_f64 v[26:27], v[26:27], v[28:29]
	;; [unrolled: 1-line block ×4, first 2 shown]
	v_add_f64 v[28:29], v[30:31], -v[26:27]
	v_add_f64 v[24:25], v[24:25], v[28:29]
	v_mul_f64 v[28:29], v[16:17], s[76:77]
	v_add_f64 v[30:31], v[26:27], v[28:29]
	v_add_f64 v[26:27], v[26:27], -v[30:31]
	v_add_f64 v[26:27], v[26:27], v[28:29]
	v_add_f64 v[24:25], v[24:25], v[26:27]
	;; [unrolled: 1-line block ×3, first 2 shown]
	v_add_f64 v[28:29], v[30:31], -v[26:27]
	v_add_f64 v[24:25], v[24:25], v[28:29]
	v_fma_f64 v[28:29], s[48:49], v[26:27], v[36:37]
	v_fma_f64 v[28:29], v[26:27], v[28:29], s[50:51]
	;; [unrolled: 1-line block ×5, first 2 shown]
	v_mul_f64 v[30:31], v[26:27], v[26:27]
	v_fma_f64 v[28:29], v[26:27], v[28:29], s[58:59]
	v_fma_f64 v[32:33], v[26:27], v[26:27], -v[30:31]
	v_add_f64 v[34:35], v[24:25], v[24:25]
	v_fma_f64 v[28:29], v[26:27], v[28:29], s[60:61]
	v_fmac_f64_e32 v[32:33], v[26:27], v[34:35]
	v_fma_f64 v[28:29], v[26:27], v[28:29], s[62:63]
	v_add_f64 v[34:35], v[30:31], v[32:33]
	v_fma_f64 v[28:29], v[26:27], v[28:29], s[64:65]
	v_add_f64 v[30:31], v[34:35], -v[30:31]
	v_add_f64 v[30:31], v[32:33], -v[30:31]
	v_mul_f64 v[32:33], v[34:35], v[28:29]
	v_fma_f64 v[34:35], v[34:35], v[28:29], -v[32:33]
	v_fmac_f64_e32 v[34:35], v[30:31], v[28:29]
	v_add_f64 v[28:29], v[32:33], v[34:35]
	v_add_f64 v[30:31], v[28:29], -v[32:33]
	v_add_f64 v[32:33], v[26:27], v[28:29]
	v_add_f64 v[30:31], v[34:35], -v[30:31]
	v_add_f64 v[26:27], v[32:33], -v[26:27]
	;; [unrolled: 1-line block ×3, first 2 shown]
	v_add_f64 v[24:25], v[24:25], v[30:31]
	v_add_f64 v[24:25], v[24:25], v[26:27]
	;; [unrolled: 1-line block ×3, first 2 shown]
	v_add_f64 v[28:29], v[26:27], -v[32:33]
	v_add_f64 v[24:25], v[24:25], -v[28:29]
	v_add_f64 v[28:29], v[26:27], 1.0
	v_add_f64 v[30:31], v[28:29], -1.0
	v_add_f64 v[26:27], v[26:27], -v[30:31]
	v_add_f64 v[24:25], v[24:25], v[26:27]
	v_add_f64 v[26:27], v[28:29], v[24:25]
	v_cvt_i32_f64_e32 v32, v[16:17]
	v_ldexp_f64 v[16:17], v[26:27], v32
	v_rcp_f64_e32 v[30:31], v[16:17]
	v_add_f64 v[26:27], v[26:27], -v[28:29]
	v_add_f64 v[24:25], v[24:25], -v[26:27]
	v_ldexp_f64 v[24:25], v[24:25], v32
	v_fma_f64 v[26:27], -v[16:17], v[30:31], 1.0
	v_fmac_f64_e32 v[30:31], v[26:27], v[30:31]
	v_fma_f64 v[26:27], -v[16:17], v[30:31], 1.0
	v_fmac_f64_e32 v[30:31], v[26:27], v[30:31]
	v_mul_f64 v[26:27], v[16:17], v[30:31]
	v_fma_f64 v[28:29], v[30:31], v[16:17], -v[26:27]
	v_fmac_f64_e32 v[28:29], v[30:31], v[24:25]
	v_add_f64 v[32:33], v[26:27], v[28:29]
	v_add_f64 v[34:35], -v[32:33], 1.0
	v_add_f64 v[26:27], v[32:33], -v[26:27]
	v_add_f64 v[36:37], -v[34:35], 1.0
	v_add_f64 v[32:33], v[36:37], -v[32:33]
	v_add_f64 v[26:27], v[26:27], -v[28:29]
	v_add_f64 v[26:27], v[26:27], v[32:33]
	v_add_f64 v[28:29], v[34:35], v[26:27]
	v_add_f64 v[32:33], v[34:35], -v[28:29]
	v_add_f64 v[26:27], v[26:27], v[32:33]
	v_mul_f64 v[32:33], v[30:31], v[28:29]
	v_mul_f64 v[34:35], v[16:17], v[32:33]
	v_fma_f64 v[36:37], v[32:33], v[16:17], -v[34:35]
	v_fmac_f64_e32 v[36:37], v[32:33], v[24:25]
	v_add_f64 v[40:41], v[34:35], v[36:37]
	v_add_f64 v[42:43], v[28:29], -v[40:41]
	v_add_f64 v[28:29], v[28:29], -v[42:43]
	;; [unrolled: 1-line block ×4, first 2 shown]
	v_add_f64 v[26:27], v[26:27], v[28:29]
	v_add_f64 v[28:29], v[34:35], -v[36:37]
	v_add_f64 v[26:27], v[28:29], v[26:27]
	v_add_f64 v[26:27], v[42:43], v[26:27]
	;; [unrolled: 1-line block ×3, first 2 shown]
	v_mul_f64 v[26:27], v[30:31], v[26:27]
	v_add_f64 v[30:31], v[28:29], -v[30:31]
	v_add_f64 v[30:31], v[32:33], -v[30:31]
	v_add_f64 v[26:27], v[30:31], v[26:27]
	v_add_f64 v[30:31], v[28:29], v[26:27]
	v_add_f64 v[28:29], v[30:31], -v[28:29]
	v_add_f64 v[26:27], v[26:27], -v[28:29]
	;; [unrolled: 1-line block ×4, first 2 shown]
	v_add_f64 v[36:37], v[16:17], v[30:31]
	v_add_f64 v[32:33], v[32:33], -v[30:31]
	v_add_f64 v[16:17], v[36:37], -v[16:17]
	v_add_f64 v[32:33], v[24:25], v[32:33]
	v_add_f64 v[16:17], v[30:31], -v[16:17]
	v_add_f64 v[24:25], v[24:25], v[26:27]
	v_add_f64 v[16:17], v[24:25], v[16:17]
	;; [unrolled: 1-line block ×3, first 2 shown]
	v_add_f64 v[32:33], v[32:33], -v[26:27]
	v_rcp_f64_e32 v[26:27], v[24:25]
	v_add_f64 v[30:31], v[24:25], -v[36:37]
	v_add_f64 v[16:17], v[16:17], -v[30:31]
	v_add_f64 v[34:35], v[28:29], v[32:33]
	v_fma_f64 v[30:31], -v[24:25], v[26:27], 1.0
	v_fmac_f64_e32 v[26:27], v[30:31], v[26:27]
	v_fma_f64 v[30:31], -v[24:25], v[26:27], 1.0
	v_fmac_f64_e32 v[26:27], v[30:31], v[26:27]
	v_add_f64 v[28:29], v[34:35], -v[28:29]
	v_mul_f64 v[30:31], v[34:35], v[26:27]
	v_add_f64 v[28:29], v[32:33], -v[28:29]
	v_mul_f64 v[32:33], v[24:25], v[30:31]
	v_fma_f64 v[24:25], v[30:31], v[24:25], -v[32:33]
	v_fmac_f64_e32 v[24:25], v[30:31], v[16:17]
	v_add_f64 v[16:17], v[32:33], v[24:25]
	v_add_f64 v[32:33], v[16:17], -v[32:33]
	v_add_f64 v[24:25], v[24:25], -v[32:33]
	;; [unrolled: 1-line block ×6, first 2 shown]
	v_add_f64 v[16:17], v[28:29], v[16:17]
	v_add_f64 v[16:17], v[32:33], v[16:17]
	v_mul_f64 v[16:17], v[26:27], v[16:17]
	v_add_f64 v[16:17], v[30:31], v[16:17]
	v_cmp_ngt_f64_e64 vcc, |v[22:23]|, s[78:79]
	v_cndmask_b32_e64 v21, v38, v13, s[0:1]
	v_and_b32_e32 v13, 0x7fffffff, v23
	v_cndmask_b32_e32 v17, v38, v17, vcc
	v_cndmask_b32_e32 v16, 0, v16, vcc
	v_cmp_lt_f64_e64 vcc, |v[22:23]|, s[80:81]
	v_cndmask_b32_e32 v13, v17, v13, vcc
	v_cndmask_b32_e32 v16, v16, v22, vcc
	v_bfi_b32 v17, s91, v13, v23
	v_add_f64 v[22:23], v[10:11], -v[16:17]
	v_fma_f64 v[22:23], v[20:21], v[22:23], v[16:17]
	global_store_dwordx2 v[6:7], v[22:23], off
	v_mul_lo_u32 v22, v12, s27
	v_mul_lo_u32 v3, v3, s26
	v_mad_u64_u32 v[12:13], s[0:1], v12, s26, 0
	v_add3_u32 v13, v13, v22, v3
	v_lshlrev_b64 v[12:13], 3, v[12:13]
	v_mov_b32_e32 v3, s25
	v_add_co_u32_e32 v12, vcc, s24, v12
	v_addc_co_u32_e32 v13, vcc, v3, v13, vcc
	v_lshlrev_b64 v[8:9], 2, v[8:9]
	global_store_dwordx2 v[12:13], v[18:19], off
	v_or_b32_e32 v12, 1, v8
	v_mul_lo_u32 v18, s8, v9
	v_mul_lo_u32 v19, s9, v12
	v_mad_u64_u32 v[12:13], s[0:1], s8, v12, v[0:1]
	v_add3_u32 v13, v19, v13, v18
	v_mul_lo_u32 v19, v13, s26
	v_mul_lo_u32 v22, v12, s27
	v_mad_u64_u32 v[12:13], s[0:1], v12, s26, 0
	v_add3_u32 v13, v13, v22, v19
	v_lshlrev_b64 v[12:13], 3, v[12:13]
	v_add_co_u32_e32 v12, vcc, s24, v12
	v_addc_co_u32_e32 v13, vcc, v3, v13, vcc
	global_store_dwordx2 v[12:13], v[20:21], off
	v_or_b32_e32 v12, 2, v8
	v_mul_lo_u32 v19, s9, v12
	v_mad_u64_u32 v[12:13], s[0:1], s8, v12, v[0:1]
	v_add3_u32 v13, v19, v13, v18
	v_mul_lo_u32 v19, v13, s26
	v_mul_lo_u32 v20, v12, s27
	v_mad_u64_u32 v[12:13], s[0:1], v12, s26, 0
	v_add3_u32 v13, v13, v20, v19
	v_lshlrev_b64 v[12:13], 3, v[12:13]
	v_add_co_u32_e32 v12, vcc, s24, v12
	v_addc_co_u32_e32 v13, vcc, v3, v13, vcc
	global_store_dwordx2 v[12:13], v[16:17], off
	v_or_b32_e32 v12, 3, v8
	v_mul_lo_u32 v16, s9, v12
	v_mad_u64_u32 v[12:13], s[0:1], s8, v12, v[0:1]
	v_add3_u32 v13, v16, v13, v18
	v_mul_lo_u32 v16, v13, s26
	v_mul_lo_u32 v17, v12, s27
	v_mad_u64_u32 v[12:13], s[0:1], v12, s26, 0
	v_add3_u32 v13, v13, v17, v16
	v_lshlrev_b64 v[12:13], 3, v[12:13]
	v_add_co_u32_e32 v12, vcc, s24, v12
	v_addc_co_u32_e32 v13, vcc, v3, v13, vcc
	v_add_co_u32_e32 v8, vcc, 4, v8
	v_addc_co_u32_e32 v9, vcc, 0, v9, vcc
	global_store_dwordx2 v[12:13], v[10:11], off
	v_mul_lo_u32 v10, s8, v9
	v_mul_lo_u32 v11, s9, v8
	v_mad_u64_u32 v[8:9], s[0:1], s8, v8, v[0:1]
	v_add3_u32 v9, v11, v9, v10
	v_mul_lo_u32 v10, v9, s26
	v_mul_lo_u32 v11, v8, s27
	v_mad_u64_u32 v[8:9], s[0:1], v8, s26, 0
	v_add3_u32 v9, v9, v11, v10
	v_lshlrev_b64 v[8:9], 3, v[8:9]
	v_add_co_u32_e32 v8, vcc, s24, v8
	v_addc_co_u32_e32 v9, vcc, v3, v9, vcc
	v_mov_b32_e32 v3, s88
	v_add_co_u32_e32 v0, vcc, s33, v0
	v_addc_co_u32_e32 v1, vcc, v1, v3, vcc
	v_mov_b32_e32 v3, s37
	v_add_co_u32_e32 v4, vcc, s36, v4
	v_addc_co_u32_e32 v5, vcc, v5, v3, vcc
	v_cmp_le_i64_e32 vcc, s[10:11], v[0:1]
	v_mov_b32_e32 v3, s39
	s_or_b64 s[4:5], vcc, s[4:5]
	v_add_co_u32_e32 v6, vcc, s38, v6
	v_addc_co_u32_e32 v7, vcc, v7, v3, vcc
	global_store_dwordx2 v[8:9], v[14:15], off
	s_andn2_b64 exec, exec, s[4:5]
	s_cbranch_execz .LBB34_9
.LBB34_3:                               ; =>This Inner Loop Header: Depth=1
	v_or_b32_e32 v3, s9, v1
	v_cmp_ne_u64_e32 vcc, 0, v[2:3]
                                        ; implicit-def: $vgpr8_vgpr9
	s_and_saveexec_b64 s[0:1], vcc
	s_xor_b64 s[82:83], exec, s[0:1]
	s_cbranch_execz .LBB34_5
; %bb.4:                                ;   in Loop: Header=BB34_3 Depth=1
	s_ashr_i32 s84, s9, 31
	s_add_u32 s0, s8, s84
	s_mov_b32 s85, s84
	s_addc_u32 s1, s9, s84
	s_xor_b64 s[86:87], s[0:1], s[84:85]
	v_cvt_f32_u32_e32 v3, s86
	v_cvt_f32_u32_e32 v8, s87
	s_sub_u32 s0, 0, s86
	s_subb_u32 s1, 0, s87
	v_mac_f32_e32 v3, 0x4f800000, v8
	v_rcp_f32_e32 v3, v3
	v_mul_f32_e32 v3, 0x5f7ffffc, v3
	v_mul_f32_e32 v8, 0x2f800000, v3
	v_trunc_f32_e32 v8, v8
	v_mac_f32_e32 v3, 0xcf800000, v8
	v_cvt_u32_f32_e32 v8, v8
	v_cvt_u32_f32_e32 v3, v3
	v_mul_lo_u32 v9, s0, v8
	v_mul_hi_u32 v11, s0, v3
	v_mul_lo_u32 v10, s1, v3
	v_add_u32_e32 v9, v11, v9
	v_mul_lo_u32 v12, s0, v3
	v_add_u32_e32 v9, v9, v10
	v_mul_lo_u32 v11, v3, v9
	v_mul_hi_u32 v13, v3, v12
	v_mul_hi_u32 v10, v3, v9
	v_add_co_u32_e32 v11, vcc, v13, v11
	v_addc_co_u32_e32 v10, vcc, 0, v10, vcc
	v_mul_hi_u32 v14, v8, v12
	v_mul_lo_u32 v12, v8, v12
	v_add_co_u32_e32 v11, vcc, v11, v12
	v_mul_hi_u32 v13, v8, v9
	v_addc_co_u32_e32 v10, vcc, v10, v14, vcc
	v_addc_co_u32_e32 v11, vcc, 0, v13, vcc
	v_mul_lo_u32 v9, v8, v9
	v_add_co_u32_e32 v9, vcc, v10, v9
	v_addc_co_u32_e32 v10, vcc, 0, v11, vcc
	v_add_co_u32_e32 v3, vcc, v3, v9
	v_addc_co_u32_e32 v8, vcc, v8, v10, vcc
	v_mul_lo_u32 v9, s0, v8
	v_mul_hi_u32 v10, s0, v3
	v_add_u32_e32 v9, v10, v9
	v_mul_lo_u32 v10, s1, v3
	v_add_u32_e32 v9, v9, v10
	v_mul_lo_u32 v11, s0, v3
	v_mul_hi_u32 v12, v8, v11
	v_mul_lo_u32 v13, v8, v11
	v_mul_lo_u32 v15, v3, v9
	v_mul_hi_u32 v11, v3, v11
	v_mul_hi_u32 v14, v3, v9
	v_add_co_u32_e32 v11, vcc, v11, v15
	v_addc_co_u32_e32 v14, vcc, 0, v14, vcc
	v_add_co_u32_e32 v11, vcc, v11, v13
	v_mul_hi_u32 v10, v8, v9
	v_addc_co_u32_e32 v11, vcc, v14, v12, vcc
	v_addc_co_u32_e32 v10, vcc, 0, v10, vcc
	v_mul_lo_u32 v9, v8, v9
	v_add_co_u32_e32 v9, vcc, v11, v9
	v_addc_co_u32_e32 v10, vcc, 0, v10, vcc
	v_add_co_u32_e32 v3, vcc, v3, v9
	v_addc_co_u32_e32 v10, vcc, v8, v10, vcc
	v_ashrrev_i32_e32 v12, 31, v1
	v_add_co_u32_e32 v8, vcc, v0, v12
	v_addc_co_u32_e32 v9, vcc, v1, v12, vcc
	v_xor_b32_e32 v14, v8, v12
	v_xor_b32_e32 v13, v9, v12
	v_mad_u64_u32 v[8:9], s[0:1], v14, v10, 0
	v_mul_hi_u32 v11, v14, v3
	v_add_co_u32_e32 v15, vcc, v11, v8
	v_addc_co_u32_e32 v16, vcc, 0, v9, vcc
	v_mad_u64_u32 v[8:9], s[0:1], v13, v10, 0
	v_mad_u64_u32 v[10:11], s[0:1], v13, v3, 0
	v_add_co_u32_e32 v3, vcc, v15, v10
	v_addc_co_u32_e32 v3, vcc, v16, v11, vcc
	v_addc_co_u32_e32 v9, vcc, 0, v9, vcc
	v_add_co_u32_e32 v3, vcc, v3, v8
	v_addc_co_u32_e32 v10, vcc, 0, v9, vcc
	v_mul_lo_u32 v11, s87, v3
	v_mul_lo_u32 v15, s86, v10
	v_mad_u64_u32 v[8:9], s[0:1], s86, v3, 0
	v_add3_u32 v9, v9, v15, v11
	v_sub_u32_e32 v11, v13, v9
	v_mov_b32_e32 v15, s87
	v_sub_co_u32_e32 v8, vcc, v14, v8
	v_subb_co_u32_e64 v11, s[0:1], v11, v15, vcc
	v_subrev_co_u32_e64 v14, s[0:1], s86, v8
	v_subbrev_co_u32_e64 v11, s[0:1], 0, v11, s[0:1]
	v_cmp_le_u32_e64 s[0:1], s87, v11
	v_cndmask_b32_e64 v15, 0, -1, s[0:1]
	v_cmp_le_u32_e64 s[0:1], s86, v14
	v_cndmask_b32_e64 v14, 0, -1, s[0:1]
	v_cmp_eq_u32_e64 s[0:1], s87, v11
	v_cndmask_b32_e64 v11, v15, v14, s[0:1]
	v_add_co_u32_e64 v14, s[0:1], 2, v3
	v_subb_co_u32_e32 v9, vcc, v13, v9, vcc
	v_addc_co_u32_e64 v15, s[0:1], 0, v10, s[0:1]
	v_cmp_le_u32_e32 vcc, s87, v9
	v_add_co_u32_e64 v16, s[0:1], 1, v3
	v_cndmask_b32_e64 v13, 0, -1, vcc
	v_cmp_le_u32_e32 vcc, s86, v8
	v_addc_co_u32_e64 v17, s[0:1], 0, v10, s[0:1]
	v_cndmask_b32_e64 v8, 0, -1, vcc
	v_cmp_eq_u32_e32 vcc, s87, v9
	v_cmp_ne_u32_e64 s[0:1], 0, v11
	v_cndmask_b32_e32 v8, v13, v8, vcc
	v_cmp_ne_u32_e32 vcc, 0, v8
	v_cndmask_b32_e64 v9, v16, v14, s[0:1]
	v_cndmask_b32_e64 v11, v17, v15, s[0:1]
	v_cndmask_b32_e32 v3, v3, v9, vcc
	v_xor_b32_e32 v9, s84, v12
	v_cndmask_b32_e32 v8, v10, v11, vcc
	v_xor_b32_e32 v3, v3, v9
	v_xor_b32_e32 v10, v8, v9
	v_sub_co_u32_e32 v8, vcc, v3, v9
	v_subb_co_u32_e32 v9, vcc, v10, v9, vcc
.LBB34_5:                               ;   in Loop: Header=BB34_3 Depth=1
	s_andn2_saveexec_b64 s[0:1], s[82:83]
	s_cbranch_execz .LBB34_7
; %bb.6:                                ;   in Loop: Header=BB34_3 Depth=1
	v_cvt_f32_u32_e32 v3, s8
	s_sub_i32 s70, 0, s8
	v_rcp_iflag_f32_e32 v3, v3
	v_mul_f32_e32 v3, 0x4f7ffffe, v3
	v_cvt_u32_f32_e32 v3, v3
	v_mul_lo_u32 v8, s70, v3
	v_mul_hi_u32 v8, v3, v8
	v_add_u32_e32 v3, v3, v8
	v_mul_hi_u32 v3, v0, v3
	v_mul_lo_u32 v8, v3, s8
	v_sub_u32_e32 v8, v0, v8
	v_add_u32_e32 v9, 1, v3
	v_subrev_u32_e32 v10, s8, v8
	v_cmp_le_u32_e32 vcc, s8, v8
	v_cndmask_b32_e32 v8, v8, v10, vcc
	v_cndmask_b32_e32 v3, v3, v9, vcc
	v_add_u32_e32 v9, 1, v3
	v_cmp_le_u32_e32 vcc, s8, v8
	v_cndmask_b32_e32 v8, v3, v9, vcc
	v_mov_b32_e32 v9, v2
.LBB34_7:                               ;   in Loop: Header=BB34_3 Depth=1
	s_or_b64 exec, exec, s[0:1]
	v_mad_u64_u32 v[10:11], s[0:1], s30, v8, v[0:1]
	v_mul_lo_u32 v3, s30, v9
	v_mul_lo_u32 v12, s31, v8
	v_add3_u32 v3, v12, v11, v3
	v_mul_lo_u32 v11, v10, s7
	v_mul_lo_u32 v14, v3, s6
	v_mad_u64_u32 v[12:13], s[0:1], v10, s6, 0
	v_add3_u32 v13, v13, v11, v14
	v_lshlrev_b64 v[14:15], 1, v[8:9]
	v_or_b32_e32 v16, 1, v14
	v_mul_lo_u32 v18, s8, v15
	v_mul_lo_u32 v19, s9, v16
	v_mad_u64_u32 v[16:17], s[0:1], s8, v16, v[0:1]
	v_add3_u32 v17, v19, v17, v18
	v_lshlrev_b64 v[12:13], 3, v[12:13]
	v_mul_lo_u32 v20, v17, s6
	v_mul_lo_u32 v21, v16, s7
	v_mad_u64_u32 v[18:19], s[0:1], v16, s6, 0
	v_mov_b32_e32 v11, s3
	v_add_co_u32_e32 v12, vcc, s2, v12
	v_add3_u32 v19, v19, v21, v20
	v_addc_co_u32_e32 v13, vcc, v11, v13, vcc
	v_lshlrev_b64 v[18:19], 3, v[18:19]
	v_add_co_u32_e32 v18, vcc, s2, v18
	v_addc_co_u32_e32 v19, vcc, v11, v19, vcc
	v_add_co_u32_e32 v14, vcc, 2, v14
	v_addc_co_u32_e32 v15, vcc, 0, v15, vcc
	v_mul_lo_u32 v15, s8, v15
	v_mul_lo_u32 v22, s9, v14
	v_mad_u64_u32 v[20:21], s[0:1], s8, v14, v[0:1]
	v_add3_u32 v21, v22, v21, v15
	v_mul_lo_u32 v22, v21, s6
	v_mul_lo_u32 v23, v20, s7
	v_mad_u64_u32 v[14:15], s[0:1], v20, s6, 0
	v_add3_u32 v15, v15, v23, v22
	v_lshlrev_b64 v[14:15], 3, v[14:15]
	v_add_co_u32_e32 v14, vcc, s2, v14
	v_addc_co_u32_e32 v15, vcc, v11, v15, vcc
	global_load_dwordx2 v[22:23], v[12:13], off
	s_nop 0
	global_load_dwordx2 v[18:19], v[18:19], off
	s_nop 0
	global_load_dwordx2 v[14:15], v[14:15], off
	v_mul_lo_u32 v12, v10, s15
	v_mul_lo_u32 v3, v3, s14
	v_mad_u64_u32 v[10:11], s[0:1], v10, s14, 0
	v_add3_u32 v11, v11, v12, v3
	v_lshlrev_b64 v[10:11], 3, v[10:11]
	v_mul_lo_u32 v17, v17, s14
	v_mul_lo_u32 v24, v16, s15
	v_mad_u64_u32 v[12:13], s[0:1], v16, s14, 0
	v_mov_b32_e32 v3, s13
	v_add_co_u32_e32 v10, vcc, s12, v10
	v_add3_u32 v13, v13, v24, v17
	v_addc_co_u32_e32 v11, vcc, v3, v11, vcc
	v_lshlrev_b64 v[12:13], 3, v[12:13]
	v_mul_lo_u32 v21, v21, s14
	v_mul_lo_u32 v24, v20, s15
	v_mad_u64_u32 v[16:17], s[0:1], v20, s14, 0
	v_add_co_u32_e32 v12, vcc, s12, v12
	v_add3_u32 v17, v17, v24, v21
	v_addc_co_u32_e32 v13, vcc, v3, v13, vcc
	v_lshlrev_b64 v[16:17], 3, v[16:17]
	v_add_co_u32_e32 v16, vcc, s12, v16
	v_addc_co_u32_e32 v17, vcc, v3, v17, vcc
	global_load_dwordx2 v[26:27], v[10:11], off
	global_load_dwordx2 v[20:21], v[12:13], off
	s_nop 0
	global_load_dwordx2 v[16:17], v[16:17], off
	s_nop 0
	global_load_dwordx2 v[10:11], v[4:5], off
	v_pk_mov_b32 v[30:31], 0, 0
	s_andn2_b64 vcc, exec, s[28:29]
	v_pk_mov_b32 v[24:25], v[30:31], v[30:31] op_sel:[0,1]
	v_pk_mov_b32 v[36:37], v[30:31], v[30:31] op_sel:[0,1]
	;; [unrolled: 1-line block ×5, first 2 shown]
	s_cbranch_vccnz .LBB34_2
; %bb.8:                                ;   in Loop: Header=BB34_3 Depth=1
	v_mad_u64_u32 v[12:13], s[0:1], s89, v8, v[0:1]
	v_mul_lo_u32 v3, s89, v9
	v_mul_lo_u32 v24, s90, v8
	v_add3_u32 v3, v24, v13, v3
	v_mul_lo_u32 v13, v12, s19
	v_mul_lo_u32 v28, v3, s18
	v_mad_u64_u32 v[24:25], s[0:1], v12, s18, 0
	v_add3_u32 v25, v25, v13, v28
	v_lshlrev_b64 v[24:25], 3, v[24:25]
	v_mov_b32_e32 v13, s17
	v_add_co_u32_e32 v24, vcc, s16, v24
	v_addc_co_u32_e32 v25, vcc, v13, v25, vcc
	v_sub_co_u32_e32 v28, vcc, 1, v8
	v_subb_co_u32_e32 v29, vcc, 0, v9, vcc
	v_mul_lo_u32 v30, s8, v29
	v_mul_lo_u32 v31, s9, v28
	v_mad_u64_u32 v[28:29], s[0:1], s8, v28, v[0:1]
	v_add3_u32 v29, v31, v29, v30
	v_mul_lo_u32 v32, v29, s18
	v_mul_lo_u32 v33, v28, s19
	v_mad_u64_u32 v[30:31], s[0:1], v28, s18, 0
	v_add3_u32 v31, v31, v33, v32
	v_lshlrev_b64 v[30:31], 3, v[30:31]
	v_add_co_u32_e32 v30, vcc, s16, v30
	v_addc_co_u32_e32 v31, vcc, v13, v31, vcc
	v_sub_co_u32_e32 v32, vcc, 2, v8
	v_subb_co_u32_e32 v33, vcc, 0, v9, vcc
	v_mul_lo_u32 v34, s8, v33
	v_mul_lo_u32 v35, s9, v32
	v_mad_u64_u32 v[32:33], s[0:1], s8, v32, v[0:1]
	v_add3_u32 v33, v35, v33, v34
	v_mul_lo_u32 v36, v33, s18
	v_mul_lo_u32 v37, v32, s19
	v_mad_u64_u32 v[34:35], s[0:1], v32, s18, 0
	v_add3_u32 v35, v35, v37, v36
	v_lshlrev_b64 v[34:35], 3, v[34:35]
	v_add_co_u32_e32 v36, vcc, s16, v34
	v_addc_co_u32_e32 v37, vcc, v13, v35, vcc
	global_load_dwordx2 v[34:35], v[24:25], off
	s_nop 0
	global_load_dwordx2 v[30:31], v[30:31], off
	s_nop 0
	global_load_dwordx2 v[24:25], v[36:37], off
	v_mul_lo_u32 v36, v12, s23
	v_mul_lo_u32 v3, v3, s22
	v_mad_u64_u32 v[12:13], s[0:1], v12, s22, 0
	v_add3_u32 v13, v13, v36, v3
	v_lshlrev_b64 v[12:13], 3, v[12:13]
	v_mul_lo_u32 v36, v29, s22
	v_mul_lo_u32 v37, v28, s23
	v_mad_u64_u32 v[28:29], s[0:1], v28, s22, 0
	v_mov_b32_e32 v3, s21
	v_add_co_u32_e32 v12, vcc, s20, v12
	v_add3_u32 v29, v29, v37, v36
	v_addc_co_u32_e32 v13, vcc, v3, v13, vcc
	v_lshlrev_b64 v[28:29], 3, v[28:29]
	v_mul_lo_u32 v36, v33, s22
	v_mul_lo_u32 v37, v32, s23
	v_mad_u64_u32 v[32:33], s[0:1], v32, s22, 0
	v_add_co_u32_e32 v28, vcc, s20, v28
	v_add3_u32 v33, v33, v37, v36
	v_addc_co_u32_e32 v29, vcc, v3, v29, vcc
	v_lshlrev_b64 v[32:33], 3, v[32:33]
	v_add_co_u32_e32 v40, vcc, s20, v32
	v_addc_co_u32_e32 v41, vcc, v3, v33, vcc
	global_load_dwordx2 v[36:37], v[12:13], off
	global_load_dwordx2 v[32:33], v[28:29], off
	s_nop 0
	global_load_dwordx2 v[28:29], v[40:41], off
	s_branch .LBB34_2
.LBB34_9:
	s_endpgm
	.section	.rodata,"a",@progbits
	.p2align	6, 0x0
	.amdhsa_kernel _ZN2at6native12_GLOBAL__N_16kernel16gru_cell_forwardIddlLi1EEEvNS_4cuda6detail10TensorInfoIT_T1_EES9_S9_S9_S9_S9_S9_S8_S8_
		.amdhsa_group_segment_fixed_size 0
		.amdhsa_private_segment_fixed_size 0
		.amdhsa_kernarg_size 3184
		.amdhsa_user_sgpr_count 6
		.amdhsa_user_sgpr_private_segment_buffer 1
		.amdhsa_user_sgpr_dispatch_ptr 0
		.amdhsa_user_sgpr_queue_ptr 0
		.amdhsa_user_sgpr_kernarg_segment_ptr 1
		.amdhsa_user_sgpr_dispatch_id 0
		.amdhsa_user_sgpr_flat_scratch_init 0
		.amdhsa_user_sgpr_kernarg_preload_length 0
		.amdhsa_user_sgpr_kernarg_preload_offset 0
		.amdhsa_user_sgpr_private_segment_size 0
		.amdhsa_uses_dynamic_stack 0
		.amdhsa_system_sgpr_private_segment_wavefront_offset 0
		.amdhsa_system_sgpr_workgroup_id_x 1
		.amdhsa_system_sgpr_workgroup_id_y 0
		.amdhsa_system_sgpr_workgroup_id_z 0
		.amdhsa_system_sgpr_workgroup_info 0
		.amdhsa_system_vgpr_workitem_id 0
		.amdhsa_next_free_vgpr 46
		.amdhsa_next_free_sgpr 92
		.amdhsa_accum_offset 48
		.amdhsa_reserve_vcc 1
		.amdhsa_reserve_flat_scratch 0
		.amdhsa_float_round_mode_32 0
		.amdhsa_float_round_mode_16_64 0
		.amdhsa_float_denorm_mode_32 3
		.amdhsa_float_denorm_mode_16_64 3
		.amdhsa_dx10_clamp 1
		.amdhsa_ieee_mode 1
		.amdhsa_fp16_overflow 0
		.amdhsa_tg_split 0
		.amdhsa_exception_fp_ieee_invalid_op 0
		.amdhsa_exception_fp_denorm_src 0
		.amdhsa_exception_fp_ieee_div_zero 0
		.amdhsa_exception_fp_ieee_overflow 0
		.amdhsa_exception_fp_ieee_underflow 0
		.amdhsa_exception_fp_ieee_inexact 0
		.amdhsa_exception_int_div_zero 0
	.end_amdhsa_kernel
	.section	.text._ZN2at6native12_GLOBAL__N_16kernel16gru_cell_forwardIddlLi1EEEvNS_4cuda6detail10TensorInfoIT_T1_EES9_S9_S9_S9_S9_S9_S8_S8_,"axG",@progbits,_ZN2at6native12_GLOBAL__N_16kernel16gru_cell_forwardIddlLi1EEEvNS_4cuda6detail10TensorInfoIT_T1_EES9_S9_S9_S9_S9_S9_S8_S8_,comdat
.Lfunc_end34:
	.size	_ZN2at6native12_GLOBAL__N_16kernel16gru_cell_forwardIddlLi1EEEvNS_4cuda6detail10TensorInfoIT_T1_EES9_S9_S9_S9_S9_S9_S8_S8_, .Lfunc_end34-_ZN2at6native12_GLOBAL__N_16kernel16gru_cell_forwardIddlLi1EEEvNS_4cuda6detail10TensorInfoIT_T1_EES9_S9_S9_S9_S9_S9_S8_S8_
                                        ; -- End function
	.section	.AMDGPU.csdata,"",@progbits
; Kernel info:
; codeLenInByte = 4712
; NumSgprs: 96
; NumVgprs: 46
; NumAgprs: 0
; TotalNumVgprs: 46
; ScratchSize: 0
; MemoryBound: 0
; FloatMode: 240
; IeeeMode: 1
; LDSByteSize: 0 bytes/workgroup (compile time only)
; SGPRBlocks: 11
; VGPRBlocks: 5
; NumSGPRsForWavesPerEU: 96
; NumVGPRsForWavesPerEU: 46
; AccumOffset: 48
; Occupancy: 8
; WaveLimiterHint : 1
; COMPUTE_PGM_RSRC2:SCRATCH_EN: 0
; COMPUTE_PGM_RSRC2:USER_SGPR: 6
; COMPUTE_PGM_RSRC2:TRAP_HANDLER: 0
; COMPUTE_PGM_RSRC2:TGID_X_EN: 1
; COMPUTE_PGM_RSRC2:TGID_Y_EN: 0
; COMPUTE_PGM_RSRC2:TGID_Z_EN: 0
; COMPUTE_PGM_RSRC2:TIDIG_COMP_CNT: 0
; COMPUTE_PGM_RSRC3_GFX90A:ACCUM_OFFSET: 11
; COMPUTE_PGM_RSRC3_GFX90A:TG_SPLIT: 0
	.section	.text._ZN2at6native12_GLOBAL__N_16kernel16gru_cell_forwardIddlLi2EEEvNS_4cuda6detail10TensorInfoIT_T1_EES9_S9_S9_S9_S9_S9_S8_S8_,"axG",@progbits,_ZN2at6native12_GLOBAL__N_16kernel16gru_cell_forwardIddlLi2EEEvNS_4cuda6detail10TensorInfoIT_T1_EES9_S9_S9_S9_S9_S9_S8_S8_,comdat
	.globl	_ZN2at6native12_GLOBAL__N_16kernel16gru_cell_forwardIddlLi2EEEvNS_4cuda6detail10TensorInfoIT_T1_EES9_S9_S9_S9_S9_S9_S8_S8_ ; -- Begin function _ZN2at6native12_GLOBAL__N_16kernel16gru_cell_forwardIddlLi2EEEvNS_4cuda6detail10TensorInfoIT_T1_EES9_S9_S9_S9_S9_S9_S8_S8_
	.p2align	8
	.type	_ZN2at6native12_GLOBAL__N_16kernel16gru_cell_forwardIddlLi2EEEvNS_4cuda6detail10TensorInfoIT_T1_EES9_S9_S9_S9_S9_S9_S8_S8_,@function
_ZN2at6native12_GLOBAL__N_16kernel16gru_cell_forwardIddlLi2EEEvNS_4cuda6detail10TensorInfoIT_T1_EES9_S9_S9_S9_S9_S9_S8_S8_: ; @_ZN2at6native12_GLOBAL__N_16kernel16gru_cell_forwardIddlLi2EEEvNS_4cuda6detail10TensorInfoIT_T1_EES9_S9_S9_S9_S9_S9_S8_S8_
; %bb.0:
	s_load_dword s2, s[4:5], 0xb7c
	s_load_dwordx4 s[8:11], s[4:5], 0xb60
	s_add_u32 s0, s4, 0xb70
	s_addc_u32 s1, s5, 0
	v_mov_b32_e32 v2, 0
	s_waitcnt lgkmcnt(0)
	s_and_b32 s33, s2, 0xffff
	s_mul_i32 s6, s6, s33
	v_add_u32_e32 v0, s6, v0
	v_mov_b32_e32 v1, v2
	v_cmp_gt_i64_e32 vcc, s[10:11], v[0:1]
	s_and_saveexec_b64 s[2:3], vcc
	s_cbranch_execz .LBB35_61
; %bb.1:
	s_load_dwordx2 s[2:3], s[4:5], 0x0
	s_load_dwordx2 s[28:29], s[4:5], 0x10
	s_load_dwordx4 s[12:15], s[4:5], 0xd0
	s_load_dwordx2 s[30:31], s[4:5], 0x1a0
	s_load_dwordx2 s[34:35], s[4:5], 0x1b0
	s_load_dwordx4 s[16:19], s[4:5], 0x270
	s_load_dwordx2 s[36:37], s[4:5], 0x340
	s_load_dwordx2 s[38:39], s[4:5], 0x410
	s_load_dwordx2 s[40:41], s[4:5], 0x4e0
	s_load_dwordx2 s[42:43], s[4:5], 0x5b0
	s_load_dwordx2 s[6:7], s[4:5], 0x680
                                        ; implicit-def: $vgpr46 : SGPR spill to VGPR lane
	v_cvt_f32_u32_e32 v3, s8
	s_waitcnt lgkmcnt(0)
	s_cmp_lg_u64 s[36:37], 0
	s_cselect_b64 s[44:45], -1, 0
	s_lshl_b64 s[60:61], s[8:9], 1
	v_writelane_b32 v46, s6, 0
	v_writelane_b32 v46, s7, 1
	s_load_dwordx2 s[46:47], s[4:5], 0x690
	s_load_dwordx4 s[20:23], s[4:5], 0x750
	s_load_dwordx2 s[6:7], s[4:5], 0x820
	v_rcp_iflag_f32_e32 v3, v3
	s_lshl_b64 s[62:63], s[8:9], 2
	s_mov_b32 s64, 0x652b82fe
	s_mov_b32 s70, 0xfefa39ef
	s_waitcnt lgkmcnt(0)
	v_writelane_b32 v46, s6, 2
	v_writelane_b32 v46, s7, 3
	s_load_dwordx2 s[50:51], s[4:5], 0x830
	s_load_dwordx4 s[24:27], s[4:5], 0x8f0
	s_load_dwordx2 s[52:53], s[4:5], 0x9c0
	s_load_dwordx2 s[54:55], s[4:5], 0x9d0
	s_nop 0
	s_load_dword s0, s[0:1], 0x0
	s_nop 0
	s_load_dwordx4 s[4:7], s[4:5], 0xa90
	v_writelane_b32 v46, s44, 4
	v_writelane_b32 v46, s45, 5
	v_mul_f32_e32 v3, 0x4f7ffffe, v3
	s_waitcnt lgkmcnt(0)
	s_mul_i32 s0, s0, s33
	s_sub_u32 s33, 0, s8
	v_writelane_b32 v46, s0, 6
	s_subb_u32 s0, 0, s9
	s_sub_u32 s68, 0, s46
	v_cvt_u32_f32_e32 v36, v3
	s_subb_u32 s69, 0, s47
	s_sub_u32 s90, 0, s50
	s_mov_b32 s72, 0x6a5dcb37
	s_mov_b32 s74, 0x623fde64
	;; [unrolled: 1-line block ×10, first 2 shown]
	s_mov_b64 s[56:57], 0
	s_subb_u32 s91, 0, s51
	v_mov_b32_e32 v37, 0x3ff00000
	s_mov_b32 s65, 0xbff71547
	s_mov_b32 s71, 0xbfe62e42
	;; [unrolled: 1-line block ×14, first 2 shown]
	v_writelane_b32 v46, s0, 7
	s_branch .LBB35_3
.LBB35_2:                               ;   in Loop: Header=BB35_3 Depth=1
	s_or_b64 exec, exec, s[0:1]
	v_mad_u64_u32 v[4:5], s[0:1], s8, v10, 0
	v_add3_u32 v3, v5, v12, v11
	v_mul_lo_u32 v5, v9, s54
	v_mul_lo_u32 v12, v8, s55
	v_mad_u64_u32 v[10:11], s[0:1], v8, s54, 0
	v_add3_u32 v5, v11, v12, v5
	v_sub_co_u32_e32 v4, vcc, v4, v10
	v_subb_co_u32_e32 v3, vcc, v3, v5, vcc
	v_add_co_u32_e32 v4, vcc, v0, v4
	v_addc_co_u32_e32 v3, vcc, v1, v3, vcc
	v_mul_lo_u32 v3, v3, s6
	v_mul_lo_u32 v10, v4, s7
	v_mad_u64_u32 v[4:5], s[0:1], v4, s6, 0
	v_add3_u32 v5, v5, v10, v3
	v_mul_lo_u32 v3, v9, s4
	v_mul_lo_u32 v10, v8, s5
	v_mad_u64_u32 v[8:9], s[0:1], v8, s4, 0
	v_add3_u32 v9, v9, v10, v3
	v_lshlrev_b64 v[8:9], 3, v[8:9]
	v_mov_b32_e32 v3, s53
	v_add_co_u32_e32 v8, vcc, s52, v8
	v_addc_co_u32_e32 v3, vcc, v3, v9, vcc
	v_lshlrev_b64 v[4:5], 3, v[4:5]
	v_add_co_u32_e32 v4, vcc, v8, v4
	s_mov_b32 s0, 0
	v_addc_co_u32_e32 v5, vcc, v3, v5, vcc
	v_mov_b32_e32 v3, s0
	v_readlane_b32 s0, v46, 6
	v_add_co_u32_e32 v0, vcc, s0, v0
	v_addc_co_u32_e32 v1, vcc, v1, v3, vcc
	v_cmp_le_i64_e32 vcc, s[10:11], v[0:1]
	s_or_b64 s[56:57], vcc, s[56:57]
	global_store_dwordx2 v[4:5], v[6:7], off
	s_andn2_b64 exec, exec, s[56:57]
	s_cbranch_execz .LBB35_61
.LBB35_3:                               ; =>This Inner Loop Header: Depth=1
	v_or_b32_e32 v3, s9, v1
	v_cmp_ne_u64_e32 vcc, 0, v[2:3]
	v_ashrrev_i32_e32 v26, 31, v1
                                        ; implicit-def: $vgpr4_vgpr5
	s_and_saveexec_b64 s[0:1], vcc
	s_xor_b64 s[44:45], exec, s[0:1]
	s_cbranch_execz .LBB35_5
; %bb.4:                                ;   in Loop: Header=BB35_3 Depth=1
	s_ashr_i32 s48, s9, 31
	s_add_u32 s0, s8, s48
	s_mov_b32 s49, s48
	s_addc_u32 s1, s9, s48
	s_xor_b64 s[58:59], s[0:1], s[48:49]
	v_cvt_f32_u32_e32 v3, s58
	v_cvt_f32_u32_e32 v4, s59
	s_sub_u32 s0, 0, s58
	s_subb_u32 s1, 0, s59
	v_mac_f32_e32 v3, 0x4f800000, v4
	v_rcp_f32_e32 v3, v3
	v_mul_f32_e32 v3, 0x5f7ffffc, v3
	v_mul_f32_e32 v4, 0x2f800000, v3
	v_trunc_f32_e32 v4, v4
	v_mac_f32_e32 v3, 0xcf800000, v4
	v_cvt_u32_f32_e32 v4, v4
	v_cvt_u32_f32_e32 v3, v3
	v_mul_lo_u32 v5, s0, v4
	v_mul_hi_u32 v7, s0, v3
	v_mul_lo_u32 v6, s1, v3
	v_add_u32_e32 v5, v7, v5
	v_mul_lo_u32 v8, s0, v3
	v_add_u32_e32 v5, v5, v6
	v_mul_lo_u32 v7, v3, v5
	v_mul_hi_u32 v9, v3, v8
	v_mul_hi_u32 v6, v3, v5
	v_add_co_u32_e32 v7, vcc, v9, v7
	v_addc_co_u32_e32 v6, vcc, 0, v6, vcc
	v_mul_hi_u32 v10, v4, v8
	v_mul_lo_u32 v8, v4, v8
	v_add_co_u32_e32 v7, vcc, v7, v8
	v_mul_hi_u32 v9, v4, v5
	v_addc_co_u32_e32 v6, vcc, v6, v10, vcc
	v_addc_co_u32_e32 v7, vcc, 0, v9, vcc
	v_mul_lo_u32 v5, v4, v5
	v_add_co_u32_e32 v5, vcc, v6, v5
	v_addc_co_u32_e32 v6, vcc, 0, v7, vcc
	v_add_co_u32_e32 v3, vcc, v3, v5
	v_addc_co_u32_e32 v4, vcc, v4, v6, vcc
	v_mul_lo_u32 v5, s0, v4
	v_mul_hi_u32 v6, s0, v3
	v_add_u32_e32 v5, v6, v5
	v_mul_lo_u32 v6, s1, v3
	v_add_u32_e32 v5, v5, v6
	v_mul_lo_u32 v7, s0, v3
	v_mul_hi_u32 v8, v4, v7
	v_mul_lo_u32 v9, v4, v7
	v_mul_lo_u32 v11, v3, v5
	v_mul_hi_u32 v7, v3, v7
	v_mul_hi_u32 v10, v3, v5
	v_add_co_u32_e32 v7, vcc, v7, v11
	v_addc_co_u32_e32 v10, vcc, 0, v10, vcc
	v_add_co_u32_e32 v7, vcc, v7, v9
	v_mul_hi_u32 v6, v4, v5
	v_addc_co_u32_e32 v7, vcc, v10, v8, vcc
	v_addc_co_u32_e32 v6, vcc, 0, v6, vcc
	v_mul_lo_u32 v5, v4, v5
	v_add_co_u32_e32 v5, vcc, v7, v5
	v_addc_co_u32_e32 v6, vcc, 0, v6, vcc
	v_add_co_u32_e32 v3, vcc, v3, v5
	v_addc_co_u32_e32 v6, vcc, v4, v6, vcc
	;; [unrolled: 2-line block ×3, first 2 shown]
	v_xor_b32_e32 v9, v4, v26
	v_xor_b32_e32 v8, v5, v26
	v_mad_u64_u32 v[4:5], s[0:1], v9, v6, 0
	v_mul_hi_u32 v7, v9, v3
	v_add_co_u32_e32 v10, vcc, v7, v4
	v_addc_co_u32_e32 v11, vcc, 0, v5, vcc
	v_mad_u64_u32 v[4:5], s[0:1], v8, v6, 0
	v_mad_u64_u32 v[6:7], s[0:1], v8, v3, 0
	v_add_co_u32_e32 v3, vcc, v10, v6
	v_addc_co_u32_e32 v3, vcc, v11, v7, vcc
	v_addc_co_u32_e32 v5, vcc, 0, v5, vcc
	v_add_co_u32_e32 v3, vcc, v3, v4
	v_addc_co_u32_e32 v6, vcc, 0, v5, vcc
	v_mul_lo_u32 v7, s59, v3
	v_mul_lo_u32 v10, s58, v6
	v_mad_u64_u32 v[4:5], s[0:1], s58, v3, 0
	v_add3_u32 v5, v5, v10, v7
	v_sub_u32_e32 v7, v8, v5
	v_mov_b32_e32 v10, s59
	v_sub_co_u32_e32 v4, vcc, v9, v4
	v_subb_co_u32_e64 v7, s[0:1], v7, v10, vcc
	v_subrev_co_u32_e64 v9, s[0:1], s58, v4
	v_subbrev_co_u32_e64 v7, s[0:1], 0, v7, s[0:1]
	v_cmp_le_u32_e64 s[0:1], s59, v7
	v_cndmask_b32_e64 v10, 0, -1, s[0:1]
	v_cmp_le_u32_e64 s[0:1], s58, v9
	v_cndmask_b32_e64 v9, 0, -1, s[0:1]
	v_cmp_eq_u32_e64 s[0:1], s59, v7
	v_cndmask_b32_e64 v7, v10, v9, s[0:1]
	v_add_co_u32_e64 v9, s[0:1], 2, v3
	v_subb_co_u32_e32 v5, vcc, v8, v5, vcc
	v_addc_co_u32_e64 v10, s[0:1], 0, v6, s[0:1]
	v_cmp_le_u32_e32 vcc, s59, v5
	v_add_co_u32_e64 v11, s[0:1], 1, v3
	v_cndmask_b32_e64 v8, 0, -1, vcc
	v_cmp_le_u32_e32 vcc, s58, v4
	v_addc_co_u32_e64 v12, s[0:1], 0, v6, s[0:1]
	v_cndmask_b32_e64 v4, 0, -1, vcc
	v_cmp_eq_u32_e32 vcc, s59, v5
	v_cmp_ne_u32_e64 s[0:1], 0, v7
	v_cndmask_b32_e32 v4, v8, v4, vcc
	v_cmp_ne_u32_e32 vcc, 0, v4
	v_cndmask_b32_e64 v5, v11, v9, s[0:1]
	v_cndmask_b32_e64 v7, v12, v10, s[0:1]
	v_cndmask_b32_e32 v3, v3, v5, vcc
	v_xor_b32_e32 v5, s48, v26
	v_cndmask_b32_e32 v4, v6, v7, vcc
	v_xor_b32_e32 v3, v3, v5
	v_xor_b32_e32 v6, v4, v5
	v_sub_co_u32_e32 v4, vcc, v3, v5
	v_subb_co_u32_e32 v5, vcc, v6, v5, vcc
.LBB35_5:                               ;   in Loop: Header=BB35_3 Depth=1
	s_andn2_saveexec_b64 s[0:1], s[44:45]
	s_cbranch_execz .LBB35_7
; %bb.6:                                ;   in Loop: Header=BB35_3 Depth=1
	s_sub_i32 s44, 0, s8
	v_mul_lo_u32 v3, s44, v36
	v_mul_hi_u32 v3, v36, v3
	v_add_u32_e32 v3, v36, v3
	v_mul_hi_u32 v3, v0, v3
	v_mul_lo_u32 v4, v3, s8
	v_sub_u32_e32 v4, v0, v4
	v_subrev_u32_e32 v5, s8, v4
	v_cmp_le_u32_e32 vcc, s8, v4
	v_cndmask_b32_e32 v4, v4, v5, vcc
	v_add_u32_e32 v5, 1, v3
	v_cndmask_b32_e32 v3, v3, v5, vcc
	v_add_u32_e32 v5, 1, v3
	v_cmp_le_u32_e32 vcc, s8, v4
	v_cndmask_b32_e32 v4, v3, v5, vcc
	v_mov_b32_e32 v5, v2
.LBB35_7:                               ;   in Loop: Header=BB35_3 Depth=1
	s_or_b64 exec, exec, s[0:1]
	v_mul_lo_u32 v10, s61, v4
	v_mul_lo_u32 v11, s60, v5
	v_mad_u64_u32 v[8:9], s[0:1], s60, v4, v[0:1]
	v_add3_u32 v9, v10, v9, v11
	v_or_b32_e32 v3, s29, v9
	v_cmp_ne_u64_e32 vcc, 0, v[2:3]
	v_ashrrev_i32_e32 v27, 31, v9
                                        ; implicit-def: $vgpr6_vgpr7
	s_and_saveexec_b64 s[0:1], vcc
	s_xor_b64 s[44:45], exec, s[0:1]
	s_cbranch_execz .LBB35_9
; %bb.8:                                ;   in Loop: Header=BB35_3 Depth=1
	s_ashr_i32 s48, s29, 31
	s_add_u32 s0, s28, s48
	s_mov_b32 s49, s48
	s_addc_u32 s1, s29, s48
	s_xor_b64 s[58:59], s[0:1], s[48:49]
	v_cvt_f32_u32_e32 v3, s58
	v_cvt_f32_u32_e32 v6, s59
	s_sub_u32 s0, 0, s58
	s_subb_u32 s1, 0, s59
	v_mac_f32_e32 v3, 0x4f800000, v6
	v_rcp_f32_e32 v3, v3
	v_mul_f32_e32 v3, 0x5f7ffffc, v3
	v_mul_f32_e32 v6, 0x2f800000, v3
	v_trunc_f32_e32 v6, v6
	v_mac_f32_e32 v3, 0xcf800000, v6
	v_cvt_u32_f32_e32 v6, v6
	v_cvt_u32_f32_e32 v3, v3
	v_mul_lo_u32 v7, s0, v6
	v_mul_hi_u32 v13, s0, v3
	v_mul_lo_u32 v12, s1, v3
	v_add_u32_e32 v7, v13, v7
	v_mul_lo_u32 v14, s0, v3
	v_add_u32_e32 v7, v7, v12
	v_mul_lo_u32 v13, v3, v7
	v_mul_hi_u32 v15, v3, v14
	v_mul_hi_u32 v12, v3, v7
	v_add_co_u32_e32 v13, vcc, v15, v13
	v_addc_co_u32_e32 v12, vcc, 0, v12, vcc
	v_mul_hi_u32 v16, v6, v14
	v_mul_lo_u32 v14, v6, v14
	v_add_co_u32_e32 v13, vcc, v13, v14
	v_mul_hi_u32 v15, v6, v7
	v_addc_co_u32_e32 v12, vcc, v12, v16, vcc
	v_addc_co_u32_e32 v13, vcc, 0, v15, vcc
	v_mul_lo_u32 v7, v6, v7
	v_add_co_u32_e32 v7, vcc, v12, v7
	v_addc_co_u32_e32 v12, vcc, 0, v13, vcc
	v_add_co_u32_e32 v3, vcc, v3, v7
	v_addc_co_u32_e32 v6, vcc, v6, v12, vcc
	v_mul_lo_u32 v7, s0, v6
	v_mul_hi_u32 v12, s0, v3
	v_add_u32_e32 v7, v12, v7
	v_mul_lo_u32 v12, s1, v3
	v_add_u32_e32 v7, v7, v12
	v_mul_lo_u32 v13, s0, v3
	v_mul_hi_u32 v14, v6, v13
	v_mul_lo_u32 v15, v6, v13
	v_mul_lo_u32 v17, v3, v7
	v_mul_hi_u32 v13, v3, v13
	v_mul_hi_u32 v16, v3, v7
	v_add_co_u32_e32 v13, vcc, v13, v17
	v_addc_co_u32_e32 v16, vcc, 0, v16, vcc
	v_add_co_u32_e32 v13, vcc, v13, v15
	v_mul_hi_u32 v12, v6, v7
	v_addc_co_u32_e32 v13, vcc, v16, v14, vcc
	v_addc_co_u32_e32 v12, vcc, 0, v12, vcc
	v_mul_lo_u32 v7, v6, v7
	v_add_co_u32_e32 v7, vcc, v13, v7
	v_addc_co_u32_e32 v12, vcc, 0, v12, vcc
	v_add_co_u32_e32 v3, vcc, v3, v7
	v_addc_co_u32_e32 v12, vcc, v6, v12, vcc
	;; [unrolled: 2-line block ×3, first 2 shown]
	v_xor_b32_e32 v15, v6, v27
	v_xor_b32_e32 v14, v7, v27
	v_mad_u64_u32 v[6:7], s[0:1], v15, v12, 0
	v_mul_hi_u32 v13, v15, v3
	v_add_co_u32_e32 v16, vcc, v13, v6
	v_addc_co_u32_e32 v17, vcc, 0, v7, vcc
	v_mad_u64_u32 v[6:7], s[0:1], v14, v12, 0
	v_mad_u64_u32 v[12:13], s[0:1], v14, v3, 0
	v_add_co_u32_e32 v3, vcc, v16, v12
	v_addc_co_u32_e32 v3, vcc, v17, v13, vcc
	v_addc_co_u32_e32 v7, vcc, 0, v7, vcc
	v_add_co_u32_e32 v3, vcc, v3, v6
	v_addc_co_u32_e32 v12, vcc, 0, v7, vcc
	v_mul_lo_u32 v13, s59, v3
	v_mul_lo_u32 v16, s58, v12
	v_mad_u64_u32 v[6:7], s[0:1], s58, v3, 0
	v_add3_u32 v7, v7, v16, v13
	v_sub_u32_e32 v13, v14, v7
	v_mov_b32_e32 v16, s59
	v_sub_co_u32_e32 v6, vcc, v15, v6
	v_subb_co_u32_e64 v13, s[0:1], v13, v16, vcc
	v_subrev_co_u32_e64 v15, s[0:1], s58, v6
	v_subbrev_co_u32_e64 v13, s[0:1], 0, v13, s[0:1]
	v_cmp_le_u32_e64 s[0:1], s59, v13
	v_cndmask_b32_e64 v16, 0, -1, s[0:1]
	v_cmp_le_u32_e64 s[0:1], s58, v15
	v_cndmask_b32_e64 v15, 0, -1, s[0:1]
	v_cmp_eq_u32_e64 s[0:1], s59, v13
	v_cndmask_b32_e64 v13, v16, v15, s[0:1]
	v_add_co_u32_e64 v15, s[0:1], 2, v3
	v_subb_co_u32_e32 v7, vcc, v14, v7, vcc
	v_addc_co_u32_e64 v16, s[0:1], 0, v12, s[0:1]
	v_cmp_le_u32_e32 vcc, s59, v7
	v_add_co_u32_e64 v17, s[0:1], 1, v3
	v_cndmask_b32_e64 v14, 0, -1, vcc
	v_cmp_le_u32_e32 vcc, s58, v6
	v_addc_co_u32_e64 v18, s[0:1], 0, v12, s[0:1]
	v_cndmask_b32_e64 v6, 0, -1, vcc
	v_cmp_eq_u32_e32 vcc, s59, v7
	v_cmp_ne_u32_e64 s[0:1], 0, v13
	v_cndmask_b32_e32 v6, v14, v6, vcc
	v_cmp_ne_u32_e32 vcc, 0, v6
	v_cndmask_b32_e64 v7, v17, v15, s[0:1]
	v_cndmask_b32_e64 v13, v18, v16, s[0:1]
	v_cndmask_b32_e32 v3, v3, v7, vcc
	v_xor_b32_e32 v7, s48, v27
	v_cndmask_b32_e32 v6, v12, v13, vcc
	v_xor_b32_e32 v3, v3, v7
	v_xor_b32_e32 v12, v6, v7
	v_sub_co_u32_e32 v6, vcc, v3, v7
	v_subb_co_u32_e32 v7, vcc, v12, v7, vcc
.LBB35_9:                               ;   in Loop: Header=BB35_3 Depth=1
	s_or_saveexec_b64 s[0:1], s[44:45]
	v_cvt_f32_u32_e32 v22, s28
	s_xor_b64 exec, exec, s[0:1]
	s_cbranch_execz .LBB35_11
; %bb.10:                               ;   in Loop: Header=BB35_3 Depth=1
	v_rcp_iflag_f32_e32 v3, v22
	s_sub_i32 s44, 0, s28
	v_mul_f32_e32 v3, 0x4f7ffffe, v3
	v_cvt_u32_f32_e32 v3, v3
	v_mul_lo_u32 v6, s44, v3
	v_mul_hi_u32 v6, v3, v6
	v_add_u32_e32 v3, v3, v6
	v_mul_hi_u32 v3, v8, v3
	v_mul_lo_u32 v6, v3, s28
	v_sub_u32_e32 v6, v8, v6
	v_add_u32_e32 v7, 1, v3
	v_subrev_u32_e32 v12, s28, v6
	v_cmp_le_u32_e32 vcc, s28, v6
	v_cndmask_b32_e32 v6, v6, v12, vcc
	v_cndmask_b32_e32 v3, v3, v7, vcc
	v_add_u32_e32 v7, 1, v3
	v_cmp_le_u32_e32 vcc, s28, v6
	v_cndmask_b32_e32 v6, v3, v7, vcc
	v_mov_b32_e32 v7, v2
.LBB35_11:                              ;   in Loop: Header=BB35_3 Depth=1
	s_or_b64 exec, exec, s[0:1]
	v_mad_u64_u32 v[14:15], s[0:1], s60, v4, 0
	v_add3_u32 v15, v15, v11, v10
	v_mul_lo_u32 v3, v7, s28
	v_mul_lo_u32 v12, v6, s29
	v_mad_u64_u32 v[10:11], s[0:1], v6, s28, 0
	v_add3_u32 v3, v11, v12, v3
	v_sub_co_u32_e32 v10, vcc, v14, v10
	v_subb_co_u32_e32 v3, vcc, v15, v3, vcc
	v_add_co_u32_e32 v10, vcc, v0, v10
	v_addc_co_u32_e32 v3, vcc, v1, v3, vcc
	v_mul_lo_u32 v3, v3, s14
	v_mul_lo_u32 v12, v10, s15
	v_mad_u64_u32 v[10:11], s[0:1], v10, s14, 0
	v_add3_u32 v11, v11, v12, v3
	v_mul_lo_u32 v3, v7, s12
	v_mul_lo_u32 v12, v6, s13
	v_mad_u64_u32 v[6:7], s[0:1], v6, s12, 0
	v_add3_u32 v7, v7, v12, v3
	v_lshlrev_b64 v[6:7], 3, v[6:7]
	v_mov_b32_e32 v3, s3
	v_add_co_u32_e32 v12, vcc, s2, v6
	v_addc_co_u32_e32 v3, vcc, v3, v7, vcc
	v_lshlrev_b64 v[6:7], 3, v[10:11]
	v_add_co_u32_e32 v6, vcc, v12, v6
	v_addc_co_u32_e32 v7, vcc, v3, v7, vcc
	global_load_dwordx2 v[6:7], v[6:7], off
	v_lshlrev_b64 v[12:13], 1, v[4:5]
	v_or_b32_e32 v18, 1, v12
	v_mul_lo_u32 v19, s9, v18
	v_mul_lo_u32 v23, s8, v13
	v_mad_u64_u32 v[16:17], s[0:1], s8, v18, v[0:1]
	v_add3_u32 v17, v19, v17, v23
	v_or_b32_e32 v3, s29, v17
	v_cmp_ne_u64_e32 vcc, 0, v[2:3]
	v_ashrrev_i32_e32 v28, 31, v17
                                        ; implicit-def: $vgpr10_vgpr11
	s_and_saveexec_b64 s[0:1], vcc
	s_xor_b64 s[44:45], exec, s[0:1]
	s_cbranch_execz .LBB35_13
; %bb.12:                               ;   in Loop: Header=BB35_3 Depth=1
	s_ashr_i32 s48, s29, 31
	s_add_u32 s0, s28, s48
	s_mov_b32 s49, s48
	s_addc_u32 s1, s29, s48
	s_xor_b64 s[58:59], s[0:1], s[48:49]
	v_cvt_f32_u32_e32 v3, s58
	v_cvt_f32_u32_e32 v10, s59
	s_sub_u32 s0, 0, s58
	s_subb_u32 s1, 0, s59
	v_mac_f32_e32 v3, 0x4f800000, v10
	v_rcp_f32_e32 v3, v3
	v_mul_f32_e32 v3, 0x5f7ffffc, v3
	v_mul_f32_e32 v10, 0x2f800000, v3
	v_trunc_f32_e32 v10, v10
	v_mac_f32_e32 v3, 0xcf800000, v10
	v_cvt_u32_f32_e32 v10, v10
	v_cvt_u32_f32_e32 v3, v3
	v_mul_lo_u32 v11, s0, v10
	v_mul_hi_u32 v21, s0, v3
	v_mul_lo_u32 v20, s1, v3
	v_add_u32_e32 v11, v21, v11
	v_mul_lo_u32 v24, s0, v3
	v_add_u32_e32 v11, v11, v20
	v_mul_lo_u32 v21, v3, v11
	v_mul_hi_u32 v25, v3, v24
	v_mul_hi_u32 v20, v3, v11
	v_add_co_u32_e32 v21, vcc, v25, v21
	v_addc_co_u32_e32 v20, vcc, 0, v20, vcc
	v_mul_hi_u32 v29, v10, v24
	v_mul_lo_u32 v24, v10, v24
	v_add_co_u32_e32 v21, vcc, v21, v24
	v_mul_hi_u32 v25, v10, v11
	v_addc_co_u32_e32 v20, vcc, v20, v29, vcc
	v_addc_co_u32_e32 v21, vcc, 0, v25, vcc
	v_mul_lo_u32 v11, v10, v11
	v_add_co_u32_e32 v11, vcc, v20, v11
	v_addc_co_u32_e32 v20, vcc, 0, v21, vcc
	v_add_co_u32_e32 v3, vcc, v3, v11
	v_addc_co_u32_e32 v10, vcc, v10, v20, vcc
	v_mul_lo_u32 v11, s0, v10
	v_mul_hi_u32 v20, s0, v3
	v_add_u32_e32 v11, v20, v11
	v_mul_lo_u32 v20, s1, v3
	v_add_u32_e32 v11, v11, v20
	v_mul_lo_u32 v21, s0, v3
	v_mul_hi_u32 v24, v10, v21
	v_mul_lo_u32 v25, v10, v21
	v_mul_lo_u32 v30, v3, v11
	v_mul_hi_u32 v21, v3, v21
	v_mul_hi_u32 v29, v3, v11
	v_add_co_u32_e32 v21, vcc, v21, v30
	v_addc_co_u32_e32 v29, vcc, 0, v29, vcc
	v_add_co_u32_e32 v21, vcc, v21, v25
	v_mul_hi_u32 v20, v10, v11
	v_addc_co_u32_e32 v21, vcc, v29, v24, vcc
	v_addc_co_u32_e32 v20, vcc, 0, v20, vcc
	v_mul_lo_u32 v11, v10, v11
	v_add_co_u32_e32 v11, vcc, v21, v11
	v_addc_co_u32_e32 v20, vcc, 0, v20, vcc
	v_add_co_u32_e32 v3, vcc, v3, v11
	v_addc_co_u32_e32 v20, vcc, v10, v20, vcc
	;; [unrolled: 2-line block ×3, first 2 shown]
	v_xor_b32_e32 v25, v10, v28
	v_xor_b32_e32 v24, v11, v28
	v_mad_u64_u32 v[10:11], s[0:1], v25, v20, 0
	v_mul_hi_u32 v21, v25, v3
	v_add_co_u32_e32 v29, vcc, v21, v10
	v_addc_co_u32_e32 v30, vcc, 0, v11, vcc
	v_mad_u64_u32 v[10:11], s[0:1], v24, v20, 0
	v_mad_u64_u32 v[20:21], s[0:1], v24, v3, 0
	v_add_co_u32_e32 v3, vcc, v29, v20
	v_addc_co_u32_e32 v3, vcc, v30, v21, vcc
	v_addc_co_u32_e32 v11, vcc, 0, v11, vcc
	v_add_co_u32_e32 v3, vcc, v3, v10
	v_addc_co_u32_e32 v20, vcc, 0, v11, vcc
	v_mul_lo_u32 v21, s59, v3
	v_mul_lo_u32 v29, s58, v20
	v_mad_u64_u32 v[10:11], s[0:1], s58, v3, 0
	v_add3_u32 v11, v11, v29, v21
	v_sub_u32_e32 v21, v24, v11
	v_mov_b32_e32 v29, s59
	v_sub_co_u32_e32 v10, vcc, v25, v10
	v_subb_co_u32_e64 v21, s[0:1], v21, v29, vcc
	v_subrev_co_u32_e64 v25, s[0:1], s58, v10
	v_subbrev_co_u32_e64 v21, s[0:1], 0, v21, s[0:1]
	v_cmp_le_u32_e64 s[0:1], s59, v21
	v_cndmask_b32_e64 v29, 0, -1, s[0:1]
	v_cmp_le_u32_e64 s[0:1], s58, v25
	v_cndmask_b32_e64 v25, 0, -1, s[0:1]
	v_cmp_eq_u32_e64 s[0:1], s59, v21
	v_cndmask_b32_e64 v21, v29, v25, s[0:1]
	v_add_co_u32_e64 v25, s[0:1], 2, v3
	v_subb_co_u32_e32 v11, vcc, v24, v11, vcc
	v_addc_co_u32_e64 v29, s[0:1], 0, v20, s[0:1]
	v_cmp_le_u32_e32 vcc, s59, v11
	v_add_co_u32_e64 v30, s[0:1], 1, v3
	v_cndmask_b32_e64 v24, 0, -1, vcc
	v_cmp_le_u32_e32 vcc, s58, v10
	v_addc_co_u32_e64 v31, s[0:1], 0, v20, s[0:1]
	v_cndmask_b32_e64 v10, 0, -1, vcc
	v_cmp_eq_u32_e32 vcc, s59, v11
	v_cmp_ne_u32_e64 s[0:1], 0, v21
	v_cndmask_b32_e32 v10, v24, v10, vcc
	v_cmp_ne_u32_e32 vcc, 0, v10
	v_cndmask_b32_e64 v11, v30, v25, s[0:1]
	v_cndmask_b32_e64 v21, v31, v29, s[0:1]
	v_cndmask_b32_e32 v3, v3, v11, vcc
	v_xor_b32_e32 v11, s48, v28
	v_cndmask_b32_e32 v10, v20, v21, vcc
	v_xor_b32_e32 v3, v3, v11
	v_xor_b32_e32 v20, v10, v11
	v_sub_co_u32_e32 v10, vcc, v3, v11
	v_subb_co_u32_e32 v11, vcc, v20, v11, vcc
.LBB35_13:                              ;   in Loop: Header=BB35_3 Depth=1
	s_andn2_saveexec_b64 s[0:1], s[44:45]
	s_cbranch_execz .LBB35_15
; %bb.14:                               ;   in Loop: Header=BB35_3 Depth=1
	v_rcp_iflag_f32_e32 v3, v22
	s_sub_i32 s44, 0, s28
	v_mul_f32_e32 v3, 0x4f7ffffe, v3
	v_cvt_u32_f32_e32 v3, v3
	v_mul_lo_u32 v10, s44, v3
	v_mul_hi_u32 v10, v3, v10
	v_add_u32_e32 v3, v3, v10
	v_mul_hi_u32 v3, v16, v3
	v_mul_lo_u32 v10, v3, s28
	v_sub_u32_e32 v10, v16, v10
	v_add_u32_e32 v11, 1, v3
	v_subrev_u32_e32 v20, s28, v10
	v_cmp_le_u32_e32 vcc, s28, v10
	v_cndmask_b32_e32 v10, v10, v20, vcc
	v_cndmask_b32_e32 v3, v3, v11, vcc
	v_add_u32_e32 v11, 1, v3
	v_cmp_le_u32_e32 vcc, s28, v10
	v_cndmask_b32_e32 v10, v3, v11, vcc
	v_mov_b32_e32 v11, v2
.LBB35_15:                              ;   in Loop: Header=BB35_3 Depth=1
	s_or_b64 exec, exec, s[0:1]
	v_mad_u64_u32 v[20:21], s[0:1], s8, v18, 0
	v_add3_u32 v29, v21, v23, v19
	v_mul_lo_u32 v3, v11, s28
	v_mul_lo_u32 v21, v10, s29
	v_mad_u64_u32 v[18:19], s[0:1], v10, s28, 0
	v_add3_u32 v3, v19, v21, v3
	v_sub_co_u32_e32 v18, vcc, v20, v18
	v_subb_co_u32_e32 v3, vcc, v29, v3, vcc
	v_add_co_u32_e32 v18, vcc, v0, v18
	v_addc_co_u32_e32 v3, vcc, v1, v3, vcc
	v_mul_lo_u32 v3, v3, s14
	v_mul_lo_u32 v21, v18, s15
	v_mad_u64_u32 v[18:19], s[0:1], v18, s14, 0
	v_add3_u32 v19, v19, v21, v3
	v_mul_lo_u32 v3, v11, s12
	v_mul_lo_u32 v21, v10, s13
	v_mad_u64_u32 v[10:11], s[0:1], v10, s12, 0
	v_add3_u32 v11, v11, v21, v3
	v_lshlrev_b64 v[10:11], 3, v[10:11]
	v_mov_b32_e32 v3, s3
	v_add_co_u32_e32 v21, vcc, s2, v10
	v_addc_co_u32_e32 v3, vcc, v3, v11, vcc
	v_lshlrev_b64 v[10:11], 3, v[18:19]
	v_add_co_u32_e32 v10, vcc, v21, v10
	v_addc_co_u32_e32 v11, vcc, v3, v11, vcc
	global_load_dwordx2 v[10:11], v[10:11], off
	v_add_co_u32_e32 v23, vcc, 2, v12
	v_addc_co_u32_e32 v3, vcc, 0, v13, vcc
	v_mul_lo_u32 v24, s9, v23
	v_mul_lo_u32 v25, s8, v3
	v_mad_u64_u32 v[18:19], s[0:1], s8, v23, v[0:1]
	v_add3_u32 v19, v24, v19, v25
	v_or_b32_e32 v3, s29, v19
	v_cmp_ne_u64_e32 vcc, 0, v[2:3]
	v_ashrrev_i32_e32 v21, 31, v19
                                        ; implicit-def: $vgpr12_vgpr13
	s_and_saveexec_b64 s[0:1], vcc
	s_xor_b64 s[44:45], exec, s[0:1]
	s_cbranch_execz .LBB35_17
; %bb.16:                               ;   in Loop: Header=BB35_3 Depth=1
	s_ashr_i32 s48, s29, 31
	s_add_u32 s0, s28, s48
	s_mov_b32 s49, s48
	s_addc_u32 s1, s29, s48
	s_xor_b64 s[58:59], s[0:1], s[48:49]
	v_cvt_f32_u32_e32 v3, s58
	v_cvt_f32_u32_e32 v12, s59
	s_sub_u32 s0, 0, s58
	s_subb_u32 s1, 0, s59
	v_mac_f32_e32 v3, 0x4f800000, v12
	v_rcp_f32_e32 v3, v3
	v_mul_f32_e32 v3, 0x5f7ffffc, v3
	v_mul_f32_e32 v12, 0x2f800000, v3
	v_trunc_f32_e32 v12, v12
	v_mac_f32_e32 v3, 0xcf800000, v12
	v_cvt_u32_f32_e32 v12, v12
	v_cvt_u32_f32_e32 v3, v3
	v_mul_lo_u32 v13, s0, v12
	v_mul_hi_u32 v30, s0, v3
	v_mul_lo_u32 v22, s1, v3
	v_add_u32_e32 v13, v30, v13
	v_mul_lo_u32 v31, s0, v3
	v_add_u32_e32 v13, v13, v22
	v_mul_lo_u32 v30, v3, v13
	v_mul_hi_u32 v32, v3, v31
	v_mul_hi_u32 v22, v3, v13
	v_add_co_u32_e32 v30, vcc, v32, v30
	v_addc_co_u32_e32 v22, vcc, 0, v22, vcc
	v_mul_hi_u32 v33, v12, v31
	v_mul_lo_u32 v31, v12, v31
	v_add_co_u32_e32 v30, vcc, v30, v31
	v_mul_hi_u32 v32, v12, v13
	v_addc_co_u32_e32 v22, vcc, v22, v33, vcc
	v_addc_co_u32_e32 v30, vcc, 0, v32, vcc
	v_mul_lo_u32 v13, v12, v13
	v_add_co_u32_e32 v13, vcc, v22, v13
	v_addc_co_u32_e32 v22, vcc, 0, v30, vcc
	v_add_co_u32_e32 v3, vcc, v3, v13
	v_addc_co_u32_e32 v12, vcc, v12, v22, vcc
	v_mul_lo_u32 v13, s0, v12
	v_mul_hi_u32 v22, s0, v3
	v_add_u32_e32 v13, v22, v13
	v_mul_lo_u32 v22, s1, v3
	v_add_u32_e32 v13, v13, v22
	v_mul_lo_u32 v30, s0, v3
	v_mul_hi_u32 v31, v12, v30
	v_mul_lo_u32 v32, v12, v30
	v_mul_lo_u32 v34, v3, v13
	v_mul_hi_u32 v30, v3, v30
	v_mul_hi_u32 v33, v3, v13
	v_add_co_u32_e32 v30, vcc, v30, v34
	v_addc_co_u32_e32 v33, vcc, 0, v33, vcc
	v_add_co_u32_e32 v30, vcc, v30, v32
	v_mul_hi_u32 v22, v12, v13
	v_addc_co_u32_e32 v30, vcc, v33, v31, vcc
	v_addc_co_u32_e32 v22, vcc, 0, v22, vcc
	v_mul_lo_u32 v13, v12, v13
	v_add_co_u32_e32 v13, vcc, v30, v13
	v_addc_co_u32_e32 v22, vcc, 0, v22, vcc
	v_add_co_u32_e32 v3, vcc, v3, v13
	v_addc_co_u32_e32 v22, vcc, v12, v22, vcc
	;; [unrolled: 2-line block ×3, first 2 shown]
	v_xor_b32_e32 v33, v12, v21
	v_xor_b32_e32 v32, v13, v21
	v_mad_u64_u32 v[12:13], s[0:1], v33, v22, 0
	v_mul_hi_u32 v30, v33, v3
	v_add_co_u32_e32 v34, vcc, v30, v12
	v_addc_co_u32_e32 v35, vcc, 0, v13, vcc
	v_mad_u64_u32 v[30:31], s[0:1], v32, v3, 0
	v_add_co_u32_e32 v3, vcc, v34, v30
	v_mad_u64_u32 v[12:13], s[0:1], v32, v22, 0
	v_addc_co_u32_e32 v3, vcc, v35, v31, vcc
	v_addc_co_u32_e32 v13, vcc, 0, v13, vcc
	v_add_co_u32_e32 v3, vcc, v3, v12
	v_addc_co_u32_e32 v22, vcc, 0, v13, vcc
	v_mul_lo_u32 v30, s59, v3
	v_mul_lo_u32 v31, s58, v22
	v_mad_u64_u32 v[12:13], s[0:1], s58, v3, 0
	v_add3_u32 v13, v13, v31, v30
	v_sub_u32_e32 v30, v32, v13
	v_mov_b32_e32 v31, s59
	v_sub_co_u32_e32 v12, vcc, v33, v12
	v_subb_co_u32_e64 v30, s[0:1], v30, v31, vcc
	v_subrev_co_u32_e64 v31, s[0:1], s58, v12
	v_subbrev_co_u32_e64 v30, s[0:1], 0, v30, s[0:1]
	v_cmp_le_u32_e64 s[0:1], s59, v30
	v_cndmask_b32_e64 v33, 0, -1, s[0:1]
	v_cmp_le_u32_e64 s[0:1], s58, v31
	v_cndmask_b32_e64 v31, 0, -1, s[0:1]
	v_cmp_eq_u32_e64 s[0:1], s59, v30
	v_cndmask_b32_e64 v30, v33, v31, s[0:1]
	v_add_co_u32_e64 v31, s[0:1], 2, v3
	v_subb_co_u32_e32 v13, vcc, v32, v13, vcc
	v_addc_co_u32_e64 v33, s[0:1], 0, v22, s[0:1]
	v_cmp_le_u32_e32 vcc, s59, v13
	v_add_co_u32_e64 v34, s[0:1], 1, v3
	v_cndmask_b32_e64 v32, 0, -1, vcc
	v_cmp_le_u32_e32 vcc, s58, v12
	v_addc_co_u32_e64 v35, s[0:1], 0, v22, s[0:1]
	v_cndmask_b32_e64 v12, 0, -1, vcc
	v_cmp_eq_u32_e32 vcc, s59, v13
	v_cmp_ne_u32_e64 s[0:1], 0, v30
	v_cndmask_b32_e32 v12, v32, v12, vcc
	v_cmp_ne_u32_e32 vcc, 0, v12
	v_cndmask_b32_e64 v13, v34, v31, s[0:1]
	v_cndmask_b32_e64 v30, v35, v33, s[0:1]
	v_cndmask_b32_e32 v3, v3, v13, vcc
	v_xor_b32_e32 v13, s48, v21
	v_cndmask_b32_e32 v12, v22, v30, vcc
	v_xor_b32_e32 v3, v3, v13
	v_xor_b32_e32 v22, v12, v13
	v_sub_co_u32_e32 v12, vcc, v3, v13
	v_subb_co_u32_e32 v13, vcc, v22, v13, vcc
                                        ; implicit-def: $vgpr22
.LBB35_17:                              ;   in Loop: Header=BB35_3 Depth=1
	s_andn2_saveexec_b64 s[0:1], s[44:45]
	s_cbranch_execz .LBB35_19
; %bb.18:                               ;   in Loop: Header=BB35_3 Depth=1
	v_rcp_iflag_f32_e32 v3, v22
	s_sub_i32 s44, 0, s28
	v_mul_f32_e32 v3, 0x4f7ffffe, v3
	v_cvt_u32_f32_e32 v3, v3
	v_mul_lo_u32 v12, s44, v3
	v_mul_hi_u32 v12, v3, v12
	v_add_u32_e32 v3, v3, v12
	v_mul_hi_u32 v3, v18, v3
	v_mul_lo_u32 v12, v3, s28
	v_sub_u32_e32 v12, v18, v12
	v_add_u32_e32 v13, 1, v3
	v_subrev_u32_e32 v22, s28, v12
	v_cmp_le_u32_e32 vcc, s28, v12
	v_cndmask_b32_e32 v12, v12, v22, vcc
	v_cndmask_b32_e32 v3, v3, v13, vcc
	v_add_u32_e32 v13, 1, v3
	v_cmp_le_u32_e32 vcc, s28, v12
	v_cndmask_b32_e32 v12, v3, v13, vcc
	v_mov_b32_e32 v13, v2
.LBB35_19:                              ;   in Loop: Header=BB35_3 Depth=1
	s_or_b64 exec, exec, s[0:1]
	v_mad_u64_u32 v[22:23], s[0:1], s8, v23, 0
	v_add3_u32 v23, v23, v25, v24
	v_mul_lo_u32 v3, v13, s28
	v_mul_lo_u32 v30, v12, s29
	v_mad_u64_u32 v[24:25], s[0:1], v12, s28, 0
	v_add3_u32 v3, v25, v30, v3
	v_sub_co_u32_e32 v24, vcc, v22, v24
	v_subb_co_u32_e32 v3, vcc, v23, v3, vcc
	v_add_co_u32_e32 v24, vcc, v0, v24
	v_addc_co_u32_e32 v3, vcc, v1, v3, vcc
	v_mul_lo_u32 v3, v3, s14
	v_mul_lo_u32 v30, v24, s15
	v_mad_u64_u32 v[24:25], s[0:1], v24, s14, 0
	v_add3_u32 v25, v25, v30, v3
	v_mul_lo_u32 v3, v13, s12
	v_mul_lo_u32 v30, v12, s13
	v_mad_u64_u32 v[12:13], s[0:1], v12, s12, 0
	v_add3_u32 v13, v13, v30, v3
	v_lshlrev_b64 v[12:13], 3, v[12:13]
	v_mov_b32_e32 v3, s3
	v_add_co_u32_e32 v30, vcc, s2, v12
	v_addc_co_u32_e32 v3, vcc, v3, v13, vcc
	v_lshlrev_b64 v[12:13], 3, v[24:25]
	v_add_co_u32_e32 v12, vcc, v30, v12
	v_addc_co_u32_e32 v13, vcc, v3, v13, vcc
	global_load_dwordx2 v[12:13], v[12:13], off
	v_or_b32_e32 v3, s35, v9
	v_cmp_ne_u64_e32 vcc, 0, v[2:3]
                                        ; implicit-def: $vgpr24_vgpr25
	s_and_saveexec_b64 s[0:1], vcc
	s_xor_b64 s[44:45], exec, s[0:1]
	s_cbranch_execz .LBB35_21
; %bb.20:                               ;   in Loop: Header=BB35_3 Depth=1
	s_ashr_i32 s48, s35, 31
	s_add_u32 s0, s34, s48
	s_mov_b32 s49, s48
	s_addc_u32 s1, s35, s48
	s_xor_b64 s[58:59], s[0:1], s[48:49]
	v_cvt_f32_u32_e32 v3, s58
	v_cvt_f32_u32_e32 v24, s59
	s_sub_u32 s0, 0, s58
	s_subb_u32 s1, 0, s59
	v_mac_f32_e32 v3, 0x4f800000, v24
	v_rcp_f32_e32 v3, v3
	v_mul_f32_e32 v3, 0x5f7ffffc, v3
	v_mul_f32_e32 v24, 0x2f800000, v3
	v_trunc_f32_e32 v24, v24
	v_mac_f32_e32 v3, 0xcf800000, v24
	v_cvt_u32_f32_e32 v24, v24
	v_cvt_u32_f32_e32 v3, v3
	v_mul_lo_u32 v25, s0, v24
	v_mul_hi_u32 v31, s0, v3
	v_mul_lo_u32 v30, s1, v3
	v_add_u32_e32 v25, v31, v25
	v_mul_lo_u32 v32, s0, v3
	v_add_u32_e32 v25, v25, v30
	v_mul_lo_u32 v31, v3, v25
	v_mul_hi_u32 v33, v3, v32
	v_mul_hi_u32 v30, v3, v25
	v_add_co_u32_e32 v31, vcc, v33, v31
	v_addc_co_u32_e32 v30, vcc, 0, v30, vcc
	v_mul_hi_u32 v34, v24, v32
	v_mul_lo_u32 v32, v24, v32
	v_add_co_u32_e32 v31, vcc, v31, v32
	v_mul_hi_u32 v33, v24, v25
	v_addc_co_u32_e32 v30, vcc, v30, v34, vcc
	v_addc_co_u32_e32 v31, vcc, 0, v33, vcc
	v_mul_lo_u32 v25, v24, v25
	v_add_co_u32_e32 v25, vcc, v30, v25
	v_addc_co_u32_e32 v30, vcc, 0, v31, vcc
	v_add_co_u32_e32 v3, vcc, v3, v25
	v_addc_co_u32_e32 v24, vcc, v24, v30, vcc
	v_mul_lo_u32 v25, s0, v24
	v_mul_hi_u32 v30, s0, v3
	v_add_u32_e32 v25, v30, v25
	v_mul_lo_u32 v30, s1, v3
	v_add_u32_e32 v25, v25, v30
	v_mul_lo_u32 v31, s0, v3
	v_mul_hi_u32 v32, v24, v31
	v_mul_lo_u32 v33, v24, v31
	v_mul_lo_u32 v35, v3, v25
	v_mul_hi_u32 v31, v3, v31
	v_mul_hi_u32 v34, v3, v25
	v_add_co_u32_e32 v31, vcc, v31, v35
	v_addc_co_u32_e32 v34, vcc, 0, v34, vcc
	v_add_co_u32_e32 v31, vcc, v31, v33
	v_mul_hi_u32 v30, v24, v25
	v_addc_co_u32_e32 v31, vcc, v34, v32, vcc
	v_addc_co_u32_e32 v30, vcc, 0, v30, vcc
	v_mul_lo_u32 v25, v24, v25
	v_add_co_u32_e32 v25, vcc, v31, v25
	v_addc_co_u32_e32 v30, vcc, 0, v30, vcc
	v_add_co_u32_e32 v3, vcc, v3, v25
	v_addc_co_u32_e32 v24, vcc, v24, v30, vcc
	;; [unrolled: 2-line block ×3, first 2 shown]
	v_xor_b32_e32 v31, v8, v27
	v_xor_b32_e32 v30, v9, v27
	v_mad_u64_u32 v[8:9], s[0:1], v31, v24, 0
	v_mul_hi_u32 v25, v31, v3
	v_add_co_u32_e32 v32, vcc, v25, v8
	v_addc_co_u32_e32 v33, vcc, 0, v9, vcc
	v_mad_u64_u32 v[8:9], s[0:1], v30, v24, 0
	v_mad_u64_u32 v[24:25], s[0:1], v30, v3, 0
	v_add_co_u32_e32 v3, vcc, v32, v24
	v_addc_co_u32_e32 v3, vcc, v33, v25, vcc
	v_addc_co_u32_e32 v9, vcc, 0, v9, vcc
	v_add_co_u32_e32 v3, vcc, v3, v8
	v_addc_co_u32_e32 v24, vcc, 0, v9, vcc
	v_mul_lo_u32 v25, s59, v3
	v_mul_lo_u32 v32, s58, v24
	v_mad_u64_u32 v[8:9], s[0:1], s58, v3, 0
	v_add3_u32 v9, v9, v32, v25
	v_sub_u32_e32 v25, v30, v9
	v_mov_b32_e32 v32, s59
	v_sub_co_u32_e32 v8, vcc, v31, v8
	v_subb_co_u32_e64 v25, s[0:1], v25, v32, vcc
	v_subrev_co_u32_e64 v31, s[0:1], s58, v8
	v_subbrev_co_u32_e64 v25, s[0:1], 0, v25, s[0:1]
	v_cmp_le_u32_e64 s[0:1], s59, v25
	v_cndmask_b32_e64 v32, 0, -1, s[0:1]
	v_cmp_le_u32_e64 s[0:1], s58, v31
	v_cndmask_b32_e64 v31, 0, -1, s[0:1]
	v_cmp_eq_u32_e64 s[0:1], s59, v25
	v_cndmask_b32_e64 v25, v32, v31, s[0:1]
	v_add_co_u32_e64 v31, s[0:1], 2, v3
	v_subb_co_u32_e32 v9, vcc, v30, v9, vcc
	v_addc_co_u32_e64 v32, s[0:1], 0, v24, s[0:1]
	v_cmp_le_u32_e32 vcc, s59, v9
	v_add_co_u32_e64 v33, s[0:1], 1, v3
	v_cndmask_b32_e64 v30, 0, -1, vcc
	v_cmp_le_u32_e32 vcc, s58, v8
	v_addc_co_u32_e64 v34, s[0:1], 0, v24, s[0:1]
	v_cndmask_b32_e64 v8, 0, -1, vcc
	v_cmp_eq_u32_e32 vcc, s59, v9
	v_cmp_ne_u32_e64 s[0:1], 0, v25
	v_cndmask_b32_e32 v8, v30, v8, vcc
	v_cmp_ne_u32_e32 vcc, 0, v8
	v_cndmask_b32_e64 v9, v33, v31, s[0:1]
	v_cndmask_b32_e64 v25, v34, v32, s[0:1]
	v_cndmask_b32_e32 v3, v3, v9, vcc
	v_xor_b32_e32 v9, s48, v27
	v_cndmask_b32_e32 v8, v24, v25, vcc
	v_xor_b32_e32 v3, v3, v9
	v_xor_b32_e32 v8, v8, v9
	v_sub_co_u32_e32 v24, vcc, v3, v9
	v_subb_co_u32_e32 v25, vcc, v8, v9, vcc
                                        ; implicit-def: $vgpr8_vgpr9
.LBB35_21:                              ;   in Loop: Header=BB35_3 Depth=1
	s_or_saveexec_b64 s[0:1], s[44:45]
	v_cvt_f32_u32_e32 v27, s34
	s_xor_b64 exec, exec, s[0:1]
	s_cbranch_execz .LBB35_23
; %bb.22:                               ;   in Loop: Header=BB35_3 Depth=1
	v_rcp_iflag_f32_e32 v3, v27
	s_sub_i32 s44, 0, s34
	v_mov_b32_e32 v25, v2
	v_mul_f32_e32 v3, 0x4f7ffffe, v3
	v_cvt_u32_f32_e32 v3, v3
	v_mul_lo_u32 v9, s44, v3
	v_mul_hi_u32 v9, v3, v9
	v_add_u32_e32 v3, v3, v9
	v_mul_hi_u32 v3, v8, v3
	v_mul_lo_u32 v9, v3, s34
	v_sub_u32_e32 v8, v8, v9
	v_add_u32_e32 v24, 1, v3
	v_subrev_u32_e32 v9, s34, v8
	v_cmp_le_u32_e32 vcc, s34, v8
	v_cndmask_b32_e32 v8, v8, v9, vcc
	v_cndmask_b32_e32 v3, v3, v24, vcc
	v_add_u32_e32 v9, 1, v3
	v_cmp_le_u32_e32 vcc, s34, v8
	v_cndmask_b32_e32 v24, v3, v9, vcc
.LBB35_23:                              ;   in Loop: Header=BB35_3 Depth=1
	s_or_b64 exec, exec, s[0:1]
	v_mul_lo_u32 v3, v25, s34
	v_mul_lo_u32 v30, v24, s35
	v_mad_u64_u32 v[8:9], s[0:1], v24, s34, 0
	v_add3_u32 v3, v9, v30, v3
	v_sub_co_u32_e32 v8, vcc, v14, v8
	v_subb_co_u32_e32 v3, vcc, v15, v3, vcc
	v_add_co_u32_e32 v8, vcc, v0, v8
	v_addc_co_u32_e32 v3, vcc, v1, v3, vcc
	v_mul_lo_u32 v3, v3, s18
	v_mul_lo_u32 v14, v8, s19
	v_mad_u64_u32 v[8:9], s[0:1], v8, s18, 0
	v_add3_u32 v9, v9, v14, v3
	v_mul_lo_u32 v3, v25, s16
	v_mul_lo_u32 v25, v24, s17
	v_mad_u64_u32 v[14:15], s[0:1], v24, s16, 0
	v_add3_u32 v15, v15, v25, v3
	v_lshlrev_b64 v[14:15], 3, v[14:15]
	v_mov_b32_e32 v3, s31
	v_add_co_u32_e32 v14, vcc, s30, v14
	v_addc_co_u32_e32 v3, vcc, v3, v15, vcc
	v_lshlrev_b64 v[8:9], 3, v[8:9]
	v_add_co_u32_e32 v8, vcc, v14, v8
	v_addc_co_u32_e32 v9, vcc, v3, v9, vcc
	global_load_dwordx2 v[14:15], v[8:9], off
	v_or_b32_e32 v3, s35, v17
	v_cmp_ne_u64_e32 vcc, 0, v[2:3]
                                        ; implicit-def: $vgpr8_vgpr9
	s_and_saveexec_b64 s[0:1], vcc
	s_xor_b64 s[44:45], exec, s[0:1]
	s_cbranch_execz .LBB35_25
; %bb.24:                               ;   in Loop: Header=BB35_3 Depth=1
	s_ashr_i32 s48, s35, 31
	s_add_u32 s0, s34, s48
	s_mov_b32 s49, s48
	s_addc_u32 s1, s35, s48
	s_xor_b64 s[58:59], s[0:1], s[48:49]
	v_cvt_f32_u32_e32 v3, s58
	v_cvt_f32_u32_e32 v8, s59
	s_sub_u32 s0, 0, s58
	s_subb_u32 s1, 0, s59
	v_mac_f32_e32 v3, 0x4f800000, v8
	v_rcp_f32_e32 v3, v3
	v_mul_f32_e32 v3, 0x5f7ffffc, v3
	v_mul_f32_e32 v8, 0x2f800000, v3
	v_trunc_f32_e32 v8, v8
	v_mac_f32_e32 v3, 0xcf800000, v8
	v_cvt_u32_f32_e32 v8, v8
	v_cvt_u32_f32_e32 v3, v3
	v_mul_lo_u32 v9, s0, v8
	v_mul_hi_u32 v25, s0, v3
	v_mul_lo_u32 v24, s1, v3
	v_add_u32_e32 v9, v25, v9
	v_mul_lo_u32 v30, s0, v3
	v_add_u32_e32 v9, v9, v24
	v_mul_lo_u32 v25, v3, v9
	v_mul_hi_u32 v31, v3, v30
	v_mul_hi_u32 v24, v3, v9
	v_add_co_u32_e32 v25, vcc, v31, v25
	v_addc_co_u32_e32 v24, vcc, 0, v24, vcc
	v_mul_hi_u32 v32, v8, v30
	v_mul_lo_u32 v30, v8, v30
	v_add_co_u32_e32 v25, vcc, v25, v30
	v_mul_hi_u32 v31, v8, v9
	v_addc_co_u32_e32 v24, vcc, v24, v32, vcc
	v_addc_co_u32_e32 v25, vcc, 0, v31, vcc
	v_mul_lo_u32 v9, v8, v9
	v_add_co_u32_e32 v9, vcc, v24, v9
	v_addc_co_u32_e32 v24, vcc, 0, v25, vcc
	v_add_co_u32_e32 v3, vcc, v3, v9
	v_addc_co_u32_e32 v8, vcc, v8, v24, vcc
	v_mul_lo_u32 v9, s0, v8
	v_mul_hi_u32 v24, s0, v3
	v_add_u32_e32 v9, v24, v9
	v_mul_lo_u32 v24, s1, v3
	v_add_u32_e32 v9, v9, v24
	v_mul_lo_u32 v25, s0, v3
	v_mul_hi_u32 v30, v8, v25
	v_mul_lo_u32 v31, v8, v25
	v_mul_lo_u32 v33, v3, v9
	v_mul_hi_u32 v25, v3, v25
	v_mul_hi_u32 v32, v3, v9
	v_add_co_u32_e32 v25, vcc, v25, v33
	v_addc_co_u32_e32 v32, vcc, 0, v32, vcc
	v_add_co_u32_e32 v25, vcc, v25, v31
	v_mul_hi_u32 v24, v8, v9
	v_addc_co_u32_e32 v25, vcc, v32, v30, vcc
	v_addc_co_u32_e32 v24, vcc, 0, v24, vcc
	v_mul_lo_u32 v9, v8, v9
	v_add_co_u32_e32 v9, vcc, v25, v9
	v_addc_co_u32_e32 v24, vcc, 0, v24, vcc
	v_add_co_u32_e32 v3, vcc, v3, v9
	v_addc_co_u32_e32 v24, vcc, v8, v24, vcc
	;; [unrolled: 2-line block ×3, first 2 shown]
	v_xor_b32_e32 v30, v8, v28
	v_xor_b32_e32 v25, v9, v28
	v_mad_u64_u32 v[8:9], s[0:1], v30, v24, 0
	v_mul_hi_u32 v16, v30, v3
	v_add_co_u32_e32 v31, vcc, v16, v8
	v_addc_co_u32_e32 v32, vcc, 0, v9, vcc
	v_mad_u64_u32 v[16:17], s[0:1], v25, v3, 0
	v_add_co_u32_e32 v3, vcc, v31, v16
	v_mad_u64_u32 v[8:9], s[0:1], v25, v24, 0
	v_addc_co_u32_e32 v3, vcc, v32, v17, vcc
	v_addc_co_u32_e32 v9, vcc, 0, v9, vcc
	v_add_co_u32_e32 v3, vcc, v3, v8
	v_addc_co_u32_e32 v16, vcc, 0, v9, vcc
	v_mul_lo_u32 v17, s59, v3
	v_mul_lo_u32 v24, s58, v16
	v_mad_u64_u32 v[8:9], s[0:1], s58, v3, 0
	v_add3_u32 v9, v9, v24, v17
	v_sub_u32_e32 v17, v25, v9
	v_mov_b32_e32 v24, s59
	v_sub_co_u32_e32 v8, vcc, v30, v8
	v_subb_co_u32_e64 v17, s[0:1], v17, v24, vcc
	v_subrev_co_u32_e64 v24, s[0:1], s58, v8
	v_subbrev_co_u32_e64 v17, s[0:1], 0, v17, s[0:1]
	v_cmp_le_u32_e64 s[0:1], s59, v17
	v_cndmask_b32_e64 v30, 0, -1, s[0:1]
	v_cmp_le_u32_e64 s[0:1], s58, v24
	v_cndmask_b32_e64 v24, 0, -1, s[0:1]
	v_cmp_eq_u32_e64 s[0:1], s59, v17
	v_cndmask_b32_e64 v17, v30, v24, s[0:1]
	v_add_co_u32_e64 v24, s[0:1], 2, v3
	v_subb_co_u32_e32 v9, vcc, v25, v9, vcc
	v_addc_co_u32_e64 v30, s[0:1], 0, v16, s[0:1]
	v_cmp_le_u32_e32 vcc, s59, v9
	v_add_co_u32_e64 v31, s[0:1], 1, v3
	v_cndmask_b32_e64 v25, 0, -1, vcc
	v_cmp_le_u32_e32 vcc, s58, v8
	v_addc_co_u32_e64 v32, s[0:1], 0, v16, s[0:1]
	v_cndmask_b32_e64 v8, 0, -1, vcc
	v_cmp_eq_u32_e32 vcc, s59, v9
	v_cmp_ne_u32_e64 s[0:1], 0, v17
	v_cndmask_b32_e32 v8, v25, v8, vcc
	v_cmp_ne_u32_e32 vcc, 0, v8
	v_cndmask_b32_e64 v9, v31, v24, s[0:1]
	v_cndmask_b32_e64 v17, v32, v30, s[0:1]
	v_cndmask_b32_e32 v3, v3, v9, vcc
	v_xor_b32_e32 v9, s48, v28
	v_cndmask_b32_e32 v8, v16, v17, vcc
	v_xor_b32_e32 v3, v3, v9
	v_xor_b32_e32 v16, v8, v9
	v_sub_co_u32_e32 v8, vcc, v3, v9
	v_subb_co_u32_e32 v9, vcc, v16, v9, vcc
                                        ; implicit-def: $vgpr16_vgpr17
.LBB35_25:                              ;   in Loop: Header=BB35_3 Depth=1
	s_andn2_saveexec_b64 s[0:1], s[44:45]
	s_cbranch_execz .LBB35_27
; %bb.26:                               ;   in Loop: Header=BB35_3 Depth=1
	v_rcp_iflag_f32_e32 v3, v27
	s_sub_i32 s44, 0, s34
	v_mul_f32_e32 v3, 0x4f7ffffe, v3
	v_cvt_u32_f32_e32 v3, v3
	v_mul_lo_u32 v8, s44, v3
	v_mul_hi_u32 v8, v3, v8
	v_add_u32_e32 v3, v3, v8
	v_mul_hi_u32 v3, v16, v3
	v_mul_lo_u32 v8, v3, s34
	v_sub_u32_e32 v8, v16, v8
	v_add_u32_e32 v9, 1, v3
	v_subrev_u32_e32 v16, s34, v8
	v_cmp_le_u32_e32 vcc, s34, v8
	v_cndmask_b32_e32 v8, v8, v16, vcc
	v_cndmask_b32_e32 v3, v3, v9, vcc
	v_add_u32_e32 v9, 1, v3
	v_cmp_le_u32_e32 vcc, s34, v8
	v_cndmask_b32_e32 v8, v3, v9, vcc
	v_mov_b32_e32 v9, v2
.LBB35_27:                              ;   in Loop: Header=BB35_3 Depth=1
	s_or_b64 exec, exec, s[0:1]
	v_mul_lo_u32 v3, v9, s34
	v_mul_lo_u32 v24, v8, s35
	v_mad_u64_u32 v[16:17], s[0:1], v8, s34, 0
	v_add3_u32 v3, v17, v24, v3
	v_sub_co_u32_e32 v16, vcc, v20, v16
	v_subb_co_u32_e32 v3, vcc, v29, v3, vcc
	v_add_co_u32_e32 v16, vcc, v0, v16
	v_addc_co_u32_e32 v3, vcc, v1, v3, vcc
	v_mul_lo_u32 v3, v3, s18
	v_mul_lo_u32 v20, v16, s19
	v_mad_u64_u32 v[16:17], s[0:1], v16, s18, 0
	v_add3_u32 v17, v17, v20, v3
	v_mul_lo_u32 v3, v9, s16
	v_mul_lo_u32 v20, v8, s17
	v_mad_u64_u32 v[8:9], s[0:1], v8, s16, 0
	v_add3_u32 v9, v9, v20, v3
	v_lshlrev_b64 v[8:9], 3, v[8:9]
	v_mov_b32_e32 v3, s31
	v_add_co_u32_e32 v20, vcc, s30, v8
	v_addc_co_u32_e32 v3, vcc, v3, v9, vcc
	v_lshlrev_b64 v[8:9], 3, v[16:17]
	v_add_co_u32_e32 v8, vcc, v20, v8
	v_addc_co_u32_e32 v9, vcc, v3, v9, vcc
	global_load_dwordx2 v[16:17], v[8:9], off
	v_or_b32_e32 v3, s35, v19
	v_cmp_ne_u64_e32 vcc, 0, v[2:3]
                                        ; implicit-def: $vgpr8_vgpr9
	s_and_saveexec_b64 s[0:1], vcc
	s_xor_b64 s[44:45], exec, s[0:1]
	s_cbranch_execz .LBB35_29
; %bb.28:                               ;   in Loop: Header=BB35_3 Depth=1
	s_ashr_i32 s48, s35, 31
	s_add_u32 s0, s34, s48
	s_mov_b32 s49, s48
	s_addc_u32 s1, s35, s48
	s_xor_b64 s[58:59], s[0:1], s[48:49]
	v_cvt_f32_u32_e32 v3, s58
	v_cvt_f32_u32_e32 v8, s59
	s_sub_u32 s0, 0, s58
	s_subb_u32 s1, 0, s59
	v_mac_f32_e32 v3, 0x4f800000, v8
	v_rcp_f32_e32 v3, v3
	v_mul_f32_e32 v3, 0x5f7ffffc, v3
	v_mul_f32_e32 v8, 0x2f800000, v3
	v_trunc_f32_e32 v8, v8
	v_mac_f32_e32 v3, 0xcf800000, v8
	v_cvt_u32_f32_e32 v8, v8
	v_cvt_u32_f32_e32 v3, v3
	v_mul_lo_u32 v9, s0, v8
	v_mul_hi_u32 v24, s0, v3
	v_mul_lo_u32 v20, s1, v3
	v_add_u32_e32 v9, v24, v9
	v_mul_lo_u32 v25, s0, v3
	v_add_u32_e32 v9, v9, v20
	v_mul_lo_u32 v24, v3, v9
	v_mul_hi_u32 v27, v3, v25
	v_mul_hi_u32 v20, v3, v9
	v_add_co_u32_e32 v24, vcc, v27, v24
	v_addc_co_u32_e32 v20, vcc, 0, v20, vcc
	v_mul_hi_u32 v28, v8, v25
	v_mul_lo_u32 v25, v8, v25
	v_add_co_u32_e32 v24, vcc, v24, v25
	v_mul_hi_u32 v27, v8, v9
	v_addc_co_u32_e32 v20, vcc, v20, v28, vcc
	v_addc_co_u32_e32 v24, vcc, 0, v27, vcc
	v_mul_lo_u32 v9, v8, v9
	v_add_co_u32_e32 v9, vcc, v20, v9
	v_addc_co_u32_e32 v20, vcc, 0, v24, vcc
	v_add_co_u32_e32 v3, vcc, v3, v9
	v_addc_co_u32_e32 v8, vcc, v8, v20, vcc
	v_mul_lo_u32 v9, s0, v8
	v_mul_hi_u32 v20, s0, v3
	v_add_u32_e32 v9, v20, v9
	v_mul_lo_u32 v20, s1, v3
	v_add_u32_e32 v9, v9, v20
	v_mul_lo_u32 v24, s0, v3
	v_mul_hi_u32 v25, v8, v24
	v_mul_lo_u32 v27, v8, v24
	v_mul_lo_u32 v29, v3, v9
	v_mul_hi_u32 v24, v3, v24
	v_mul_hi_u32 v28, v3, v9
	v_add_co_u32_e32 v24, vcc, v24, v29
	v_addc_co_u32_e32 v28, vcc, 0, v28, vcc
	v_add_co_u32_e32 v24, vcc, v24, v27
	v_mul_hi_u32 v20, v8, v9
	v_addc_co_u32_e32 v24, vcc, v28, v25, vcc
	v_addc_co_u32_e32 v20, vcc, 0, v20, vcc
	v_mul_lo_u32 v9, v8, v9
	v_add_co_u32_e32 v9, vcc, v24, v9
	v_addc_co_u32_e32 v20, vcc, 0, v20, vcc
	v_add_co_u32_e32 v3, vcc, v3, v9
	v_addc_co_u32_e32 v20, vcc, v8, v20, vcc
	;; [unrolled: 2-line block ×3, first 2 shown]
	v_xor_b32_e32 v25, v8, v21
	v_xor_b32_e32 v24, v9, v21
	v_mad_u64_u32 v[8:9], s[0:1], v25, v20, 0
	v_mul_hi_u32 v18, v25, v3
	v_add_co_u32_e32 v27, vcc, v18, v8
	v_addc_co_u32_e32 v28, vcc, 0, v9, vcc
	v_mad_u64_u32 v[18:19], s[0:1], v24, v3, 0
	v_add_co_u32_e32 v3, vcc, v27, v18
	v_mad_u64_u32 v[8:9], s[0:1], v24, v20, 0
	v_addc_co_u32_e32 v3, vcc, v28, v19, vcc
	v_addc_co_u32_e32 v9, vcc, 0, v9, vcc
	v_add_co_u32_e32 v3, vcc, v3, v8
	v_addc_co_u32_e32 v18, vcc, 0, v9, vcc
	v_mul_lo_u32 v19, s59, v3
	v_mul_lo_u32 v20, s58, v18
	v_mad_u64_u32 v[8:9], s[0:1], s58, v3, 0
	v_add3_u32 v9, v9, v20, v19
	v_sub_u32_e32 v19, v24, v9
	v_mov_b32_e32 v20, s59
	v_sub_co_u32_e32 v8, vcc, v25, v8
	v_subb_co_u32_e64 v19, s[0:1], v19, v20, vcc
	v_subrev_co_u32_e64 v20, s[0:1], s58, v8
	v_subbrev_co_u32_e64 v19, s[0:1], 0, v19, s[0:1]
	v_cmp_le_u32_e64 s[0:1], s59, v19
	v_cndmask_b32_e64 v25, 0, -1, s[0:1]
	v_cmp_le_u32_e64 s[0:1], s58, v20
	v_cndmask_b32_e64 v20, 0, -1, s[0:1]
	v_cmp_eq_u32_e64 s[0:1], s59, v19
	v_cndmask_b32_e64 v19, v25, v20, s[0:1]
	v_add_co_u32_e64 v20, s[0:1], 2, v3
	v_subb_co_u32_e32 v9, vcc, v24, v9, vcc
	v_addc_co_u32_e64 v25, s[0:1], 0, v18, s[0:1]
	v_cmp_le_u32_e32 vcc, s59, v9
	v_add_co_u32_e64 v27, s[0:1], 1, v3
	v_cndmask_b32_e64 v24, 0, -1, vcc
	v_cmp_le_u32_e32 vcc, s58, v8
	v_addc_co_u32_e64 v28, s[0:1], 0, v18, s[0:1]
	v_cndmask_b32_e64 v8, 0, -1, vcc
	v_cmp_eq_u32_e32 vcc, s59, v9
	v_cmp_ne_u32_e64 s[0:1], 0, v19
	v_cndmask_b32_e32 v8, v24, v8, vcc
	v_cmp_ne_u32_e32 vcc, 0, v8
	v_cndmask_b32_e64 v9, v27, v20, s[0:1]
	v_cndmask_b32_e64 v19, v28, v25, s[0:1]
	v_cndmask_b32_e32 v3, v3, v9, vcc
	v_xor_b32_e32 v9, s48, v21
	v_cndmask_b32_e32 v8, v18, v19, vcc
	v_xor_b32_e32 v3, v3, v9
	v_xor_b32_e32 v18, v8, v9
	v_sub_co_u32_e32 v8, vcc, v3, v9
	v_subb_co_u32_e32 v9, vcc, v18, v9, vcc
                                        ; implicit-def: $vgpr27
                                        ; implicit-def: $vgpr18_vgpr19
.LBB35_29:                              ;   in Loop: Header=BB35_3 Depth=1
	s_andn2_saveexec_b64 s[0:1], s[44:45]
	s_cbranch_execz .LBB35_31
; %bb.30:                               ;   in Loop: Header=BB35_3 Depth=1
	v_rcp_iflag_f32_e32 v3, v27
	s_sub_i32 s44, 0, s34
	v_mul_f32_e32 v3, 0x4f7ffffe, v3
	v_cvt_u32_f32_e32 v3, v3
	v_mul_lo_u32 v8, s44, v3
	v_mul_hi_u32 v8, v3, v8
	v_add_u32_e32 v3, v3, v8
	v_mul_hi_u32 v3, v18, v3
	v_mul_lo_u32 v8, v3, s34
	v_sub_u32_e32 v8, v18, v8
	v_add_u32_e32 v9, 1, v3
	v_subrev_u32_e32 v18, s34, v8
	v_cmp_le_u32_e32 vcc, s34, v8
	v_cndmask_b32_e32 v8, v8, v18, vcc
	v_cndmask_b32_e32 v3, v3, v9, vcc
	v_add_u32_e32 v9, 1, v3
	v_cmp_le_u32_e32 vcc, s34, v8
	v_cndmask_b32_e32 v8, v3, v9, vcc
	v_mov_b32_e32 v9, v2
.LBB35_31:                              ;   in Loop: Header=BB35_3 Depth=1
	s_or_b64 exec, exec, s[0:1]
	v_mul_lo_u32 v3, v9, s34
	v_mul_lo_u32 v20, v8, s35
	v_mad_u64_u32 v[18:19], s[0:1], v8, s34, 0
	v_add3_u32 v3, v19, v20, v3
	v_sub_co_u32_e32 v18, vcc, v22, v18
	v_subb_co_u32_e32 v3, vcc, v23, v3, vcc
	v_add_co_u32_e32 v18, vcc, v0, v18
	v_addc_co_u32_e32 v3, vcc, v1, v3, vcc
	v_mul_lo_u32 v3, v3, s18
	v_mul_lo_u32 v20, v18, s19
	v_mad_u64_u32 v[18:19], s[0:1], v18, s18, 0
	v_add3_u32 v19, v19, v20, v3
	v_mul_lo_u32 v3, v9, s16
	v_mul_lo_u32 v20, v8, s17
	v_mad_u64_u32 v[8:9], s[0:1], v8, s16, 0
	v_add3_u32 v9, v9, v20, v3
	v_lshlrev_b64 v[8:9], 3, v[8:9]
	v_mov_b32_e32 v3, s31
	v_add_co_u32_e32 v20, vcc, s30, v8
	v_addc_co_u32_e32 v3, vcc, v3, v9, vcc
	v_lshlrev_b64 v[8:9], 3, v[18:19]
	v_add_co_u32_e32 v8, vcc, v20, v8
	v_addc_co_u32_e32 v9, vcc, v3, v9, vcc
	global_load_dwordx2 v[18:19], v[8:9], off
	v_or_b32_e32 v3, s47, v1
	v_cmp_ne_u64_e32 vcc, 0, v[2:3]
                                        ; implicit-def: $vgpr8_vgpr9
	s_and_saveexec_b64 s[0:1], vcc
	s_xor_b64 s[44:45], exec, s[0:1]
	s_cbranch_execz .LBB35_33
; %bb.32:                               ;   in Loop: Header=BB35_3 Depth=1
	s_ashr_i32 s48, s47, 31
	s_add_u32 s0, s46, s48
	s_mov_b32 s49, s48
	s_addc_u32 s1, s47, s48
	s_xor_b64 s[58:59], s[0:1], s[48:49]
	v_cvt_f32_u32_e32 v3, s58
	v_cvt_f32_u32_e32 v8, s59
	s_sub_u32 s0, 0, s58
	s_subb_u32 s1, 0, s59
	v_mac_f32_e32 v3, 0x4f800000, v8
	v_rcp_f32_e32 v3, v3
	v_mul_f32_e32 v3, 0x5f7ffffc, v3
	v_mul_f32_e32 v8, 0x2f800000, v3
	v_trunc_f32_e32 v8, v8
	v_mac_f32_e32 v3, 0xcf800000, v8
	v_cvt_u32_f32_e32 v8, v8
	v_cvt_u32_f32_e32 v3, v3
	v_mul_lo_u32 v9, s0, v8
	v_mul_hi_u32 v21, s0, v3
	v_mul_lo_u32 v20, s1, v3
	v_add_u32_e32 v9, v21, v9
	v_mul_lo_u32 v22, s0, v3
	v_add_u32_e32 v9, v9, v20
	v_mul_lo_u32 v21, v3, v9
	v_mul_hi_u32 v23, v3, v22
	v_mul_hi_u32 v20, v3, v9
	v_add_co_u32_e32 v21, vcc, v23, v21
	v_addc_co_u32_e32 v20, vcc, 0, v20, vcc
	v_mul_hi_u32 v24, v8, v22
	v_mul_lo_u32 v22, v8, v22
	v_add_co_u32_e32 v21, vcc, v21, v22
	v_mul_hi_u32 v23, v8, v9
	v_addc_co_u32_e32 v20, vcc, v20, v24, vcc
	v_addc_co_u32_e32 v21, vcc, 0, v23, vcc
	v_mul_lo_u32 v9, v8, v9
	v_add_co_u32_e32 v9, vcc, v20, v9
	v_addc_co_u32_e32 v20, vcc, 0, v21, vcc
	v_add_co_u32_e32 v3, vcc, v3, v9
	v_addc_co_u32_e32 v8, vcc, v8, v20, vcc
	v_mul_lo_u32 v9, s0, v8
	v_mul_hi_u32 v20, s0, v3
	v_add_u32_e32 v9, v20, v9
	v_mul_lo_u32 v20, s1, v3
	v_add_u32_e32 v9, v9, v20
	v_mul_lo_u32 v21, s0, v3
	v_mul_hi_u32 v22, v8, v21
	v_mul_lo_u32 v23, v8, v21
	v_mul_lo_u32 v25, v3, v9
	v_mul_hi_u32 v21, v3, v21
	v_mul_hi_u32 v24, v3, v9
	v_add_co_u32_e32 v21, vcc, v21, v25
	v_addc_co_u32_e32 v24, vcc, 0, v24, vcc
	v_add_co_u32_e32 v21, vcc, v21, v23
	v_mul_hi_u32 v20, v8, v9
	v_addc_co_u32_e32 v21, vcc, v24, v22, vcc
	v_addc_co_u32_e32 v20, vcc, 0, v20, vcc
	v_mul_lo_u32 v9, v8, v9
	v_add_co_u32_e32 v9, vcc, v21, v9
	v_addc_co_u32_e32 v20, vcc, 0, v20, vcc
	v_add_co_u32_e32 v3, vcc, v3, v9
	v_addc_co_u32_e32 v20, vcc, v8, v20, vcc
	;; [unrolled: 2-line block ×3, first 2 shown]
	v_xor_b32_e32 v23, v8, v26
	v_xor_b32_e32 v22, v9, v26
	v_mad_u64_u32 v[8:9], s[0:1], v23, v20, 0
	v_mul_hi_u32 v21, v23, v3
	v_add_co_u32_e32 v24, vcc, v21, v8
	v_addc_co_u32_e32 v25, vcc, 0, v9, vcc
	v_mad_u64_u32 v[8:9], s[0:1], v22, v20, 0
	v_mad_u64_u32 v[20:21], s[0:1], v22, v3, 0
	v_add_co_u32_e32 v3, vcc, v24, v20
	v_addc_co_u32_e32 v3, vcc, v25, v21, vcc
	v_addc_co_u32_e32 v9, vcc, 0, v9, vcc
	v_add_co_u32_e32 v3, vcc, v3, v8
	v_addc_co_u32_e32 v20, vcc, 0, v9, vcc
	v_mul_lo_u32 v21, s59, v3
	v_mul_lo_u32 v24, s58, v20
	v_mad_u64_u32 v[8:9], s[0:1], s58, v3, 0
	v_add3_u32 v9, v9, v24, v21
	v_sub_u32_e32 v21, v22, v9
	v_mov_b32_e32 v24, s59
	v_sub_co_u32_e32 v8, vcc, v23, v8
	v_subb_co_u32_e64 v21, s[0:1], v21, v24, vcc
	v_subrev_co_u32_e64 v23, s[0:1], s58, v8
	v_subbrev_co_u32_e64 v21, s[0:1], 0, v21, s[0:1]
	v_cmp_le_u32_e64 s[0:1], s59, v21
	v_cndmask_b32_e64 v24, 0, -1, s[0:1]
	v_cmp_le_u32_e64 s[0:1], s58, v23
	v_cndmask_b32_e64 v23, 0, -1, s[0:1]
	v_cmp_eq_u32_e64 s[0:1], s59, v21
	v_cndmask_b32_e64 v21, v24, v23, s[0:1]
	v_add_co_u32_e64 v23, s[0:1], 2, v3
	v_subb_co_u32_e32 v9, vcc, v22, v9, vcc
	v_addc_co_u32_e64 v24, s[0:1], 0, v20, s[0:1]
	v_cmp_le_u32_e32 vcc, s59, v9
	v_add_co_u32_e64 v25, s[0:1], 1, v3
	v_cndmask_b32_e64 v22, 0, -1, vcc
	v_cmp_le_u32_e32 vcc, s58, v8
	v_addc_co_u32_e64 v27, s[0:1], 0, v20, s[0:1]
	v_cndmask_b32_e64 v8, 0, -1, vcc
	v_cmp_eq_u32_e32 vcc, s59, v9
	v_cmp_ne_u32_e64 s[0:1], 0, v21
	v_cndmask_b32_e32 v8, v22, v8, vcc
	v_cmp_ne_u32_e32 vcc, 0, v8
	v_cndmask_b32_e64 v9, v25, v23, s[0:1]
	v_cndmask_b32_e64 v21, v27, v24, s[0:1]
	v_cndmask_b32_e32 v3, v3, v9, vcc
	v_xor_b32_e32 v9, s48, v26
	v_cndmask_b32_e32 v8, v20, v21, vcc
	v_xor_b32_e32 v3, v3, v9
	v_xor_b32_e32 v20, v8, v9
	v_sub_co_u32_e32 v8, vcc, v3, v9
	v_subb_co_u32_e32 v9, vcc, v20, v9, vcc
.LBB35_33:                              ;   in Loop: Header=BB35_3 Depth=1
	s_andn2_saveexec_b64 s[0:1], s[44:45]
	s_cbranch_execz .LBB35_35
; %bb.34:                               ;   in Loop: Header=BB35_3 Depth=1
	v_cvt_f32_u32_e32 v3, s46
	s_sub_i32 s44, 0, s46
	v_rcp_iflag_f32_e32 v3, v3
	v_mul_f32_e32 v3, 0x4f7ffffe, v3
	v_cvt_u32_f32_e32 v3, v3
	v_mul_lo_u32 v8, s44, v3
	v_mul_hi_u32 v8, v3, v8
	v_add_u32_e32 v3, v3, v8
	v_mul_hi_u32 v3, v0, v3
	v_mul_lo_u32 v8, v3, s46
	v_sub_u32_e32 v8, v0, v8
	v_add_u32_e32 v9, 1, v3
	v_subrev_u32_e32 v20, s46, v8
	v_cmp_le_u32_e32 vcc, s46, v8
	v_cndmask_b32_e32 v8, v8, v20, vcc
	v_cndmask_b32_e32 v3, v3, v9, vcc
	v_add_u32_e32 v9, 1, v3
	v_cmp_le_u32_e32 vcc, s46, v8
	v_cndmask_b32_e32 v8, v3, v9, vcc
	v_mov_b32_e32 v9, v2
.LBB35_35:                              ;   in Loop: Header=BB35_3 Depth=1
	s_or_b64 exec, exec, s[0:1]
	v_mad_u64_u32 v[20:21], s[0:1], s68, v8, v[0:1]
	v_mul_lo_u32 v3, s68, v9
	v_mul_lo_u32 v22, s69, v8
	v_add3_u32 v3, v22, v21, v3
	v_mul_lo_u32 v22, v20, s23
	v_mul_lo_u32 v3, v3, s22
	v_mad_u64_u32 v[20:21], s[0:1], v20, s22, 0
	v_add3_u32 v21, v21, v22, v3
	v_mul_lo_u32 v3, v9, s20
	v_mul_lo_u32 v22, v8, s21
	v_mad_u64_u32 v[8:9], s[0:1], v8, s20, 0
	v_add3_u32 v9, v9, v22, v3
	v_readlane_b32 s0, v46, 0
	v_lshlrev_b64 v[8:9], 3, v[8:9]
	v_readlane_b32 s1, v46, 1
	v_mov_b32_e32 v3, s1
	v_add_co_u32_e32 v22, vcc, s0, v8
	v_addc_co_u32_e32 v3, vcc, v3, v9, vcc
	v_lshlrev_b64 v[8:9], 3, v[20:21]
	v_add_co_u32_e32 v8, vcc, v22, v8
	v_addc_co_u32_e32 v9, vcc, v3, v9, vcc
	global_load_dwordx2 v[8:9], v[8:9], off
	v_or_b32_e32 v3, s51, v1
	v_cmp_ne_u64_e32 vcc, 0, v[2:3]
                                        ; implicit-def: $vgpr20_vgpr21
	s_and_saveexec_b64 s[0:1], vcc
	s_xor_b64 s[44:45], exec, s[0:1]
	s_cbranch_execz .LBB35_37
; %bb.36:                               ;   in Loop: Header=BB35_3 Depth=1
	s_ashr_i32 s48, s51, 31
	s_add_u32 s0, s50, s48
	s_mov_b32 s49, s48
	s_addc_u32 s1, s51, s48
	s_xor_b64 s[58:59], s[0:1], s[48:49]
	v_cvt_f32_u32_e32 v3, s58
	v_cvt_f32_u32_e32 v20, s59
	s_sub_u32 s0, 0, s58
	s_subb_u32 s1, 0, s59
	v_mac_f32_e32 v3, 0x4f800000, v20
	v_rcp_f32_e32 v3, v3
	v_mul_f32_e32 v3, 0x5f7ffffc, v3
	v_mul_f32_e32 v20, 0x2f800000, v3
	v_trunc_f32_e32 v20, v20
	v_mac_f32_e32 v3, 0xcf800000, v20
	v_cvt_u32_f32_e32 v20, v20
	v_cvt_u32_f32_e32 v3, v3
	v_mul_lo_u32 v21, s0, v20
	v_mul_hi_u32 v23, s0, v3
	v_mul_lo_u32 v22, s1, v3
	v_add_u32_e32 v21, v23, v21
	v_mul_lo_u32 v24, s0, v3
	v_add_u32_e32 v21, v21, v22
	v_mul_lo_u32 v23, v3, v21
	v_mul_hi_u32 v25, v3, v24
	v_mul_hi_u32 v22, v3, v21
	v_add_co_u32_e32 v23, vcc, v25, v23
	v_addc_co_u32_e32 v22, vcc, 0, v22, vcc
	v_mul_hi_u32 v27, v20, v24
	v_mul_lo_u32 v24, v20, v24
	v_add_co_u32_e32 v23, vcc, v23, v24
	v_mul_hi_u32 v25, v20, v21
	v_addc_co_u32_e32 v22, vcc, v22, v27, vcc
	v_addc_co_u32_e32 v23, vcc, 0, v25, vcc
	v_mul_lo_u32 v21, v20, v21
	v_add_co_u32_e32 v21, vcc, v22, v21
	v_addc_co_u32_e32 v22, vcc, 0, v23, vcc
	v_add_co_u32_e32 v3, vcc, v3, v21
	v_addc_co_u32_e32 v20, vcc, v20, v22, vcc
	v_mul_lo_u32 v21, s0, v20
	v_mul_hi_u32 v22, s0, v3
	v_add_u32_e32 v21, v22, v21
	v_mul_lo_u32 v22, s1, v3
	v_add_u32_e32 v21, v21, v22
	v_mul_lo_u32 v23, s0, v3
	v_mul_hi_u32 v24, v20, v23
	v_mul_lo_u32 v25, v20, v23
	v_mul_lo_u32 v28, v3, v21
	v_mul_hi_u32 v23, v3, v23
	v_mul_hi_u32 v27, v3, v21
	v_add_co_u32_e32 v23, vcc, v23, v28
	v_addc_co_u32_e32 v27, vcc, 0, v27, vcc
	v_add_co_u32_e32 v23, vcc, v23, v25
	v_mul_hi_u32 v22, v20, v21
	v_addc_co_u32_e32 v23, vcc, v27, v24, vcc
	v_addc_co_u32_e32 v22, vcc, 0, v22, vcc
	v_mul_lo_u32 v21, v20, v21
	v_add_co_u32_e32 v21, vcc, v23, v21
	v_addc_co_u32_e32 v22, vcc, 0, v22, vcc
	v_add_co_u32_e32 v3, vcc, v3, v21
	v_addc_co_u32_e32 v22, vcc, v20, v22, vcc
	;; [unrolled: 2-line block ×3, first 2 shown]
	v_xor_b32_e32 v25, v20, v26
	v_xor_b32_e32 v24, v21, v26
	v_mad_u64_u32 v[20:21], s[0:1], v25, v22, 0
	v_mul_hi_u32 v23, v25, v3
	v_add_co_u32_e32 v27, vcc, v23, v20
	v_addc_co_u32_e32 v28, vcc, 0, v21, vcc
	v_mad_u64_u32 v[20:21], s[0:1], v24, v22, 0
	v_mad_u64_u32 v[22:23], s[0:1], v24, v3, 0
	v_add_co_u32_e32 v3, vcc, v27, v22
	v_addc_co_u32_e32 v3, vcc, v28, v23, vcc
	v_addc_co_u32_e32 v21, vcc, 0, v21, vcc
	v_add_co_u32_e32 v3, vcc, v3, v20
	v_addc_co_u32_e32 v22, vcc, 0, v21, vcc
	v_mul_lo_u32 v23, s59, v3
	v_mul_lo_u32 v27, s58, v22
	v_mad_u64_u32 v[20:21], s[0:1], s58, v3, 0
	v_add3_u32 v21, v21, v27, v23
	v_sub_u32_e32 v23, v24, v21
	v_mov_b32_e32 v27, s59
	v_sub_co_u32_e32 v20, vcc, v25, v20
	v_subb_co_u32_e64 v23, s[0:1], v23, v27, vcc
	v_subrev_co_u32_e64 v25, s[0:1], s58, v20
	v_subbrev_co_u32_e64 v23, s[0:1], 0, v23, s[0:1]
	v_cmp_le_u32_e64 s[0:1], s59, v23
	v_cndmask_b32_e64 v27, 0, -1, s[0:1]
	v_cmp_le_u32_e64 s[0:1], s58, v25
	v_cndmask_b32_e64 v25, 0, -1, s[0:1]
	v_cmp_eq_u32_e64 s[0:1], s59, v23
	v_cndmask_b32_e64 v23, v27, v25, s[0:1]
	v_add_co_u32_e64 v25, s[0:1], 2, v3
	v_subb_co_u32_e32 v21, vcc, v24, v21, vcc
	v_addc_co_u32_e64 v27, s[0:1], 0, v22, s[0:1]
	v_cmp_le_u32_e32 vcc, s59, v21
	v_add_co_u32_e64 v28, s[0:1], 1, v3
	v_cndmask_b32_e64 v24, 0, -1, vcc
	v_cmp_le_u32_e32 vcc, s58, v20
	v_addc_co_u32_e64 v29, s[0:1], 0, v22, s[0:1]
	v_cndmask_b32_e64 v20, 0, -1, vcc
	v_cmp_eq_u32_e32 vcc, s59, v21
	v_cmp_ne_u32_e64 s[0:1], 0, v23
	v_cndmask_b32_e32 v20, v24, v20, vcc
	v_cmp_ne_u32_e32 vcc, 0, v20
	v_cndmask_b32_e64 v21, v28, v25, s[0:1]
	v_cndmask_b32_e64 v23, v29, v27, s[0:1]
	v_cndmask_b32_e32 v3, v3, v21, vcc
	v_xor_b32_e32 v21, s48, v26
	v_cndmask_b32_e32 v20, v22, v23, vcc
	v_xor_b32_e32 v3, v3, v21
	v_xor_b32_e32 v22, v20, v21
	v_sub_co_u32_e32 v20, vcc, v3, v21
	v_subb_co_u32_e32 v21, vcc, v22, v21, vcc
.LBB35_37:                              ;   in Loop: Header=BB35_3 Depth=1
	s_andn2_saveexec_b64 s[0:1], s[44:45]
	s_cbranch_execz .LBB35_39
; %bb.38:                               ;   in Loop: Header=BB35_3 Depth=1
	v_cvt_f32_u32_e32 v3, s50
	s_sub_i32 s44, 0, s50
	v_rcp_iflag_f32_e32 v3, v3
	v_mul_f32_e32 v3, 0x4f7ffffe, v3
	v_cvt_u32_f32_e32 v3, v3
	v_mul_lo_u32 v20, s44, v3
	v_mul_hi_u32 v20, v3, v20
	v_add_u32_e32 v3, v3, v20
	v_mul_hi_u32 v3, v0, v3
	v_mul_lo_u32 v20, v3, s50
	v_sub_u32_e32 v20, v0, v20
	v_add_u32_e32 v21, 1, v3
	v_subrev_u32_e32 v22, s50, v20
	v_cmp_le_u32_e32 vcc, s50, v20
	v_cndmask_b32_e32 v20, v20, v22, vcc
	v_cndmask_b32_e32 v3, v3, v21, vcc
	v_add_u32_e32 v21, 1, v3
	v_cmp_le_u32_e32 vcc, s50, v20
	v_cndmask_b32_e32 v20, v3, v21, vcc
	v_mov_b32_e32 v21, v2
.LBB35_39:                              ;   in Loop: Header=BB35_3 Depth=1
	s_or_b64 exec, exec, s[0:1]
	v_readlane_b32 s0, v46, 4
	v_readlane_b32 s1, v46, 5
	v_pk_mov_b32 v[28:29], 0, 0
	s_andn2_b64 vcc, exec, s[0:1]
	v_pk_mov_b32 v[24:25], v[28:29], v[28:29] op_sel:[0,1]
	v_pk_mov_b32 v[34:35], v[28:29], v[28:29] op_sel:[0,1]
	;; [unrolled: 1-line block ×5, first 2 shown]
	s_cbranch_vccnz .LBB35_41
; %bb.40:                               ;   in Loop: Header=BB35_3 Depth=1
	v_mad_u64_u32 v[22:23], s[0:1], s33, v4, v[0:1]
	v_readlane_b32 s0, v46, 7
	v_mul_lo_u32 v3, s33, v5
	v_mul_lo_u32 v24, s0, v4
	v_add3_u32 v3, v24, v23, v3
	v_mul_lo_u32 v23, v22, s39
	v_mul_lo_u32 v26, v3, s38
	v_mad_u64_u32 v[24:25], s[0:1], v22, s38, 0
	v_add3_u32 v25, v25, v23, v26
	v_lshlrev_b64 v[24:25], 3, v[24:25]
	v_mov_b32_e32 v23, s37
	v_add_co_u32_e32 v24, vcc, s36, v24
	v_addc_co_u32_e32 v25, vcc, v23, v25, vcc
	v_sub_co_u32_e32 v26, vcc, 1, v4
	v_subb_co_u32_e32 v27, vcc, 0, v5, vcc
	v_mul_lo_u32 v28, s8, v27
	v_mul_lo_u32 v29, s9, v26
	v_mad_u64_u32 v[26:27], s[0:1], s8, v26, v[0:1]
	v_add3_u32 v27, v29, v27, v28
	v_mul_lo_u32 v30, v27, s38
	v_mul_lo_u32 v31, v26, s39
	v_mad_u64_u32 v[28:29], s[0:1], v26, s38, 0
	v_add3_u32 v29, v29, v31, v30
	v_lshlrev_b64 v[28:29], 3, v[28:29]
	v_add_co_u32_e32 v28, vcc, s36, v28
	v_addc_co_u32_e32 v29, vcc, v23, v29, vcc
	v_sub_co_u32_e32 v30, vcc, 2, v4
	v_subb_co_u32_e32 v31, vcc, 0, v5, vcc
	v_mul_lo_u32 v31, s8, v31
	v_mul_lo_u32 v34, s9, v30
	v_mad_u64_u32 v[32:33], s[0:1], s8, v30, v[0:1]
	v_add3_u32 v33, v34, v33, v31
	v_mul_lo_u32 v34, v33, s38
	v_mul_lo_u32 v35, v32, s39
	v_mad_u64_u32 v[30:31], s[0:1], v32, s38, 0
	v_add3_u32 v31, v31, v35, v34
	v_lshlrev_b64 v[30:31], 3, v[30:31]
	v_add_co_u32_e32 v34, vcc, s36, v30
	v_addc_co_u32_e32 v35, vcc, v23, v31, vcc
	global_load_dwordx2 v[30:31], v[24:25], off
	s_nop 0
	global_load_dwordx2 v[28:29], v[28:29], off
	s_nop 0
	global_load_dwordx2 v[24:25], v[34:35], off
	v_mul_lo_u32 v34, v22, s43
	v_mul_lo_u32 v3, v3, s42
	v_mad_u64_u32 v[22:23], s[0:1], v22, s42, 0
	v_add3_u32 v23, v23, v34, v3
	v_lshlrev_b64 v[22:23], 3, v[22:23]
	v_mul_lo_u32 v34, v27, s42
	v_mul_lo_u32 v35, v26, s43
	v_mad_u64_u32 v[26:27], s[0:1], v26, s42, 0
	v_mov_b32_e32 v3, s41
	v_add_co_u32_e32 v22, vcc, s40, v22
	v_add3_u32 v27, v27, v35, v34
	v_addc_co_u32_e32 v23, vcc, v3, v23, vcc
	v_lshlrev_b64 v[26:27], 3, v[26:27]
	v_mul_lo_u32 v34, v33, s42
	v_mul_lo_u32 v35, v32, s43
	v_mad_u64_u32 v[32:33], s[0:1], v32, s42, 0
	v_add_co_u32_e32 v26, vcc, s40, v26
	v_add3_u32 v33, v33, v35, v34
	v_addc_co_u32_e32 v27, vcc, v3, v27, vcc
	v_lshlrev_b64 v[32:33], 3, v[32:33]
	v_add_co_u32_e32 v38, vcc, s40, v32
	v_addc_co_u32_e32 v39, vcc, v3, v33, vcc
	global_load_dwordx2 v[34:35], v[22:23], off
	global_load_dwordx2 v[32:33], v[26:27], off
	s_nop 0
	global_load_dwordx2 v[26:27], v[38:39], off
.LBB35_41:                              ;   in Loop: Header=BB35_3 Depth=1
	v_mad_u64_u32 v[22:23], s[0:1], s90, v20, v[0:1]
	v_mul_lo_u32 v3, s90, v21
	v_mul_lo_u32 v38, s91, v20
	v_add3_u32 v3, v38, v23, v3
	v_mul_lo_u32 v38, v22, s27
	v_mul_lo_u32 v3, v3, s26
	v_mad_u64_u32 v[22:23], s[0:1], v22, s26, 0
	v_add3_u32 v23, v23, v38, v3
	v_mul_lo_u32 v3, v21, s24
	v_mul_lo_u32 v38, v20, s25
	v_mad_u64_u32 v[20:21], s[0:1], v20, s24, 0
	v_add3_u32 v21, v21, v38, v3
	v_readlane_b32 s0, v46, 2
	s_waitcnt vmcnt(3)
	v_add_f64 v[6:7], v[6:7], v[14:15]
	v_lshlrev_b64 v[20:21], 3, v[20:21]
	v_readlane_b32 s1, v46, 3
	v_add_f64 v[6:7], v[6:7], v[30:31]
	v_mov_b32_e32 v3, s1
	v_add_co_u32_e32 v38, vcc, s0, v20
	s_waitcnt vmcnt(2)
	v_add_f64 v[6:7], v[34:35], v[6:7]
	v_addc_co_u32_e32 v3, vcc, v3, v21, vcc
	v_lshlrev_b64 v[20:21], 3, v[22:23]
	v_mul_f64 v[14:15], v[6:7], s[64:65]
	v_add_co_u32_e32 v22, vcc, v38, v20
	v_rndne_f64_e32 v[14:15], v[14:15]
	s_mov_b32 s44, 0x3b39803f
	s_mov_b32 s0, 0xfca7ab0c
	v_addc_co_u32_e32 v23, vcc, v3, v21, vcc
	v_fma_f64 v[20:21], v[14:15], s[70:71], -v[6:7]
	s_mov_b32 s45, 0xbc7abc9e
	s_mov_b32 s1, 0x3e928af3
	v_fmac_f64_e32 v[20:21], s[44:45], v[14:15]
	v_pk_mov_b32 v[30:31], s[0:1], s[0:1] op_sel:[0,1]
	v_fma_f64 v[34:35], s[72:73], v[20:21], v[30:31]
	v_fma_f64 v[34:35], v[20:21], v[34:35], s[74:75]
	v_fma_f64 v[34:35], v[20:21], v[34:35], s[76:77]
	v_fma_f64 v[34:35], v[20:21], v[34:35], s[78:79]
	v_fma_f64 v[34:35], v[20:21], v[34:35], s[80:81]
	v_fma_f64 v[34:35], v[20:21], v[34:35], s[82:83]
	v_fma_f64 v[34:35], v[20:21], v[34:35], s[84:85]
	v_fma_f64 v[34:35], v[20:21], v[34:35], s[86:87]
	v_fma_f64 v[34:35], v[20:21], v[34:35], s[88:89]
	v_fma_f64 v[34:35], v[20:21], v[34:35], 1.0
	v_add_f64 v[10:11], v[10:11], v[16:17]
	v_fma_f64 v[20:21], v[20:21], v[34:35], 1.0
	v_cvt_i32_f64_e32 v3, v[14:15]
	v_add_f64 v[10:11], v[10:11], v[28:29]
	v_ldexp_f64 v[14:15], v[20:21], v3
	s_waitcnt vmcnt(1)
	v_add_f64 v[10:11], v[10:11], v[32:33]
	v_add_f64 v[14:15], v[14:15], 1.0
	v_mul_f64 v[16:17], v[10:11], s[64:65]
	v_div_scale_f64 v[34:35], s[0:1], v[14:15], v[14:15], 1.0
	v_rndne_f64_e32 v[16:17], v[16:17]
	v_rcp_f64_e32 v[40:41], v[34:35]
	v_fma_f64 v[28:29], v[16:17], s[70:71], -v[10:11]
	v_fmac_f64_e32 v[28:29], s[44:45], v[16:17]
	v_fma_f64 v[32:33], s[72:73], v[28:29], v[30:31]
	v_fma_f64 v[32:33], v[28:29], v[32:33], s[74:75]
	v_fma_f64 v[42:43], -v[34:35], v[40:41], 1.0
	v_fma_f64 v[32:33], v[28:29], v[32:33], s[76:77]
	v_fmac_f64_e32 v[40:41], v[40:41], v[42:43]
	v_fma_f64 v[32:33], v[28:29], v[32:33], s[78:79]
	v_fma_f64 v[42:43], -v[34:35], v[40:41], 1.0
	v_fma_f64 v[32:33], v[28:29], v[32:33], s[80:81]
	v_fmac_f64_e32 v[40:41], v[40:41], v[42:43]
	v_div_scale_f64 v[42:43], vcc, 1.0, v[14:15], 1.0
	v_fma_f64 v[32:33], v[28:29], v[32:33], s[82:83]
	v_mul_f64 v[44:45], v[42:43], v[40:41]
	v_fma_f64 v[32:33], v[28:29], v[32:33], s[84:85]
	v_fma_f64 v[34:35], -v[34:35], v[44:45], v[42:43]
	s_mov_b32 s48, 0
	v_fma_f64 v[32:33], v[28:29], v[32:33], s[86:87]
	v_div_fmas_f64 v[34:35], v[34:35], v[40:41], v[44:45]
	s_mov_b32 s49, 0xc0900000
	v_fma_f64 v[32:33], v[28:29], v[32:33], s[88:89]
	v_div_fixup_f64 v[14:15], v[34:35], v[14:15], 1.0
	v_cmp_ngt_f64_e32 vcc, s[48:49], v[6:7]
	v_fma_f64 v[32:33], v[28:29], v[32:33], 1.0
	v_cndmask_b32_e32 v3, 0, v15, vcc
	v_fma_f64 v[28:29], v[28:29], v[32:33], 1.0
	v_cvt_i32_f64_e32 v15, v[16:17]
	v_ldexp_f64 v[16:17], v[28:29], v15
	v_add_f64 v[28:29], v[16:17], 1.0
	v_div_scale_f64 v[32:33], s[0:1], v[28:29], v[28:29], 1.0
	v_rcp_f64_e32 v[34:35], v[32:33]
	v_mad_u64_u32 v[20:21], s[0:1], s62, v4, v[0:1]
	v_cmp_nlt_f64_e64 s[0:1], s[92:93], v[6:7]
	v_fma_f64 v[6:7], -v[32:33], v[34:35], 1.0
	v_fmac_f64_e32 v[34:35], v[34:35], v[6:7]
	s_and_b64 vcc, s[0:1], vcc
	v_fma_f64 v[6:7], -v[32:33], v[34:35], 1.0
	v_cndmask_b32_e32 v16, 0, v14, vcc
	v_fmac_f64_e32 v[34:35], v[34:35], v[6:7]
	v_div_scale_f64 v[6:7], vcc, 1.0, v[28:29], 1.0
	v_mul_f64 v[14:15], v[6:7], v[34:35]
	v_fma_f64 v[6:7], -v[32:33], v[14:15], v[6:7]
	v_cndmask_b32_e64 v17, v37, v3, s[0:1]
	s_nop 0
	v_div_fmas_f64 v[6:7], v[6:7], v[34:35], v[14:15]
	v_div_fixup_f64 v[6:7], v[6:7], v[28:29], 1.0
	v_cmp_ngt_f64_e32 vcc, s[48:49], v[10:11]
	v_cmp_nlt_f64_e64 s[0:1], s[92:93], v[10:11]
	v_cndmask_b32_e32 v3, 0, v7, vcc
	s_and_b64 vcc, s[0:1], vcc
	v_cndmask_b32_e32 v14, 0, v6, vcc
	v_add_f64 v[10:11], v[12:13], v[24:25]
	s_waitcnt vmcnt(0)
	v_add_f64 v[6:7], v[18:19], v[26:27]
	v_fmac_f64_e32 v[10:11], v[6:7], v[16:17]
	s_mov_b32 s94, s64
	v_mul_f64 v[12:13], |v[10:11]|, s[94:95]
	v_cndmask_b32_e64 v15, v37, v3, s[0:1]
	v_rndne_f64_e32 v[12:13], v[12:13]
	s_mov_b32 s67, s71
	s_mov_b32 s0, 0xf278e000
	v_fma_f64 v[18:19], v[12:13], s[66:67], |v[10:11]|
	s_mov_b32 s1, 0xbd53de6a
	v_add_f64 v[24:25], v[18:19], 0
	v_mul_f64 v[26:27], v[12:13], s[0:1]
	v_add_f64 v[28:29], v[24:25], v[26:27]
	v_add_f64 v[18:19], v[18:19], -v[24:25]
	v_add_f64 v[24:25], v[24:25], -v[28:29]
	v_add_f64 v[18:19], v[18:19], 0
	v_add_f64 v[24:25], v[24:25], v[26:27]
	;; [unrolled: 1-line block ×4, first 2 shown]
	s_mov_b32 s0, 0xf97b57a0
	v_add_f64 v[26:27], v[28:29], -v[24:25]
	s_mov_b32 s1, 0xbac9cc01
	v_add_f64 v[18:19], v[18:19], v[26:27]
	v_mul_f64 v[26:27], v[12:13], s[0:1]
	v_add_f64 v[28:29], v[24:25], v[26:27]
	v_add_f64 v[24:25], v[24:25], -v[28:29]
	v_add_f64 v[24:25], v[24:25], v[26:27]
	v_add_f64 v[18:19], v[18:19], v[24:25]
	;; [unrolled: 1-line block ×3, first 2 shown]
	v_add_f64 v[26:27], v[28:29], -v[24:25]
	v_add_f64 v[18:19], v[18:19], v[26:27]
	v_fma_f64 v[26:27], s[72:73], v[24:25], v[30:31]
	v_fma_f64 v[26:27], v[24:25], v[26:27], s[74:75]
	;; [unrolled: 1-line block ×5, first 2 shown]
	v_mul_f64 v[28:29], v[24:25], v[24:25]
	v_fma_f64 v[26:27], v[24:25], v[26:27], s[82:83]
	v_fma_f64 v[30:31], v[24:25], v[24:25], -v[28:29]
	v_add_f64 v[32:33], v[18:19], v[18:19]
	v_fma_f64 v[26:27], v[24:25], v[26:27], s[84:85]
	v_fmac_f64_e32 v[30:31], v[24:25], v[32:33]
	v_fma_f64 v[26:27], v[24:25], v[26:27], s[86:87]
	v_add_f64 v[32:33], v[28:29], v[30:31]
	v_fma_f64 v[26:27], v[24:25], v[26:27], s[88:89]
	v_add_f64 v[28:29], v[32:33], -v[28:29]
	v_add_f64 v[28:29], v[30:31], -v[28:29]
	v_mul_f64 v[30:31], v[32:33], v[26:27]
	v_fma_f64 v[32:33], v[32:33], v[26:27], -v[30:31]
	v_fmac_f64_e32 v[32:33], v[28:29], v[26:27]
	v_add_f64 v[26:27], v[30:31], v[32:33]
	v_add_f64 v[28:29], v[26:27], -v[30:31]
	v_add_f64 v[30:31], v[24:25], v[26:27]
	v_add_f64 v[28:29], v[32:33], -v[28:29]
	v_add_f64 v[24:25], v[30:31], -v[24:25]
	;; [unrolled: 1-line block ×3, first 2 shown]
	v_add_f64 v[18:19], v[18:19], v[28:29]
	v_add_f64 v[18:19], v[18:19], v[24:25]
	;; [unrolled: 1-line block ×3, first 2 shown]
	v_add_f64 v[26:27], v[24:25], -v[30:31]
	v_add_f64 v[18:19], v[18:19], -v[26:27]
	v_add_f64 v[26:27], v[24:25], 1.0
	v_add_f64 v[28:29], v[26:27], -1.0
	v_add_f64 v[24:25], v[24:25], -v[28:29]
	v_add_f64 v[18:19], v[18:19], v[24:25]
	v_add_f64 v[24:25], v[26:27], v[18:19]
	v_cvt_i32_f64_e32 v30, v[12:13]
	v_ldexp_f64 v[12:13], v[24:25], v30
	v_rcp_f64_e32 v[28:29], v[12:13]
	v_add_f64 v[24:25], v[24:25], -v[26:27]
	v_add_f64 v[18:19], v[18:19], -v[24:25]
	v_ldexp_f64 v[18:19], v[18:19], v30
	v_fma_f64 v[24:25], -v[12:13], v[28:29], 1.0
	v_fmac_f64_e32 v[28:29], v[24:25], v[28:29]
	v_fma_f64 v[24:25], -v[12:13], v[28:29], 1.0
	v_fmac_f64_e32 v[28:29], v[24:25], v[28:29]
	v_mul_f64 v[24:25], v[12:13], v[28:29]
	v_fma_f64 v[26:27], v[28:29], v[12:13], -v[24:25]
	v_fmac_f64_e32 v[26:27], v[28:29], v[18:19]
	v_add_f64 v[30:31], v[24:25], v[26:27]
	v_add_f64 v[32:33], -v[30:31], 1.0
	v_add_f64 v[24:25], v[30:31], -v[24:25]
	v_add_f64 v[34:35], -v[32:33], 1.0
	v_add_f64 v[30:31], v[34:35], -v[30:31]
	v_add_f64 v[24:25], v[24:25], -v[26:27]
	v_add_f64 v[24:25], v[24:25], v[30:31]
	v_add_f64 v[26:27], v[32:33], v[24:25]
	v_add_f64 v[30:31], v[32:33], -v[26:27]
	v_add_f64 v[24:25], v[24:25], v[30:31]
	v_mul_f64 v[30:31], v[28:29], v[26:27]
	v_mul_f64 v[32:33], v[12:13], v[30:31]
	v_fma_f64 v[34:35], v[30:31], v[12:13], -v[32:33]
	v_fmac_f64_e32 v[34:35], v[30:31], v[18:19]
	v_add_f64 v[40:41], v[32:33], v[34:35]
	v_add_f64 v[42:43], v[26:27], -v[40:41]
	v_add_f64 v[26:27], v[26:27], -v[42:43]
	;; [unrolled: 1-line block ×4, first 2 shown]
	v_add_f64 v[24:25], v[24:25], v[26:27]
	v_add_f64 v[26:27], v[32:33], -v[34:35]
	v_add_f64 v[24:25], v[26:27], v[24:25]
	v_add_f64 v[24:25], v[42:43], v[24:25]
	;; [unrolled: 1-line block ×3, first 2 shown]
	v_mul_f64 v[24:25], v[28:29], v[24:25]
	v_add_f64 v[28:29], v[26:27], -v[28:29]
	v_add_f64 v[28:29], v[30:31], -v[28:29]
	v_add_f64 v[24:25], v[28:29], v[24:25]
	v_add_f64 v[28:29], v[26:27], v[24:25]
	v_add_f64 v[26:27], v[28:29], -v[26:27]
	v_add_f64 v[24:25], v[24:25], -v[26:27]
	;; [unrolled: 1-line block ×4, first 2 shown]
	v_add_f64 v[34:35], v[12:13], v[28:29]
	v_add_f64 v[30:31], v[30:31], -v[28:29]
	v_add_f64 v[12:13], v[34:35], -v[12:13]
	v_add_f64 v[30:31], v[18:19], v[30:31]
	v_add_f64 v[12:13], v[28:29], -v[12:13]
	v_add_f64 v[18:19], v[18:19], v[24:25]
	v_add_f64 v[12:13], v[18:19], v[12:13]
	;; [unrolled: 1-line block ×3, first 2 shown]
	v_add_f64 v[30:31], v[30:31], -v[24:25]
	v_rcp_f64_e32 v[24:25], v[18:19]
	v_add_f64 v[28:29], v[18:19], -v[34:35]
	v_add_f64 v[12:13], v[12:13], -v[28:29]
	v_add_f64 v[32:33], v[26:27], v[30:31]
	v_fma_f64 v[28:29], -v[18:19], v[24:25], 1.0
	v_fmac_f64_e32 v[24:25], v[28:29], v[24:25]
	v_fma_f64 v[28:29], -v[18:19], v[24:25], 1.0
	v_fmac_f64_e32 v[24:25], v[28:29], v[24:25]
	v_add_f64 v[26:27], v[32:33], -v[26:27]
	v_mul_f64 v[28:29], v[32:33], v[24:25]
	v_add_f64 v[26:27], v[30:31], -v[26:27]
	v_mul_f64 v[30:31], v[18:19], v[28:29]
	v_fma_f64 v[18:19], v[28:29], v[18:19], -v[30:31]
	v_fmac_f64_e32 v[18:19], v[28:29], v[12:13]
	v_add_f64 v[12:13], v[30:31], v[18:19]
	v_add_f64 v[30:31], v[12:13], -v[30:31]
	v_add_f64 v[18:19], v[18:19], -v[30:31]
	;; [unrolled: 1-line block ×6, first 2 shown]
	v_add_f64 v[12:13], v[26:27], v[12:13]
	s_mov_b32 s0, 0
	v_add_f64 v[12:13], v[30:31], v[12:13]
	s_mov_b32 s1, 0x40331000
	v_mul_f64 v[12:13], v[24:25], v[12:13]
	v_cmp_ngt_f64_e64 vcc, |v[10:11]|, s[0:1]
	s_mov_b32 s0, 0
	v_add_f64 v[12:13], v[28:29], v[12:13]
	s_mov_b32 s1, 0x3e400000
	v_and_b32_e32 v3, 0x7fffffff, v11
	v_cndmask_b32_e32 v13, v37, v13, vcc
	v_cndmask_b32_e32 v12, 0, v12, vcc
	v_cmp_lt_f64_e64 vcc, |v[10:11]|, s[0:1]
	v_mul_lo_u32 v38, s63, v4
	v_mul_lo_u32 v39, s62, v5
	v_cndmask_b32_e32 v3, v13, v3, vcc
	s_brev_b32 s0, -2
	v_add3_u32 v21, v38, v21, v39
	v_cndmask_b32_e32 v10, v12, v10, vcc
	v_bfi_b32 v11, s0, v3, v11
	v_add_f64 v[12:13], v[8:9], -v[10:11]
	v_or_b32_e32 v3, s55, v21
	v_fma_f64 v[12:13], v[14:15], v[12:13], v[10:11]
	v_cmp_ne_u64_e32 vcc, 0, v[2:3]
	global_store_dwordx2 v[22:23], v[12:13], off
                                        ; implicit-def: $vgpr12_vgpr13
	s_and_saveexec_b64 s[0:1], vcc
	s_xor_b64 s[44:45], exec, s[0:1]
	s_cbranch_execz .LBB35_43
; %bb.42:                               ;   in Loop: Header=BB35_3 Depth=1
	s_ashr_i32 s48, s55, 31
	s_add_u32 s0, s54, s48
	s_mov_b32 s49, s48
	s_addc_u32 s1, s55, s48
	s_xor_b64 s[58:59], s[0:1], s[48:49]
	v_cvt_f32_u32_e32 v3, s58
	v_cvt_f32_u32_e32 v12, s59
	s_sub_u32 s0, 0, s58
	s_subb_u32 s1, 0, s59
	v_mac_f32_e32 v3, 0x4f800000, v12
	v_rcp_f32_e32 v3, v3
	v_mul_f32_e32 v3, 0x5f7ffffc, v3
	v_mul_f32_e32 v12, 0x2f800000, v3
	v_trunc_f32_e32 v12, v12
	v_mac_f32_e32 v3, 0xcf800000, v12
	v_cvt_u32_f32_e32 v12, v12
	v_cvt_u32_f32_e32 v3, v3
	v_mul_lo_u32 v13, s0, v12
	v_mul_hi_u32 v19, s0, v3
	v_mul_lo_u32 v18, s1, v3
	v_add_u32_e32 v13, v19, v13
	v_mul_lo_u32 v22, s0, v3
	v_add_u32_e32 v13, v13, v18
	v_mul_lo_u32 v19, v3, v13
	v_mul_hi_u32 v23, v3, v22
	v_mul_hi_u32 v18, v3, v13
	v_add_co_u32_e32 v19, vcc, v23, v19
	v_addc_co_u32_e32 v18, vcc, 0, v18, vcc
	v_mul_hi_u32 v24, v12, v22
	v_mul_lo_u32 v22, v12, v22
	v_add_co_u32_e32 v19, vcc, v19, v22
	v_mul_hi_u32 v23, v12, v13
	v_addc_co_u32_e32 v18, vcc, v18, v24, vcc
	v_addc_co_u32_e32 v19, vcc, 0, v23, vcc
	v_mul_lo_u32 v13, v12, v13
	v_add_co_u32_e32 v13, vcc, v18, v13
	v_addc_co_u32_e32 v18, vcc, 0, v19, vcc
	v_add_co_u32_e32 v3, vcc, v3, v13
	v_addc_co_u32_e32 v12, vcc, v12, v18, vcc
	v_mul_lo_u32 v13, s0, v12
	v_mul_hi_u32 v18, s0, v3
	v_add_u32_e32 v13, v18, v13
	v_mul_lo_u32 v18, s1, v3
	v_add_u32_e32 v13, v13, v18
	v_mul_lo_u32 v19, s0, v3
	v_mul_hi_u32 v22, v12, v19
	v_mul_lo_u32 v23, v12, v19
	v_mul_lo_u32 v25, v3, v13
	v_mul_hi_u32 v19, v3, v19
	v_mul_hi_u32 v24, v3, v13
	v_add_co_u32_e32 v19, vcc, v19, v25
	v_addc_co_u32_e32 v24, vcc, 0, v24, vcc
	v_add_co_u32_e32 v19, vcc, v19, v23
	v_mul_hi_u32 v18, v12, v13
	v_addc_co_u32_e32 v19, vcc, v24, v22, vcc
	v_addc_co_u32_e32 v18, vcc, 0, v18, vcc
	v_mul_lo_u32 v13, v12, v13
	v_add_co_u32_e32 v13, vcc, v19, v13
	v_addc_co_u32_e32 v18, vcc, 0, v18, vcc
	v_add_co_u32_e32 v3, vcc, v3, v13
	v_addc_co_u32_e32 v18, vcc, v12, v18, vcc
	v_ashrrev_i32_e32 v22, 31, v21
	v_add_co_u32_e32 v12, vcc, v20, v22
	v_addc_co_u32_e32 v13, vcc, v21, v22, vcc
	v_xor_b32_e32 v21, v12, v22
	v_xor_b32_e32 v20, v13, v22
	v_mad_u64_u32 v[12:13], s[0:1], v21, v18, 0
	v_mul_hi_u32 v19, v21, v3
	v_add_co_u32_e32 v23, vcc, v19, v12
	v_addc_co_u32_e32 v24, vcc, 0, v13, vcc
	v_mad_u64_u32 v[12:13], s[0:1], v20, v18, 0
	v_mad_u64_u32 v[18:19], s[0:1], v20, v3, 0
	v_add_co_u32_e32 v3, vcc, v23, v18
	v_addc_co_u32_e32 v3, vcc, v24, v19, vcc
	v_addc_co_u32_e32 v13, vcc, 0, v13, vcc
	v_add_co_u32_e32 v3, vcc, v3, v12
	v_addc_co_u32_e32 v18, vcc, 0, v13, vcc
	v_mul_lo_u32 v19, s59, v3
	v_mul_lo_u32 v23, s58, v18
	v_mad_u64_u32 v[12:13], s[0:1], s58, v3, 0
	v_add3_u32 v13, v13, v23, v19
	v_sub_u32_e32 v19, v20, v13
	v_mov_b32_e32 v23, s59
	v_sub_co_u32_e32 v12, vcc, v21, v12
	v_subb_co_u32_e64 v19, s[0:1], v19, v23, vcc
	v_subrev_co_u32_e64 v21, s[0:1], s58, v12
	v_subbrev_co_u32_e64 v19, s[0:1], 0, v19, s[0:1]
	v_cmp_le_u32_e64 s[0:1], s59, v19
	v_cndmask_b32_e64 v23, 0, -1, s[0:1]
	v_cmp_le_u32_e64 s[0:1], s58, v21
	v_cndmask_b32_e64 v21, 0, -1, s[0:1]
	v_cmp_eq_u32_e64 s[0:1], s59, v19
	v_cndmask_b32_e64 v19, v23, v21, s[0:1]
	v_add_co_u32_e64 v21, s[0:1], 2, v3
	v_subb_co_u32_e32 v13, vcc, v20, v13, vcc
	v_addc_co_u32_e64 v23, s[0:1], 0, v18, s[0:1]
	v_cmp_le_u32_e32 vcc, s59, v13
	v_add_co_u32_e64 v24, s[0:1], 1, v3
	v_cndmask_b32_e64 v20, 0, -1, vcc
	v_cmp_le_u32_e32 vcc, s58, v12
	v_addc_co_u32_e64 v25, s[0:1], 0, v18, s[0:1]
	v_cndmask_b32_e64 v12, 0, -1, vcc
	v_cmp_eq_u32_e32 vcc, s59, v13
	v_cmp_ne_u32_e64 s[0:1], 0, v19
	v_cndmask_b32_e32 v12, v20, v12, vcc
	v_cmp_ne_u32_e32 vcc, 0, v12
	v_cndmask_b32_e64 v13, v24, v21, s[0:1]
	v_cndmask_b32_e64 v19, v25, v23, s[0:1]
	v_cndmask_b32_e32 v3, v3, v13, vcc
	v_xor_b32_e32 v13, s48, v22
	v_cndmask_b32_e32 v12, v18, v19, vcc
	v_xor_b32_e32 v3, v3, v13
	v_xor_b32_e32 v18, v12, v13
	v_sub_co_u32_e32 v12, vcc, v3, v13
	v_subb_co_u32_e32 v13, vcc, v18, v13, vcc
                                        ; implicit-def: $vgpr20_vgpr21
.LBB35_43:                              ;   in Loop: Header=BB35_3 Depth=1
	s_or_saveexec_b64 s[0:1], s[44:45]
	v_cvt_f32_u32_e32 v18, s54
	s_xor_b64 exec, exec, s[0:1]
	s_cbranch_execz .LBB35_45
; %bb.44:                               ;   in Loop: Header=BB35_3 Depth=1
	v_rcp_iflag_f32_e32 v3, v18
	s_sub_i32 s44, 0, s54
	v_mul_f32_e32 v3, 0x4f7ffffe, v3
	v_cvt_u32_f32_e32 v3, v3
	v_mul_lo_u32 v12, s44, v3
	v_mul_hi_u32 v12, v3, v12
	v_add_u32_e32 v3, v3, v12
	v_mul_hi_u32 v3, v20, v3
	v_mul_lo_u32 v12, v3, s54
	v_sub_u32_e32 v12, v20, v12
	v_add_u32_e32 v13, 1, v3
	v_subrev_u32_e32 v19, s54, v12
	v_cmp_le_u32_e32 vcc, s54, v12
	v_cndmask_b32_e32 v12, v12, v19, vcc
	v_cndmask_b32_e32 v3, v3, v13, vcc
	v_add_u32_e32 v13, 1, v3
	v_cmp_le_u32_e32 vcc, s54, v12
	v_cndmask_b32_e32 v12, v3, v13, vcc
	v_mov_b32_e32 v13, v2
.LBB35_45:                              ;   in Loop: Header=BB35_3 Depth=1
	s_or_b64 exec, exec, s[0:1]
	v_mad_u64_u32 v[20:21], s[0:1], s62, v4, 0
	v_add3_u32 v3, v21, v39, v38
	v_mul_lo_u32 v19, v13, s54
	v_mul_lo_u32 v21, v12, s55
	v_mad_u64_u32 v[22:23], s[0:1], v12, s54, 0
	v_add3_u32 v19, v23, v21, v19
	v_sub_co_u32_e32 v20, vcc, v20, v22
	v_subb_co_u32_e32 v3, vcc, v3, v19, vcc
	v_add_co_u32_e32 v19, vcc, v0, v20
	v_addc_co_u32_e32 v3, vcc, v1, v3, vcc
	v_mul_lo_u32 v3, v3, s6
	v_mul_lo_u32 v22, v19, s7
	v_mad_u64_u32 v[20:21], s[0:1], v19, s6, 0
	v_add3_u32 v21, v21, v22, v3
	v_mul_lo_u32 v3, v13, s4
	v_mul_lo_u32 v19, v12, s5
	v_mad_u64_u32 v[12:13], s[0:1], v12, s4, 0
	v_add3_u32 v13, v13, v19, v3
	v_lshlrev_b64 v[12:13], 3, v[12:13]
	v_mov_b32_e32 v3, s53
	v_add_co_u32_e32 v19, vcc, s52, v12
	v_addc_co_u32_e32 v3, vcc, v3, v13, vcc
	v_lshlrev_b64 v[12:13], 3, v[20:21]
	v_add_co_u32_e32 v12, vcc, v19, v12
	v_lshlrev_b64 v[4:5], 2, v[4:5]
	v_addc_co_u32_e32 v13, vcc, v3, v13, vcc
	v_or_b32_e32 v19, 1, v4
	global_store_dwordx2 v[12:13], v[16:17], off
	v_mul_lo_u32 v20, s9, v19
	v_mul_lo_u32 v21, s8, v5
	v_mad_u64_u32 v[12:13], s[0:1], s8, v19, v[0:1]
	v_add3_u32 v13, v20, v13, v21
	v_or_b32_e32 v3, s55, v13
	v_cmp_ne_u64_e32 vcc, 0, v[2:3]
                                        ; implicit-def: $vgpr16_vgpr17
	s_and_saveexec_b64 s[0:1], vcc
	s_xor_b64 s[44:45], exec, s[0:1]
	s_cbranch_execz .LBB35_47
; %bb.46:                               ;   in Loop: Header=BB35_3 Depth=1
	s_ashr_i32 s48, s55, 31
	s_add_u32 s0, s54, s48
	s_mov_b32 s49, s48
	s_addc_u32 s1, s55, s48
	s_xor_b64 s[58:59], s[0:1], s[48:49]
	v_cvt_f32_u32_e32 v3, s58
	v_cvt_f32_u32_e32 v16, s59
	s_sub_u32 s0, 0, s58
	s_subb_u32 s1, 0, s59
	v_mac_f32_e32 v3, 0x4f800000, v16
	v_rcp_f32_e32 v3, v3
	v_mul_f32_e32 v3, 0x5f7ffffc, v3
	v_mul_f32_e32 v16, 0x2f800000, v3
	v_trunc_f32_e32 v16, v16
	v_mac_f32_e32 v3, 0xcf800000, v16
	v_cvt_u32_f32_e32 v16, v16
	v_cvt_u32_f32_e32 v3, v3
	v_mul_lo_u32 v17, s0, v16
	v_mul_hi_u32 v23, s0, v3
	v_mul_lo_u32 v22, s1, v3
	v_add_u32_e32 v17, v23, v17
	v_mul_lo_u32 v24, s0, v3
	v_add_u32_e32 v17, v17, v22
	v_mul_lo_u32 v23, v3, v17
	v_mul_hi_u32 v25, v3, v24
	v_mul_hi_u32 v22, v3, v17
	v_add_co_u32_e32 v23, vcc, v25, v23
	v_addc_co_u32_e32 v22, vcc, 0, v22, vcc
	v_mul_hi_u32 v26, v16, v24
	v_mul_lo_u32 v24, v16, v24
	v_add_co_u32_e32 v23, vcc, v23, v24
	v_mul_hi_u32 v25, v16, v17
	v_addc_co_u32_e32 v22, vcc, v22, v26, vcc
	v_addc_co_u32_e32 v23, vcc, 0, v25, vcc
	v_mul_lo_u32 v17, v16, v17
	v_add_co_u32_e32 v17, vcc, v22, v17
	v_addc_co_u32_e32 v22, vcc, 0, v23, vcc
	v_add_co_u32_e32 v3, vcc, v3, v17
	v_addc_co_u32_e32 v16, vcc, v16, v22, vcc
	v_mul_lo_u32 v17, s0, v16
	v_mul_hi_u32 v22, s0, v3
	v_add_u32_e32 v17, v22, v17
	v_mul_lo_u32 v22, s1, v3
	v_add_u32_e32 v17, v17, v22
	v_mul_lo_u32 v23, s0, v3
	v_mul_hi_u32 v24, v16, v23
	v_mul_lo_u32 v25, v16, v23
	v_mul_lo_u32 v27, v3, v17
	v_mul_hi_u32 v23, v3, v23
	v_mul_hi_u32 v26, v3, v17
	v_add_co_u32_e32 v23, vcc, v23, v27
	v_addc_co_u32_e32 v26, vcc, 0, v26, vcc
	v_add_co_u32_e32 v23, vcc, v23, v25
	v_mul_hi_u32 v22, v16, v17
	v_addc_co_u32_e32 v23, vcc, v26, v24, vcc
	v_addc_co_u32_e32 v22, vcc, 0, v22, vcc
	v_mul_lo_u32 v17, v16, v17
	v_add_co_u32_e32 v17, vcc, v23, v17
	v_addc_co_u32_e32 v22, vcc, 0, v22, vcc
	v_add_co_u32_e32 v3, vcc, v3, v17
	v_addc_co_u32_e32 v16, vcc, v16, v22, vcc
	v_ashrrev_i32_e32 v22, 31, v13
	v_add_co_u32_e32 v12, vcc, v12, v22
	v_addc_co_u32_e32 v13, vcc, v13, v22, vcc
	v_xor_b32_e32 v24, v12, v22
	v_xor_b32_e32 v23, v13, v22
	v_mad_u64_u32 v[12:13], s[0:1], v24, v16, 0
	v_mul_hi_u32 v17, v24, v3
	v_add_co_u32_e32 v25, vcc, v17, v12
	v_addc_co_u32_e32 v26, vcc, 0, v13, vcc
	v_mad_u64_u32 v[12:13], s[0:1], v23, v16, 0
	v_mad_u64_u32 v[16:17], s[0:1], v23, v3, 0
	v_add_co_u32_e32 v3, vcc, v25, v16
	v_addc_co_u32_e32 v3, vcc, v26, v17, vcc
	v_addc_co_u32_e32 v13, vcc, 0, v13, vcc
	v_add_co_u32_e32 v3, vcc, v3, v12
	v_addc_co_u32_e32 v16, vcc, 0, v13, vcc
	v_mul_lo_u32 v17, s59, v3
	v_mul_lo_u32 v25, s58, v16
	v_mad_u64_u32 v[12:13], s[0:1], s58, v3, 0
	v_add3_u32 v13, v13, v25, v17
	v_sub_u32_e32 v17, v23, v13
	v_mov_b32_e32 v25, s59
	v_sub_co_u32_e32 v12, vcc, v24, v12
	v_subb_co_u32_e64 v17, s[0:1], v17, v25, vcc
	v_subrev_co_u32_e64 v24, s[0:1], s58, v12
	v_subbrev_co_u32_e64 v17, s[0:1], 0, v17, s[0:1]
	v_cmp_le_u32_e64 s[0:1], s59, v17
	v_cndmask_b32_e64 v25, 0, -1, s[0:1]
	v_cmp_le_u32_e64 s[0:1], s58, v24
	v_cndmask_b32_e64 v24, 0, -1, s[0:1]
	v_cmp_eq_u32_e64 s[0:1], s59, v17
	v_cndmask_b32_e64 v17, v25, v24, s[0:1]
	v_add_co_u32_e64 v24, s[0:1], 2, v3
	v_subb_co_u32_e32 v13, vcc, v23, v13, vcc
	v_addc_co_u32_e64 v25, s[0:1], 0, v16, s[0:1]
	v_cmp_le_u32_e32 vcc, s59, v13
	v_add_co_u32_e64 v26, s[0:1], 1, v3
	v_cndmask_b32_e64 v23, 0, -1, vcc
	v_cmp_le_u32_e32 vcc, s58, v12
	v_addc_co_u32_e64 v27, s[0:1], 0, v16, s[0:1]
	v_cndmask_b32_e64 v12, 0, -1, vcc
	v_cmp_eq_u32_e32 vcc, s59, v13
	v_cmp_ne_u32_e64 s[0:1], 0, v17
	v_cndmask_b32_e32 v12, v23, v12, vcc
	v_cmp_ne_u32_e32 vcc, 0, v12
	v_cndmask_b32_e64 v13, v26, v24, s[0:1]
	v_cndmask_b32_e64 v17, v27, v25, s[0:1]
	v_cndmask_b32_e32 v3, v3, v13, vcc
	v_xor_b32_e32 v13, s48, v22
	v_cndmask_b32_e32 v12, v16, v17, vcc
	v_xor_b32_e32 v3, v3, v13
	v_xor_b32_e32 v12, v12, v13
	v_sub_co_u32_e32 v16, vcc, v3, v13
	v_subb_co_u32_e32 v17, vcc, v12, v13, vcc
                                        ; implicit-def: $vgpr12_vgpr13
.LBB35_47:                              ;   in Loop: Header=BB35_3 Depth=1
	s_andn2_saveexec_b64 s[0:1], s[44:45]
	s_cbranch_execz .LBB35_49
; %bb.48:                               ;   in Loop: Header=BB35_3 Depth=1
	v_rcp_iflag_f32_e32 v3, v18
	s_sub_i32 s44, 0, s54
	v_mov_b32_e32 v17, v2
	v_mul_f32_e32 v3, 0x4f7ffffe, v3
	v_cvt_u32_f32_e32 v3, v3
	v_mul_lo_u32 v13, s44, v3
	v_mul_hi_u32 v13, v3, v13
	v_add_u32_e32 v3, v3, v13
	v_mul_hi_u32 v3, v12, v3
	v_mul_lo_u32 v13, v3, s54
	v_sub_u32_e32 v12, v12, v13
	v_add_u32_e32 v16, 1, v3
	v_subrev_u32_e32 v13, s54, v12
	v_cmp_le_u32_e32 vcc, s54, v12
	v_cndmask_b32_e32 v12, v12, v13, vcc
	v_cndmask_b32_e32 v3, v3, v16, vcc
	v_add_u32_e32 v13, 1, v3
	v_cmp_le_u32_e32 vcc, s54, v12
	v_cndmask_b32_e32 v16, v3, v13, vcc
.LBB35_49:                              ;   in Loop: Header=BB35_3 Depth=1
	s_or_b64 exec, exec, s[0:1]
	v_mad_u64_u32 v[12:13], s[0:1], s8, v19, 0
	v_add3_u32 v3, v13, v21, v20
	v_mul_lo_u32 v13, v17, s54
	v_mul_lo_u32 v19, v16, s55
	v_mad_u64_u32 v[20:21], s[0:1], v16, s54, 0
	v_add3_u32 v13, v21, v19, v13
	v_sub_co_u32_e32 v12, vcc, v12, v20
	v_subb_co_u32_e32 v3, vcc, v3, v13, vcc
	v_add_co_u32_e32 v12, vcc, v0, v12
	v_addc_co_u32_e32 v3, vcc, v1, v3, vcc
	v_mul_lo_u32 v3, v3, s6
	v_mul_lo_u32 v19, v12, s7
	v_mad_u64_u32 v[12:13], s[0:1], v12, s6, 0
	v_add3_u32 v13, v13, v19, v3
	v_mul_lo_u32 v3, v17, s4
	v_mul_lo_u32 v19, v16, s5
	v_mad_u64_u32 v[16:17], s[0:1], v16, s4, 0
	v_add3_u32 v17, v17, v19, v3
	v_lshlrev_b64 v[16:17], 3, v[16:17]
	v_mov_b32_e32 v3, s53
	v_add_co_u32_e32 v16, vcc, s52, v16
	v_addc_co_u32_e32 v3, vcc, v3, v17, vcc
	v_lshlrev_b64 v[12:13], 3, v[12:13]
	v_add_co_u32_e32 v12, vcc, v16, v12
	v_addc_co_u32_e32 v13, vcc, v3, v13, vcc
	v_add_co_u32_e32 v16, vcc, 2, v4
	v_addc_co_u32_e32 v3, vcc, 0, v5, vcc
	global_store_dwordx2 v[12:13], v[14:15], off
	v_mul_lo_u32 v17, s9, v16
	v_mul_lo_u32 v19, s8, v3
	v_mad_u64_u32 v[12:13], s[0:1], s8, v16, v[0:1]
	v_add3_u32 v13, v17, v13, v19
	v_or_b32_e32 v3, s55, v13
	v_cmp_ne_u64_e32 vcc, 0, v[2:3]
                                        ; implicit-def: $vgpr14_vgpr15
	s_and_saveexec_b64 s[0:1], vcc
	s_xor_b64 s[44:45], exec, s[0:1]
	s_cbranch_execz .LBB35_51
; %bb.50:                               ;   in Loop: Header=BB35_3 Depth=1
	s_ashr_i32 s48, s55, 31
	s_add_u32 s0, s54, s48
	s_mov_b32 s49, s48
	s_addc_u32 s1, s55, s48
	s_xor_b64 s[58:59], s[0:1], s[48:49]
	v_cvt_f32_u32_e32 v3, s58
	v_cvt_f32_u32_e32 v14, s59
	s_sub_u32 s0, 0, s58
	s_subb_u32 s1, 0, s59
	v_mac_f32_e32 v3, 0x4f800000, v14
	v_rcp_f32_e32 v3, v3
	v_mul_f32_e32 v3, 0x5f7ffffc, v3
	v_mul_f32_e32 v14, 0x2f800000, v3
	v_trunc_f32_e32 v14, v14
	v_mac_f32_e32 v3, 0xcf800000, v14
	v_cvt_u32_f32_e32 v14, v14
	v_cvt_u32_f32_e32 v3, v3
	v_mul_lo_u32 v15, s0, v14
	v_mul_hi_u32 v21, s0, v3
	v_mul_lo_u32 v20, s1, v3
	v_add_u32_e32 v15, v21, v15
	v_mul_lo_u32 v22, s0, v3
	v_add_u32_e32 v15, v15, v20
	v_mul_lo_u32 v21, v3, v15
	v_mul_hi_u32 v23, v3, v22
	v_mul_hi_u32 v20, v3, v15
	v_add_co_u32_e32 v21, vcc, v23, v21
	v_addc_co_u32_e32 v20, vcc, 0, v20, vcc
	v_mul_hi_u32 v24, v14, v22
	v_mul_lo_u32 v22, v14, v22
	v_add_co_u32_e32 v21, vcc, v21, v22
	v_mul_hi_u32 v23, v14, v15
	v_addc_co_u32_e32 v20, vcc, v20, v24, vcc
	v_addc_co_u32_e32 v21, vcc, 0, v23, vcc
	v_mul_lo_u32 v15, v14, v15
	v_add_co_u32_e32 v15, vcc, v20, v15
	v_addc_co_u32_e32 v20, vcc, 0, v21, vcc
	v_add_co_u32_e32 v3, vcc, v3, v15
	v_addc_co_u32_e32 v14, vcc, v14, v20, vcc
	v_mul_lo_u32 v15, s0, v14
	v_mul_hi_u32 v20, s0, v3
	v_add_u32_e32 v15, v20, v15
	v_mul_lo_u32 v20, s1, v3
	v_add_u32_e32 v15, v15, v20
	v_mul_lo_u32 v21, s0, v3
	v_mul_hi_u32 v22, v14, v21
	v_mul_lo_u32 v23, v14, v21
	v_mul_lo_u32 v25, v3, v15
	v_mul_hi_u32 v21, v3, v21
	v_mul_hi_u32 v24, v3, v15
	v_add_co_u32_e32 v21, vcc, v21, v25
	v_addc_co_u32_e32 v24, vcc, 0, v24, vcc
	v_add_co_u32_e32 v21, vcc, v21, v23
	v_mul_hi_u32 v20, v14, v15
	v_addc_co_u32_e32 v21, vcc, v24, v22, vcc
	v_addc_co_u32_e32 v20, vcc, 0, v20, vcc
	v_mul_lo_u32 v15, v14, v15
	v_add_co_u32_e32 v15, vcc, v21, v15
	v_addc_co_u32_e32 v20, vcc, 0, v20, vcc
	v_add_co_u32_e32 v3, vcc, v3, v15
	v_addc_co_u32_e32 v14, vcc, v14, v20, vcc
	v_ashrrev_i32_e32 v20, 31, v13
	v_add_co_u32_e32 v12, vcc, v12, v20
	v_addc_co_u32_e32 v13, vcc, v13, v20, vcc
	v_xor_b32_e32 v22, v12, v20
	v_xor_b32_e32 v21, v13, v20
	v_mad_u64_u32 v[12:13], s[0:1], v22, v14, 0
	v_mul_hi_u32 v15, v22, v3
	v_add_co_u32_e32 v23, vcc, v15, v12
	v_addc_co_u32_e32 v24, vcc, 0, v13, vcc
	v_mad_u64_u32 v[12:13], s[0:1], v21, v14, 0
	v_mad_u64_u32 v[14:15], s[0:1], v21, v3, 0
	v_add_co_u32_e32 v3, vcc, v23, v14
	v_addc_co_u32_e32 v3, vcc, v24, v15, vcc
	v_addc_co_u32_e32 v13, vcc, 0, v13, vcc
	v_add_co_u32_e32 v3, vcc, v3, v12
	v_addc_co_u32_e32 v14, vcc, 0, v13, vcc
	v_mul_lo_u32 v15, s59, v3
	v_mul_lo_u32 v23, s58, v14
	v_mad_u64_u32 v[12:13], s[0:1], s58, v3, 0
	v_add3_u32 v13, v13, v23, v15
	v_sub_u32_e32 v15, v21, v13
	v_mov_b32_e32 v23, s59
	v_sub_co_u32_e32 v12, vcc, v22, v12
	v_subb_co_u32_e64 v15, s[0:1], v15, v23, vcc
	v_subrev_co_u32_e64 v22, s[0:1], s58, v12
	v_subbrev_co_u32_e64 v15, s[0:1], 0, v15, s[0:1]
	v_cmp_le_u32_e64 s[0:1], s59, v15
	v_cndmask_b32_e64 v23, 0, -1, s[0:1]
	v_cmp_le_u32_e64 s[0:1], s58, v22
	v_cndmask_b32_e64 v22, 0, -1, s[0:1]
	v_cmp_eq_u32_e64 s[0:1], s59, v15
	v_cndmask_b32_e64 v15, v23, v22, s[0:1]
	v_add_co_u32_e64 v22, s[0:1], 2, v3
	v_subb_co_u32_e32 v13, vcc, v21, v13, vcc
	v_addc_co_u32_e64 v23, s[0:1], 0, v14, s[0:1]
	v_cmp_le_u32_e32 vcc, s59, v13
	v_add_co_u32_e64 v24, s[0:1], 1, v3
	v_cndmask_b32_e64 v21, 0, -1, vcc
	v_cmp_le_u32_e32 vcc, s58, v12
	v_addc_co_u32_e64 v25, s[0:1], 0, v14, s[0:1]
	v_cndmask_b32_e64 v12, 0, -1, vcc
	v_cmp_eq_u32_e32 vcc, s59, v13
	v_cmp_ne_u32_e64 s[0:1], 0, v15
	v_cndmask_b32_e32 v12, v21, v12, vcc
	v_cmp_ne_u32_e32 vcc, 0, v12
	v_cndmask_b32_e64 v13, v24, v22, s[0:1]
	v_cndmask_b32_e64 v15, v25, v23, s[0:1]
	v_cndmask_b32_e32 v3, v3, v13, vcc
	v_xor_b32_e32 v13, s48, v20
	v_cndmask_b32_e32 v12, v14, v15, vcc
	v_xor_b32_e32 v3, v3, v13
	v_xor_b32_e32 v12, v12, v13
	v_sub_co_u32_e32 v14, vcc, v3, v13
	v_subb_co_u32_e32 v15, vcc, v12, v13, vcc
                                        ; implicit-def: $vgpr12_vgpr13
.LBB35_51:                              ;   in Loop: Header=BB35_3 Depth=1
	s_andn2_saveexec_b64 s[0:1], s[44:45]
	s_cbranch_execz .LBB35_53
; %bb.52:                               ;   in Loop: Header=BB35_3 Depth=1
	v_rcp_iflag_f32_e32 v3, v18
	s_sub_i32 s44, 0, s54
	v_mov_b32_e32 v15, v2
	v_mul_f32_e32 v3, 0x4f7ffffe, v3
	v_cvt_u32_f32_e32 v3, v3
	v_mul_lo_u32 v13, s44, v3
	v_mul_hi_u32 v13, v3, v13
	v_add_u32_e32 v3, v3, v13
	v_mul_hi_u32 v3, v12, v3
	v_mul_lo_u32 v13, v3, s54
	v_sub_u32_e32 v12, v12, v13
	v_add_u32_e32 v14, 1, v3
	v_subrev_u32_e32 v13, s54, v12
	v_cmp_le_u32_e32 vcc, s54, v12
	v_cndmask_b32_e32 v12, v12, v13, vcc
	v_cndmask_b32_e32 v3, v3, v14, vcc
	v_add_u32_e32 v13, 1, v3
	v_cmp_le_u32_e32 vcc, s54, v12
	v_cndmask_b32_e32 v14, v3, v13, vcc
.LBB35_53:                              ;   in Loop: Header=BB35_3 Depth=1
	s_or_b64 exec, exec, s[0:1]
	v_mad_u64_u32 v[12:13], s[0:1], s8, v16, 0
	v_add3_u32 v3, v13, v19, v17
	v_mul_lo_u32 v13, v15, s54
	v_mul_lo_u32 v19, v14, s55
	v_mad_u64_u32 v[16:17], s[0:1], v14, s54, 0
	v_add3_u32 v13, v17, v19, v13
	v_sub_co_u32_e32 v12, vcc, v12, v16
	v_subb_co_u32_e32 v3, vcc, v3, v13, vcc
	v_add_co_u32_e32 v12, vcc, v0, v12
	v_addc_co_u32_e32 v3, vcc, v1, v3, vcc
	v_mul_lo_u32 v3, v3, s6
	v_mul_lo_u32 v16, v12, s7
	v_mad_u64_u32 v[12:13], s[0:1], v12, s6, 0
	v_add3_u32 v13, v13, v16, v3
	v_mul_lo_u32 v3, v15, s4
	v_mul_lo_u32 v16, v14, s5
	v_mad_u64_u32 v[14:15], s[0:1], v14, s4, 0
	v_add3_u32 v15, v15, v16, v3
	v_lshlrev_b64 v[14:15], 3, v[14:15]
	v_mov_b32_e32 v3, s53
	v_add_co_u32_e32 v14, vcc, s52, v14
	v_addc_co_u32_e32 v3, vcc, v3, v15, vcc
	v_lshlrev_b64 v[12:13], 3, v[12:13]
	v_add_co_u32_e32 v12, vcc, v14, v12
	v_addc_co_u32_e32 v13, vcc, v3, v13, vcc
	v_add_co_u32_e32 v14, vcc, 3, v4
	v_addc_co_u32_e32 v3, vcc, 0, v5, vcc
	global_store_dwordx2 v[12:13], v[10:11], off
	v_mul_lo_u32 v15, s9, v14
	v_mul_lo_u32 v16, s8, v3
	v_mad_u64_u32 v[10:11], s[0:1], s8, v14, v[0:1]
	v_add3_u32 v11, v15, v11, v16
	v_or_b32_e32 v3, s55, v11
	v_cmp_ne_u64_e32 vcc, 0, v[2:3]
                                        ; implicit-def: $vgpr12_vgpr13
	s_and_saveexec_b64 s[0:1], vcc
	s_xor_b64 s[44:45], exec, s[0:1]
	s_cbranch_execz .LBB35_55
; %bb.54:                               ;   in Loop: Header=BB35_3 Depth=1
	s_ashr_i32 s48, s55, 31
	s_add_u32 s0, s54, s48
	s_mov_b32 s49, s48
	s_addc_u32 s1, s55, s48
	s_xor_b64 s[58:59], s[0:1], s[48:49]
	v_cvt_f32_u32_e32 v3, s58
	v_cvt_f32_u32_e32 v12, s59
	s_sub_u32 s0, 0, s58
	s_subb_u32 s1, 0, s59
	v_mac_f32_e32 v3, 0x4f800000, v12
	v_rcp_f32_e32 v3, v3
	v_mul_f32_e32 v3, 0x5f7ffffc, v3
	v_mul_f32_e32 v12, 0x2f800000, v3
	v_trunc_f32_e32 v12, v12
	v_mac_f32_e32 v3, 0xcf800000, v12
	v_cvt_u32_f32_e32 v12, v12
	v_cvt_u32_f32_e32 v3, v3
	v_mul_lo_u32 v13, s0, v12
	v_mul_hi_u32 v19, s0, v3
	v_mul_lo_u32 v17, s1, v3
	v_add_u32_e32 v13, v19, v13
	v_mul_lo_u32 v20, s0, v3
	v_add_u32_e32 v13, v13, v17
	v_mul_lo_u32 v19, v3, v13
	v_mul_hi_u32 v21, v3, v20
	v_mul_hi_u32 v17, v3, v13
	v_add_co_u32_e32 v19, vcc, v21, v19
	v_addc_co_u32_e32 v17, vcc, 0, v17, vcc
	v_mul_hi_u32 v22, v12, v20
	v_mul_lo_u32 v20, v12, v20
	v_add_co_u32_e32 v19, vcc, v19, v20
	v_mul_hi_u32 v21, v12, v13
	v_addc_co_u32_e32 v17, vcc, v17, v22, vcc
	v_addc_co_u32_e32 v19, vcc, 0, v21, vcc
	v_mul_lo_u32 v13, v12, v13
	v_add_co_u32_e32 v13, vcc, v17, v13
	v_addc_co_u32_e32 v17, vcc, 0, v19, vcc
	v_add_co_u32_e32 v3, vcc, v3, v13
	v_addc_co_u32_e32 v12, vcc, v12, v17, vcc
	v_mul_lo_u32 v13, s0, v12
	v_mul_hi_u32 v17, s0, v3
	v_add_u32_e32 v13, v17, v13
	v_mul_lo_u32 v17, s1, v3
	v_add_u32_e32 v13, v13, v17
	v_mul_lo_u32 v19, s0, v3
	v_mul_hi_u32 v20, v12, v19
	v_mul_lo_u32 v21, v12, v19
	v_mul_lo_u32 v23, v3, v13
	v_mul_hi_u32 v19, v3, v19
	v_mul_hi_u32 v22, v3, v13
	v_add_co_u32_e32 v19, vcc, v19, v23
	v_addc_co_u32_e32 v22, vcc, 0, v22, vcc
	v_add_co_u32_e32 v19, vcc, v19, v21
	v_mul_hi_u32 v17, v12, v13
	v_addc_co_u32_e32 v19, vcc, v22, v20, vcc
	v_addc_co_u32_e32 v17, vcc, 0, v17, vcc
	v_mul_lo_u32 v13, v12, v13
	v_add_co_u32_e32 v13, vcc, v19, v13
	v_addc_co_u32_e32 v17, vcc, 0, v17, vcc
	v_add_co_u32_e32 v3, vcc, v3, v13
	v_addc_co_u32_e32 v12, vcc, v12, v17, vcc
	v_ashrrev_i32_e32 v17, 31, v11
	v_add_co_u32_e32 v10, vcc, v10, v17
	v_addc_co_u32_e32 v11, vcc, v11, v17, vcc
	v_xor_b32_e32 v20, v10, v17
	v_xor_b32_e32 v19, v11, v17
	v_mad_u64_u32 v[10:11], s[0:1], v20, v12, 0
	v_mul_hi_u32 v13, v20, v3
	v_add_co_u32_e32 v21, vcc, v13, v10
	v_addc_co_u32_e32 v22, vcc, 0, v11, vcc
	v_mad_u64_u32 v[10:11], s[0:1], v19, v12, 0
	v_mad_u64_u32 v[12:13], s[0:1], v19, v3, 0
	v_add_co_u32_e32 v3, vcc, v21, v12
	v_addc_co_u32_e32 v3, vcc, v22, v13, vcc
	v_addc_co_u32_e32 v11, vcc, 0, v11, vcc
	v_add_co_u32_e32 v3, vcc, v3, v10
	v_addc_co_u32_e32 v12, vcc, 0, v11, vcc
	v_mul_lo_u32 v13, s59, v3
	v_mul_lo_u32 v21, s58, v12
	v_mad_u64_u32 v[10:11], s[0:1], s58, v3, 0
	v_add3_u32 v11, v11, v21, v13
	v_sub_u32_e32 v13, v19, v11
	v_mov_b32_e32 v21, s59
	v_sub_co_u32_e32 v10, vcc, v20, v10
	v_subb_co_u32_e64 v13, s[0:1], v13, v21, vcc
	v_subrev_co_u32_e64 v20, s[0:1], s58, v10
	v_subbrev_co_u32_e64 v13, s[0:1], 0, v13, s[0:1]
	v_cmp_le_u32_e64 s[0:1], s59, v13
	v_cndmask_b32_e64 v21, 0, -1, s[0:1]
	v_cmp_le_u32_e64 s[0:1], s58, v20
	v_cndmask_b32_e64 v20, 0, -1, s[0:1]
	v_cmp_eq_u32_e64 s[0:1], s59, v13
	v_cndmask_b32_e64 v13, v21, v20, s[0:1]
	v_add_co_u32_e64 v20, s[0:1], 2, v3
	v_subb_co_u32_e32 v11, vcc, v19, v11, vcc
	v_addc_co_u32_e64 v21, s[0:1], 0, v12, s[0:1]
	v_cmp_le_u32_e32 vcc, s59, v11
	v_add_co_u32_e64 v22, s[0:1], 1, v3
	v_cndmask_b32_e64 v19, 0, -1, vcc
	v_cmp_le_u32_e32 vcc, s58, v10
	v_addc_co_u32_e64 v23, s[0:1], 0, v12, s[0:1]
	v_cndmask_b32_e64 v10, 0, -1, vcc
	v_cmp_eq_u32_e32 vcc, s59, v11
	v_cmp_ne_u32_e64 s[0:1], 0, v13
	v_cndmask_b32_e32 v10, v19, v10, vcc
	v_cmp_ne_u32_e32 vcc, 0, v10
	v_cndmask_b32_e64 v11, v22, v20, s[0:1]
	v_cndmask_b32_e64 v13, v23, v21, s[0:1]
	v_cndmask_b32_e32 v3, v3, v11, vcc
	v_xor_b32_e32 v11, s48, v17
	v_cndmask_b32_e32 v10, v12, v13, vcc
	v_xor_b32_e32 v3, v3, v11
	v_xor_b32_e32 v10, v10, v11
	v_sub_co_u32_e32 v12, vcc, v3, v11
	v_subb_co_u32_e32 v13, vcc, v10, v11, vcc
                                        ; implicit-def: $vgpr10_vgpr11
.LBB35_55:                              ;   in Loop: Header=BB35_3 Depth=1
	s_andn2_saveexec_b64 s[0:1], s[44:45]
	s_cbranch_execz .LBB35_57
; %bb.56:                               ;   in Loop: Header=BB35_3 Depth=1
	v_rcp_iflag_f32_e32 v3, v18
	s_sub_i32 s44, 0, s54
	v_mov_b32_e32 v13, v2
	v_mul_f32_e32 v3, 0x4f7ffffe, v3
	v_cvt_u32_f32_e32 v3, v3
	v_mul_lo_u32 v11, s44, v3
	v_mul_hi_u32 v11, v3, v11
	v_add_u32_e32 v3, v3, v11
	v_mul_hi_u32 v3, v10, v3
	v_mul_lo_u32 v11, v3, s54
	v_sub_u32_e32 v10, v10, v11
	v_add_u32_e32 v12, 1, v3
	v_subrev_u32_e32 v11, s54, v10
	v_cmp_le_u32_e32 vcc, s54, v10
	v_cndmask_b32_e32 v10, v10, v11, vcc
	v_cndmask_b32_e32 v3, v3, v12, vcc
	v_add_u32_e32 v11, 1, v3
	v_cmp_le_u32_e32 vcc, s54, v10
	v_cndmask_b32_e32 v12, v3, v11, vcc
.LBB35_57:                              ;   in Loop: Header=BB35_3 Depth=1
	s_or_b64 exec, exec, s[0:1]
	v_mad_u64_u32 v[10:11], s[0:1], s8, v14, 0
	v_add3_u32 v3, v11, v16, v15
	v_mul_lo_u32 v11, v13, s54
	v_mul_lo_u32 v16, v12, s55
	v_mad_u64_u32 v[14:15], s[0:1], v12, s54, 0
	v_add3_u32 v11, v15, v16, v11
	v_sub_co_u32_e32 v10, vcc, v10, v14
	v_subb_co_u32_e32 v3, vcc, v3, v11, vcc
	v_add_co_u32_e32 v10, vcc, v0, v10
	v_addc_co_u32_e32 v3, vcc, v1, v3, vcc
	v_mul_lo_u32 v3, v3, s6
	v_mul_lo_u32 v14, v10, s7
	v_mad_u64_u32 v[10:11], s[0:1], v10, s6, 0
	v_add3_u32 v11, v11, v14, v3
	v_mul_lo_u32 v3, v13, s4
	v_mul_lo_u32 v14, v12, s5
	v_mad_u64_u32 v[12:13], s[0:1], v12, s4, 0
	v_add3_u32 v13, v13, v14, v3
	v_lshlrev_b64 v[12:13], 3, v[12:13]
	v_mov_b32_e32 v3, s53
	v_add_co_u32_e32 v12, vcc, s52, v12
	v_addc_co_u32_e32 v3, vcc, v3, v13, vcc
	v_lshlrev_b64 v[10:11], 3, v[10:11]
	v_add_co_u32_e32 v10, vcc, v12, v10
	v_addc_co_u32_e32 v11, vcc, v3, v11, vcc
	global_store_dwordx2 v[10:11], v[8:9], off
	v_add_co_u32_e32 v10, vcc, 4, v4
	v_addc_co_u32_e32 v3, vcc, 0, v5, vcc
	v_mul_lo_u32 v11, s9, v10
	v_mul_lo_u32 v12, s8, v3
	v_mad_u64_u32 v[4:5], s[0:1], s8, v10, v[0:1]
	v_add3_u32 v5, v11, v5, v12
	v_or_b32_e32 v3, s55, v5
	v_cmp_ne_u64_e32 vcc, 0, v[2:3]
                                        ; implicit-def: $vgpr8_vgpr9
	s_and_saveexec_b64 s[0:1], vcc
	s_xor_b64 s[44:45], exec, s[0:1]
	s_cbranch_execz .LBB35_59
; %bb.58:                               ;   in Loop: Header=BB35_3 Depth=1
	s_ashr_i32 s48, s55, 31
	s_add_u32 s0, s54, s48
	s_mov_b32 s49, s48
	s_addc_u32 s1, s55, s48
	s_xor_b64 s[58:59], s[0:1], s[48:49]
	v_cvt_f32_u32_e32 v3, s58
	v_cvt_f32_u32_e32 v8, s59
	s_sub_u32 s0, 0, s58
	s_subb_u32 s1, 0, s59
	v_mac_f32_e32 v3, 0x4f800000, v8
	v_rcp_f32_e32 v3, v3
	v_mul_f32_e32 v3, 0x5f7ffffc, v3
	v_mul_f32_e32 v8, 0x2f800000, v3
	v_trunc_f32_e32 v8, v8
	v_mac_f32_e32 v3, 0xcf800000, v8
	v_cvt_u32_f32_e32 v8, v8
	v_cvt_u32_f32_e32 v3, v3
	v_mul_lo_u32 v9, s0, v8
	v_mul_hi_u32 v14, s0, v3
	v_mul_lo_u32 v13, s1, v3
	v_add_u32_e32 v9, v14, v9
	v_mul_lo_u32 v15, s0, v3
	v_add_u32_e32 v9, v9, v13
	v_mul_lo_u32 v14, v3, v9
	v_mul_hi_u32 v16, v3, v15
	v_mul_hi_u32 v13, v3, v9
	v_add_co_u32_e32 v14, vcc, v16, v14
	v_addc_co_u32_e32 v13, vcc, 0, v13, vcc
	v_mul_hi_u32 v17, v8, v15
	v_mul_lo_u32 v15, v8, v15
	v_add_co_u32_e32 v14, vcc, v14, v15
	v_mul_hi_u32 v16, v8, v9
	v_addc_co_u32_e32 v13, vcc, v13, v17, vcc
	v_addc_co_u32_e32 v14, vcc, 0, v16, vcc
	v_mul_lo_u32 v9, v8, v9
	v_add_co_u32_e32 v9, vcc, v13, v9
	v_addc_co_u32_e32 v13, vcc, 0, v14, vcc
	v_add_co_u32_e32 v3, vcc, v3, v9
	v_addc_co_u32_e32 v8, vcc, v8, v13, vcc
	v_mul_lo_u32 v9, s0, v8
	v_mul_hi_u32 v13, s0, v3
	v_add_u32_e32 v9, v13, v9
	v_mul_lo_u32 v13, s1, v3
	v_add_u32_e32 v9, v9, v13
	v_mul_lo_u32 v14, s0, v3
	v_mul_hi_u32 v15, v8, v14
	v_mul_lo_u32 v16, v8, v14
	v_mul_lo_u32 v18, v3, v9
	v_mul_hi_u32 v14, v3, v14
	v_mul_hi_u32 v17, v3, v9
	v_add_co_u32_e32 v14, vcc, v14, v18
	v_addc_co_u32_e32 v17, vcc, 0, v17, vcc
	v_add_co_u32_e32 v14, vcc, v14, v16
	v_mul_hi_u32 v13, v8, v9
	v_addc_co_u32_e32 v14, vcc, v17, v15, vcc
	v_addc_co_u32_e32 v13, vcc, 0, v13, vcc
	v_mul_lo_u32 v9, v8, v9
	v_add_co_u32_e32 v9, vcc, v14, v9
	v_addc_co_u32_e32 v13, vcc, 0, v13, vcc
	v_add_co_u32_e32 v3, vcc, v3, v9
	v_addc_co_u32_e32 v8, vcc, v8, v13, vcc
	v_ashrrev_i32_e32 v13, 31, v5
	v_add_co_u32_e32 v4, vcc, v4, v13
	v_addc_co_u32_e32 v5, vcc, v5, v13, vcc
	v_xor_b32_e32 v15, v4, v13
	v_xor_b32_e32 v14, v5, v13
	v_mad_u64_u32 v[4:5], s[0:1], v15, v8, 0
	v_mul_hi_u32 v9, v15, v3
	v_add_co_u32_e32 v16, vcc, v9, v4
	v_addc_co_u32_e32 v17, vcc, 0, v5, vcc
	v_mad_u64_u32 v[4:5], s[0:1], v14, v8, 0
	v_mad_u64_u32 v[8:9], s[0:1], v14, v3, 0
	v_add_co_u32_e32 v3, vcc, v16, v8
	v_addc_co_u32_e32 v3, vcc, v17, v9, vcc
	v_addc_co_u32_e32 v5, vcc, 0, v5, vcc
	v_add_co_u32_e32 v3, vcc, v3, v4
	v_addc_co_u32_e32 v8, vcc, 0, v5, vcc
	v_mul_lo_u32 v9, s59, v3
	v_mul_lo_u32 v16, s58, v8
	v_mad_u64_u32 v[4:5], s[0:1], s58, v3, 0
	v_add3_u32 v5, v5, v16, v9
	v_sub_u32_e32 v9, v14, v5
	v_mov_b32_e32 v16, s59
	v_sub_co_u32_e32 v4, vcc, v15, v4
	v_subb_co_u32_e64 v9, s[0:1], v9, v16, vcc
	v_subrev_co_u32_e64 v15, s[0:1], s58, v4
	v_subbrev_co_u32_e64 v9, s[0:1], 0, v9, s[0:1]
	v_cmp_le_u32_e64 s[0:1], s59, v9
	v_cndmask_b32_e64 v16, 0, -1, s[0:1]
	v_cmp_le_u32_e64 s[0:1], s58, v15
	v_cndmask_b32_e64 v15, 0, -1, s[0:1]
	v_cmp_eq_u32_e64 s[0:1], s59, v9
	v_cndmask_b32_e64 v9, v16, v15, s[0:1]
	v_add_co_u32_e64 v15, s[0:1], 2, v3
	v_subb_co_u32_e32 v5, vcc, v14, v5, vcc
	v_addc_co_u32_e64 v16, s[0:1], 0, v8, s[0:1]
	v_cmp_le_u32_e32 vcc, s59, v5
	v_add_co_u32_e64 v17, s[0:1], 1, v3
	v_cndmask_b32_e64 v14, 0, -1, vcc
	v_cmp_le_u32_e32 vcc, s58, v4
	v_addc_co_u32_e64 v18, s[0:1], 0, v8, s[0:1]
	v_cndmask_b32_e64 v4, 0, -1, vcc
	v_cmp_eq_u32_e32 vcc, s59, v5
	v_cmp_ne_u32_e64 s[0:1], 0, v9
	v_cndmask_b32_e32 v4, v14, v4, vcc
	v_cmp_ne_u32_e32 vcc, 0, v4
	v_cndmask_b32_e64 v5, v17, v15, s[0:1]
	v_cndmask_b32_e64 v9, v18, v16, s[0:1]
	v_cndmask_b32_e32 v3, v3, v5, vcc
	v_xor_b32_e32 v5, s48, v13
	v_cndmask_b32_e32 v4, v8, v9, vcc
	v_xor_b32_e32 v3, v3, v5
	v_xor_b32_e32 v4, v4, v5
	v_sub_co_u32_e32 v8, vcc, v3, v5
	v_subb_co_u32_e32 v9, vcc, v4, v5, vcc
                                        ; implicit-def: $vgpr18
                                        ; implicit-def: $vgpr4_vgpr5
.LBB35_59:                              ;   in Loop: Header=BB35_3 Depth=1
	s_andn2_saveexec_b64 s[0:1], s[44:45]
	s_cbranch_execz .LBB35_2
; %bb.60:                               ;   in Loop: Header=BB35_3 Depth=1
	v_rcp_iflag_f32_e32 v3, v18
	s_sub_i32 s44, 0, s54
	v_mov_b32_e32 v9, v2
	v_mul_f32_e32 v3, 0x4f7ffffe, v3
	v_cvt_u32_f32_e32 v3, v3
	v_mul_lo_u32 v5, s44, v3
	v_mul_hi_u32 v5, v3, v5
	v_add_u32_e32 v3, v3, v5
	v_mul_hi_u32 v3, v4, v3
	v_mul_lo_u32 v5, v3, s54
	v_sub_u32_e32 v4, v4, v5
	v_add_u32_e32 v8, 1, v3
	v_subrev_u32_e32 v5, s54, v4
	v_cmp_le_u32_e32 vcc, s54, v4
	v_cndmask_b32_e32 v4, v4, v5, vcc
	v_cndmask_b32_e32 v3, v3, v8, vcc
	v_add_u32_e32 v5, 1, v3
	v_cmp_le_u32_e32 vcc, s54, v4
	v_cndmask_b32_e32 v8, v3, v5, vcc
	s_branch .LBB35_2
.LBB35_61:
	s_endpgm
	.section	.rodata,"a",@progbits
	.p2align	6, 0x0
	.amdhsa_kernel _ZN2at6native12_GLOBAL__N_16kernel16gru_cell_forwardIddlLi2EEEvNS_4cuda6detail10TensorInfoIT_T1_EES9_S9_S9_S9_S9_S9_S8_S8_
		.amdhsa_group_segment_fixed_size 0
		.amdhsa_private_segment_fixed_size 0
		.amdhsa_kernarg_size 3184
		.amdhsa_user_sgpr_count 6
		.amdhsa_user_sgpr_private_segment_buffer 1
		.amdhsa_user_sgpr_dispatch_ptr 0
		.amdhsa_user_sgpr_queue_ptr 0
		.amdhsa_user_sgpr_kernarg_segment_ptr 1
		.amdhsa_user_sgpr_dispatch_id 0
		.amdhsa_user_sgpr_flat_scratch_init 0
		.amdhsa_user_sgpr_kernarg_preload_length 0
		.amdhsa_user_sgpr_kernarg_preload_offset 0
		.amdhsa_user_sgpr_private_segment_size 0
		.amdhsa_uses_dynamic_stack 0
		.amdhsa_system_sgpr_private_segment_wavefront_offset 0
		.amdhsa_system_sgpr_workgroup_id_x 1
		.amdhsa_system_sgpr_workgroup_id_y 0
		.amdhsa_system_sgpr_workgroup_id_z 0
		.amdhsa_system_sgpr_workgroup_info 0
		.amdhsa_system_vgpr_workitem_id 0
		.amdhsa_next_free_vgpr 47
		.amdhsa_next_free_sgpr 96
		.amdhsa_accum_offset 48
		.amdhsa_reserve_vcc 1
		.amdhsa_reserve_flat_scratch 0
		.amdhsa_float_round_mode_32 0
		.amdhsa_float_round_mode_16_64 0
		.amdhsa_float_denorm_mode_32 3
		.amdhsa_float_denorm_mode_16_64 3
		.amdhsa_dx10_clamp 1
		.amdhsa_ieee_mode 1
		.amdhsa_fp16_overflow 0
		.amdhsa_tg_split 0
		.amdhsa_exception_fp_ieee_invalid_op 0
		.amdhsa_exception_fp_denorm_src 0
		.amdhsa_exception_fp_ieee_div_zero 0
		.amdhsa_exception_fp_ieee_overflow 0
		.amdhsa_exception_fp_ieee_underflow 0
		.amdhsa_exception_fp_ieee_inexact 0
		.amdhsa_exception_int_div_zero 0
	.end_amdhsa_kernel
	.section	.text._ZN2at6native12_GLOBAL__N_16kernel16gru_cell_forwardIddlLi2EEEvNS_4cuda6detail10TensorInfoIT_T1_EES9_S9_S9_S9_S9_S9_S8_S8_,"axG",@progbits,_ZN2at6native12_GLOBAL__N_16kernel16gru_cell_forwardIddlLi2EEEvNS_4cuda6detail10TensorInfoIT_T1_EES9_S9_S9_S9_S9_S9_S8_S8_,comdat
.Lfunc_end35:
	.size	_ZN2at6native12_GLOBAL__N_16kernel16gru_cell_forwardIddlLi2EEEvNS_4cuda6detail10TensorInfoIT_T1_EES9_S9_S9_S9_S9_S9_S8_S8_, .Lfunc_end35-_ZN2at6native12_GLOBAL__N_16kernel16gru_cell_forwardIddlLi2EEEvNS_4cuda6detail10TensorInfoIT_T1_EES9_S9_S9_S9_S9_S9_S8_S8_
                                        ; -- End function
	.section	.AMDGPU.csdata,"",@progbits
; Kernel info:
; codeLenInByte = 16592
; NumSgprs: 100
; NumVgprs: 47
; NumAgprs: 0
; TotalNumVgprs: 47
; ScratchSize: 0
; MemoryBound: 0
; FloatMode: 240
; IeeeMode: 1
; LDSByteSize: 0 bytes/workgroup (compile time only)
; SGPRBlocks: 12
; VGPRBlocks: 5
; NumSGPRsForWavesPerEU: 100
; NumVGPRsForWavesPerEU: 47
; AccumOffset: 48
; Occupancy: 8
; WaveLimiterHint : 1
; COMPUTE_PGM_RSRC2:SCRATCH_EN: 0
; COMPUTE_PGM_RSRC2:USER_SGPR: 6
; COMPUTE_PGM_RSRC2:TRAP_HANDLER: 0
; COMPUTE_PGM_RSRC2:TGID_X_EN: 1
; COMPUTE_PGM_RSRC2:TGID_Y_EN: 0
; COMPUTE_PGM_RSRC2:TGID_Z_EN: 0
; COMPUTE_PGM_RSRC2:TIDIG_COMP_CNT: 0
; COMPUTE_PGM_RSRC3_GFX90A:ACCUM_OFFSET: 11
; COMPUTE_PGM_RSRC3_GFX90A:TG_SPLIT: 0
	.section	.text._ZN2at6native12_GLOBAL__N_16kernel16gru_cell_forwardIffiLi1EEEvNS_4cuda6detail10TensorInfoIT_T1_EES9_S9_S9_S9_S9_S9_S8_S8_,"axG",@progbits,_ZN2at6native12_GLOBAL__N_16kernel16gru_cell_forwardIffiLi1EEEvNS_4cuda6detail10TensorInfoIT_T1_EES9_S9_S9_S9_S9_S9_S8_S8_,comdat
	.globl	_ZN2at6native12_GLOBAL__N_16kernel16gru_cell_forwardIffiLi1EEEvNS_4cuda6detail10TensorInfoIT_T1_EES9_S9_S9_S9_S9_S9_S8_S8_ ; -- Begin function _ZN2at6native12_GLOBAL__N_16kernel16gru_cell_forwardIffiLi1EEEvNS_4cuda6detail10TensorInfoIT_T1_EES9_S9_S9_S9_S9_S9_S8_S8_
	.p2align	8
	.type	_ZN2at6native12_GLOBAL__N_16kernel16gru_cell_forwardIffiLi1EEEvNS_4cuda6detail10TensorInfoIT_T1_EES9_S9_S9_S9_S9_S9_S8_S8_,@function
_ZN2at6native12_GLOBAL__N_16kernel16gru_cell_forwardIffiLi1EEEvNS_4cuda6detail10TensorInfoIT_T1_EES9_S9_S9_S9_S9_S9_S8_S8_: ; @_ZN2at6native12_GLOBAL__N_16kernel16gru_cell_forwardIffiLi1EEEvNS_4cuda6detail10TensorInfoIT_T1_EES9_S9_S9_S9_S9_S9_S8_S8_
; %bb.0:
	s_load_dword s7, s[4:5], 0x5fc
	s_load_dwordx2 s[2:3], s[4:5], 0x5e8
	s_add_u32 s0, s4, 0x5f0
	s_addc_u32 s1, s5, 0
	s_waitcnt lgkmcnt(0)
	s_and_b32 s20, s7, 0xffff
	s_mul_i32 s6, s6, s20
	v_add_u32_e32 v0, s6, v0
	v_cmp_gt_i32_e32 vcc, s3, v0
	s_and_saveexec_b64 s[6:7], vcc
	s_cbranch_execz .LBB36_9
; %bb.1:
	s_load_dwordx2 s[6:7], s[4:5], 0x1b0
	s_load_dwordx2 s[8:9], s[4:5], 0x0
	s_load_dword s22, s[4:5], 0x6c
	s_load_dwordx2 s[10:11], s[4:5], 0xd8
	s_load_dword s23, s[4:5], 0x144
	s_load_dword s24, s[4:5], 0x21c
	s_load_dwordx2 s[12:13], s[4:5], 0x288
	s_load_dword s25, s[4:5], 0x2f4
	s_waitcnt lgkmcnt(0)
	s_cmp_lg_u64 s[6:7], 0
	s_cselect_b64 s[36:37], -1, 0
	s_abs_i32 s26, s2
	v_cvt_f32_u32_e32 v1, s26
	s_load_dwordx2 s[14:15], s[4:5], 0x360
	s_load_dword s21, s[4:5], 0x3cc
	s_load_dwordx2 s[16:17], s[4:5], 0x438
	s_load_dword s35, s[4:5], 0x4a4
	s_load_dword s28, s[0:1], 0x0
	s_load_dwordx2 s[18:19], s[4:5], 0x510
	s_load_dword s27, s[4:5], 0x57c
	s_sub_i32 s0, 0, s26
	v_rcp_iflag_f32_e32 v1, v1
	v_cndmask_b32_e64 v3, 0, 1, s[36:37]
	s_waitcnt lgkmcnt(0)
	s_mul_i32 s28, s28, s20
	s_mov_b64 s[4:5], 0
	v_mul_f32_e32 v1, 0x4f7ffffe, v1
	v_cvt_u32_f32_e32 v1, v1
	s_ashr_i32 s29, s2, 31
	s_lshl_b32 s30, s2, 1
	s_lshl_b32 s31, s2, 2
	v_mul_lo_u32 v2, s0, v1
	v_mul_hi_u32 v2, v1, v2
	v_add_u32_e32 v1, v1, v2
	s_sub_i32 s33, 0, s2
	v_mul_lo_u32 v2, v0, s21
	s_mul_i32 s34, s28, s21
	v_mul_lo_u32 v4, v0, s35
	s_mul_i32 s35, s28, s35
	v_mov_b32_e32 v10, s9
	v_mov_b32_e32 v11, s11
	v_mov_b32_e32 v12, s15
	v_cmp_ne_u32_e64 s[0:1], 1, v3
	s_mov_b32 s9, 0xbfb8aa3b
	s_mov_b32 s11, 0x42ce8ed0
	;; [unrolled: 1-line block ×7, first 2 shown]
	v_mov_b32_e32 v13, 0xbd5c1c4e
	v_mov_b32_e32 v14, 0x3e088382
	;; [unrolled: 1-line block ×3, first 2 shown]
	s_brev_b32 s40, -2
	v_mov_b32_e32 v16, 0x7f800000
	s_branch .LBB36_3
.LBB36_2:                               ;   in Loop: Header=BB36_3 Depth=1
	s_or_b64 exec, exec, s[20:21]
	v_add_f32_e32 v9, v19, v20
	v_add_f32_e32 v9, v9, v21
	;; [unrolled: 1-line block ×3, first 2 shown]
	v_mul_f32_e32 v19, 0xbfb8aa3b, v9
	v_fma_f32 v20, v9, s9, -v19
	v_rndne_f32_e32 v21, v19
	v_fmac_f32_e32 v20, 0xb2a5705f, v9
	v_sub_f32_e32 v19, v19, v21
	v_add_f32_e32 v19, v19, v20
	v_cvt_i32_f32_e32 v20, v21
	v_exp_f32_e32 v19, v19
	v_cmp_nlt_f32_e32 vcc, s11, v9
	v_add_u32_e32 v2, s34, v2
	v_ldexp_f32 v19, v19, v20
	v_cndmask_b32_e32 v19, 0, v19, vcc
	v_cmp_ngt_f32_e32 vcc, s15, v9
	v_cndmask_b32_e32 v9, v16, v19, vcc
	v_add_f32_e32 v9, 1.0, v9
	v_div_scale_f32 v19, s[20:21], v9, v9, 1.0
	v_rcp_f32_e32 v23, v19
	v_mad_u64_u32 v[20:21], s[20:21], s31, v5, v[0:1]
	v_fma_f32 v5, -v19, v23, 1.0
	v_fmac_f32_e32 v23, v5, v23
	v_div_scale_f32 v5, vcc, 1.0, v9, 1.0
	v_mul_f32_e32 v21, v5, v23
	v_fma_f32 v24, -v19, v21, v5
	v_fmac_f32_e32 v21, v24, v23
	v_fma_f32 v5, -v19, v21, v5
	v_div_fmas_f32 v5, v5, v23, v21
	v_div_fixup_f32 v19, v5, v9, 1.0
	v_ashrrev_i32_e32 v5, 31, v4
	v_lshlrev_b64 v[24:25], 2, v[4:5]
	v_mov_b32_e32 v5, s17
	v_add_co_u32_e32 v24, vcc, s16, v24
	v_addc_co_u32_e32 v25, vcc, v5, v25, vcc
	v_bfi_b32 v5, s40, v8, v6
	v_mul_lo_u32 v8, v20, s27
	v_sub_f32_e32 v6, v3, v5
	v_ashrrev_i32_e32 v9, 31, v8
	v_fma_f32 v6, v19, v6, v5
	v_lshlrev_b64 v[8:9], 2, v[8:9]
	global_store_dword v[24:25], v6, off
	v_mov_b32_e32 v6, s19
	v_add_co_u32_e32 v8, vcc, s18, v8
	v_addc_co_u32_e32 v9, vcc, v6, v9, vcc
	global_store_dword v[8:9], v22, off
	v_lshlrev_b32_e32 v8, 2, v18
	v_lshlrev_b32_e32 v9, 2, v17
	v_sub_u32_e32 v17, v8, v9
	v_or_b32_e32 v8, 1, v17
	v_mad_u64_u32 v[8:9], s[20:21], s2, v8, v[0:1]
	v_mul_lo_u32 v8, v8, s27
	v_ashrrev_i32_e32 v9, 31, v8
	v_lshlrev_b64 v[8:9], 2, v[8:9]
	v_add_co_u32_e32 v8, vcc, s18, v8
	v_addc_co_u32_e32 v9, vcc, v6, v9, vcc
	global_store_dword v[8:9], v19, off
	v_or_b32_e32 v8, 2, v17
	v_mad_u64_u32 v[8:9], s[20:21], s2, v8, v[0:1]
	v_mul_lo_u32 v8, v8, s27
	v_ashrrev_i32_e32 v9, 31, v8
	v_lshlrev_b64 v[8:9], 2, v[8:9]
	v_add_co_u32_e32 v8, vcc, s18, v8
	v_addc_co_u32_e32 v9, vcc, v6, v9, vcc
	global_store_dword v[8:9], v5, off
	;; [unrolled: 8-line block ×3, first 2 shown]
	v_add_u32_e32 v3, 4, v17
	v_mad_u64_u32 v[8:9], s[20:21], s2, v3, v[0:1]
	v_mul_lo_u32 v8, v8, s27
	v_ashrrev_i32_e32 v9, 31, v8
	v_lshlrev_b64 v[8:9], 2, v[8:9]
	v_add_co_u32_e32 v8, vcc, s18, v8
	v_addc_co_u32_e32 v9, vcc, v6, v9, vcc
	v_add_u32_e32 v0, s28, v0
	v_cmp_le_i32_e32 vcc, s3, v0
	s_or_b64 s[4:5], vcc, s[4:5]
	v_add_u32_e32 v4, s35, v4
	global_store_dword v[8:9], v7, off
	s_andn2_b64 exec, exec, s[4:5]
	s_cbranch_execz .LBB36_9
.LBB36_3:                               ; =>This Inner Loop Header: Depth=1
	v_ashrrev_i32_e32 v3, 31, v0
	v_xor_b32_e32 v17, s29, v3
	v_sub_u32_e32 v3, 0, v0
	v_max_i32_e32 v3, v0, v3
	v_mul_hi_u32 v5, v3, v1
	v_mul_lo_u32 v6, v5, s26
	v_sub_u32_e32 v3, v3, v6
	v_add_u32_e32 v6, 1, v5
	v_cmp_le_u32_e32 vcc, s26, v3
	v_cndmask_b32_e32 v5, v5, v6, vcc
	v_subrev_u32_e32 v6, s26, v3
	v_cndmask_b32_e32 v3, v3, v6, vcc
	v_add_u32_e32 v6, 1, v5
	v_cmp_le_u32_e32 vcc, s26, v3
	v_cndmask_b32_e32 v3, v5, v6, vcc
	v_xor_b32_e32 v18, v3, v17
	v_sub_u32_e32 v5, v18, v17
	v_mad_u64_u32 v[8:9], s[20:21], s30, v5, v[0:1]
	v_mul_lo_u32 v6, v8, s22
	v_ashrrev_i32_e32 v7, 31, v6
	v_lshlrev_b64 v[6:7], 2, v[6:7]
	v_add_co_u32_e32 v20, vcc, s8, v6
	v_lshlrev_b32_e32 v3, 1, v18
	v_lshlrev_b32_e32 v6, 1, v17
	v_sub_u32_e32 v3, v3, v6
	v_or_b32_e32 v6, 1, v3
	v_mad_u64_u32 v[24:25], s[20:21], s2, v6, v[0:1]
	v_mul_lo_u32 v6, v24, s22
	v_addc_co_u32_e32 v21, vcc, v10, v7, vcc
	v_ashrrev_i32_e32 v7, 31, v6
	v_add_u32_e32 v3, 2, v3
	v_lshlrev_b64 v[6:7], 2, v[6:7]
	v_mad_u64_u32 v[28:29], s[20:21], s2, v3, v[0:1]
	v_add_co_u32_e32 v26, vcc, s8, v6
	v_mul_lo_u32 v6, v28, s22
	v_addc_co_u32_e32 v27, vcc, v10, v7, vcc
	v_ashrrev_i32_e32 v7, 31, v6
	v_lshlrev_b64 v[6:7], 2, v[6:7]
	v_mul_lo_u32 v8, v8, s23
	v_add_co_u32_e32 v30, vcc, s8, v6
	v_ashrrev_i32_e32 v9, 31, v8
	v_addc_co_u32_e32 v31, vcc, v10, v7, vcc
	global_load_dword v22, v[20:21], off
	global_load_dword v19, v[26:27], off
	;; [unrolled: 1-line block ×3, first 2 shown]
	v_lshlrev_b64 v[8:9], 2, v[8:9]
	v_mul_lo_u32 v20, v24, s23
	v_add_co_u32_e32 v8, vcc, s10, v8
	v_ashrrev_i32_e32 v21, 31, v20
	v_addc_co_u32_e32 v9, vcc, v11, v9, vcc
	v_lshlrev_b64 v[20:21], 2, v[20:21]
	v_add_co_u32_e32 v24, vcc, s10, v20
	v_mul_lo_u32 v20, v28, s23
	v_addc_co_u32_e32 v25, vcc, v11, v21, vcc
	v_ashrrev_i32_e32 v21, 31, v20
	v_lshlrev_b64 v[20:21], 2, v[20:21]
	v_add_co_u32_e32 v26, vcc, s10, v20
	v_ashrrev_i32_e32 v3, 31, v2
	v_addc_co_u32_e32 v27, vcc, v11, v21, vcc
	global_load_dword v23, v[8:9], off
	global_load_dword v20, v[24:25], off
	;; [unrolled: 1-line block ×3, first 2 shown]
	v_lshlrev_b64 v[8:9], 2, v[2:3]
	v_add_co_u32_e32 v8, vcc, s14, v8
	v_addc_co_u32_e32 v9, vcc, v12, v9, vcc
	global_load_dword v3, v[8:9], off
	s_and_b64 vcc, exec, s[0:1]
	v_mov_b32_e32 v21, 0
	v_mov_b32_e32 v26, 0
	;; [unrolled: 1-line block ×6, first 2 shown]
	s_cbranch_vccnz .LBB36_5
; %bb.4:                                ;   in Loop: Header=BB36_3 Depth=1
	v_mad_u64_u32 v[24:25], s[20:21], s33, v5, v[0:1]
	v_mul_lo_u32 v8, v24, s24
	v_ashrrev_i32_e32 v9, 31, v8
	v_lshlrev_b64 v[8:9], 2, v[8:9]
	v_sub_u32_e32 v25, v17, v18
	v_add_co_u32_e32 v26, vcc, s6, v8
	v_mul_lo_u32 v8, s2, v25
	v_add3_u32 v34, v8, s2, v0
	v_mov_b32_e32 v21, s7
	v_mul_lo_u32 v8, v34, s24
	v_addc_co_u32_e32 v27, vcc, v21, v9, vcc
	v_ashrrev_i32_e32 v9, 31, v8
	v_lshlrev_b64 v[8:9], 2, v[8:9]
	v_add_co_u32_e32 v28, vcc, s6, v8
	v_add_u32_e32 v8, 2, v25
	v_mad_u64_u32 v[30:31], s[20:21], s2, v8, v[0:1]
	v_mul_lo_u32 v8, v30, s24
	v_addc_co_u32_e32 v29, vcc, v21, v9, vcc
	v_ashrrev_i32_e32 v9, 31, v8
	v_lshlrev_b64 v[8:9], 2, v[8:9]
	v_add_co_u32_e32 v32, vcc, s6, v8
	v_addc_co_u32_e32 v33, vcc, v21, v9, vcc
	global_load_dword v25, v[26:27], off
	global_load_dword v21, v[28:29], off
	global_load_dword v8, v[32:33], off
	v_mul_lo_u32 v26, v24, s25
	v_ashrrev_i32_e32 v27, 31, v26
	v_lshlrev_b64 v[26:27], 2, v[26:27]
	v_mov_b32_e32 v9, s13
	v_add_co_u32_e32 v28, vcc, s12, v26
	v_mul_lo_u32 v26, v34, s25
	v_addc_co_u32_e32 v29, vcc, v9, v27, vcc
	v_ashrrev_i32_e32 v27, 31, v26
	v_lshlrev_b64 v[26:27], 2, v[26:27]
	v_add_co_u32_e32 v32, vcc, s12, v26
	v_mul_lo_u32 v26, v30, s25
	v_addc_co_u32_e32 v33, vcc, v9, v27, vcc
	v_ashrrev_i32_e32 v27, 31, v26
	v_lshlrev_b64 v[26:27], 2, v[26:27]
	v_add_co_u32_e32 v30, vcc, s12, v26
	v_addc_co_u32_e32 v31, vcc, v9, v27, vcc
	global_load_dword v26, v[28:29], off
	global_load_dword v24, v[32:33], off
	;; [unrolled: 1-line block ×3, first 2 shown]
.LBB36_5:                               ;   in Loop: Header=BB36_3 Depth=1
	s_waitcnt vmcnt(3)
	v_add_f32_e32 v22, v22, v23
	v_add_f32_e32 v22, v22, v25
	s_waitcnt vmcnt(2)
	v_add_f32_e32 v22, v26, v22
	v_mul_f32_e32 v23, 0xbfb8aa3b, v22
	v_fma_f32 v25, v22, s9, -v23
	v_rndne_f32_e32 v26, v23
	v_fmac_f32_e32 v25, 0xb2a5705f, v22
	v_sub_f32_e32 v23, v23, v26
	v_add_f32_e32 v23, v23, v25
	v_cvt_i32_f32_e32 v25, v26
	v_exp_f32_e32 v23, v23
	v_cmp_nlt_f32_e32 vcc, s11, v22
	s_waitcnt vmcnt(0)
	v_pk_add_f32 v[6:7], v[6:7], v[8:9]
                                        ; implicit-def: $vgpr8
	v_ldexp_f32 v23, v23, v25
	v_cndmask_b32_e32 v23, 0, v23, vcc
	v_cmp_ngt_f32_e32 vcc, s15, v22
	v_cndmask_b32_e32 v22, v16, v23, vcc
	v_add_f32_e32 v22, 1.0, v22
	v_div_scale_f32 v23, s[20:21], v22, v22, 1.0
	v_rcp_f32_e32 v25, v23
	v_fma_f32 v26, -v23, v25, 1.0
	v_fmac_f32_e32 v25, v26, v25
	v_div_scale_f32 v26, vcc, 1.0, v22, 1.0
	v_mul_f32_e32 v27, v26, v25
	v_fma_f32 v28, -v23, v27, v26
	v_fmac_f32_e32 v27, v28, v25
	v_fma_f32 v23, -v23, v27, v26
	v_div_fmas_f32 v23, v23, v25, v27
	v_div_fixup_f32 v22, v23, v22, 1.0
	v_fma_f32 v6, v7, v22, v6
	v_cmp_nlt_f32_e64 s[20:21], |v6|, s36
	s_and_saveexec_b64 s[42:43], s[20:21]
	s_xor_b64 s[20:21], exec, s[42:43]
	s_cbranch_execz .LBB36_7
; %bb.6:                                ;   in Loop: Header=BB36_3 Depth=1
	v_add_f32_e64 v8, |v6|, |v6|
	v_mul_f32_e32 v9, 0x3fb8aa3b, v8
	v_rndne_f32_e32 v23, v9
	v_sub_f32_e32 v25, v9, v23
	v_fma_f32 v9, v8, s37, -v9
	v_fmac_f32_e32 v9, 0x32a5705f, v8
	v_add_f32_e32 v9, v25, v9
	v_cvt_i32_f32_e32 v23, v23
	v_exp_f32_e32 v9, v9
	v_cmp_ngt_f32_e32 vcc, s38, v8
	v_ldexp_f32 v9, v9, v23
	v_cndmask_b32_e32 v9, 0, v9, vcc
	v_cmp_nlt_f32_e32 vcc, s39, v8
	v_cndmask_b32_e32 v8, v16, v9, vcc
	v_add_f32_e32 v8, 1.0, v8
	v_rcp_f32_e32 v8, v8
	v_fma_f32 v8, v8, -2.0, 1.0
.LBB36_7:                               ;   in Loop: Header=BB36_3 Depth=1
	s_andn2_saveexec_b64 s[20:21], s[20:21]
	s_cbranch_execz .LBB36_2
; %bb.8:                                ;   in Loop: Header=BB36_3 Depth=1
	v_mul_f32_e32 v8, v6, v6
	v_mov_b32_e32 v9, 0x3ca908c9
	v_fmac_f32_e32 v9, 0xbbbac73d, v8
	v_fma_f32 v9, v8, v9, v13
	v_fma_f32 v9, v8, v9, v14
	;; [unrolled: 1-line block ×3, first 2 shown]
	v_mul_f32_e64 v9, |v6|, v9
	v_fma_f32 v8, v8, v9, |v6|
	s_branch .LBB36_2
.LBB36_9:
	s_endpgm
	.section	.rodata,"a",@progbits
	.p2align	6, 0x0
	.amdhsa_kernel _ZN2at6native12_GLOBAL__N_16kernel16gru_cell_forwardIffiLi1EEEvNS_4cuda6detail10TensorInfoIT_T1_EES9_S9_S9_S9_S9_S9_S8_S8_
		.amdhsa_group_segment_fixed_size 0
		.amdhsa_private_segment_fixed_size 0
		.amdhsa_kernarg_size 1776
		.amdhsa_user_sgpr_count 6
		.amdhsa_user_sgpr_private_segment_buffer 1
		.amdhsa_user_sgpr_dispatch_ptr 0
		.amdhsa_user_sgpr_queue_ptr 0
		.amdhsa_user_sgpr_kernarg_segment_ptr 1
		.amdhsa_user_sgpr_dispatch_id 0
		.amdhsa_user_sgpr_flat_scratch_init 0
		.amdhsa_user_sgpr_kernarg_preload_length 0
		.amdhsa_user_sgpr_kernarg_preload_offset 0
		.amdhsa_user_sgpr_private_segment_size 0
		.amdhsa_uses_dynamic_stack 0
		.amdhsa_system_sgpr_private_segment_wavefront_offset 0
		.amdhsa_system_sgpr_workgroup_id_x 1
		.amdhsa_system_sgpr_workgroup_id_y 0
		.amdhsa_system_sgpr_workgroup_id_z 0
		.amdhsa_system_sgpr_workgroup_info 0
		.amdhsa_system_vgpr_workitem_id 0
		.amdhsa_next_free_vgpr 35
		.amdhsa_next_free_sgpr 44
		.amdhsa_accum_offset 36
		.amdhsa_reserve_vcc 1
		.amdhsa_reserve_flat_scratch 0
		.amdhsa_float_round_mode_32 0
		.amdhsa_float_round_mode_16_64 0
		.amdhsa_float_denorm_mode_32 3
		.amdhsa_float_denorm_mode_16_64 3
		.amdhsa_dx10_clamp 1
		.amdhsa_ieee_mode 1
		.amdhsa_fp16_overflow 0
		.amdhsa_tg_split 0
		.amdhsa_exception_fp_ieee_invalid_op 0
		.amdhsa_exception_fp_denorm_src 0
		.amdhsa_exception_fp_ieee_div_zero 0
		.amdhsa_exception_fp_ieee_overflow 0
		.amdhsa_exception_fp_ieee_underflow 0
		.amdhsa_exception_fp_ieee_inexact 0
		.amdhsa_exception_int_div_zero 0
	.end_amdhsa_kernel
	.section	.text._ZN2at6native12_GLOBAL__N_16kernel16gru_cell_forwardIffiLi1EEEvNS_4cuda6detail10TensorInfoIT_T1_EES9_S9_S9_S9_S9_S9_S8_S8_,"axG",@progbits,_ZN2at6native12_GLOBAL__N_16kernel16gru_cell_forwardIffiLi1EEEvNS_4cuda6detail10TensorInfoIT_T1_EES9_S9_S9_S9_S9_S9_S8_S8_,comdat
.Lfunc_end36:
	.size	_ZN2at6native12_GLOBAL__N_16kernel16gru_cell_forwardIffiLi1EEEvNS_4cuda6detail10TensorInfoIT_T1_EES9_S9_S9_S9_S9_S9_S8_S8_, .Lfunc_end36-_ZN2at6native12_GLOBAL__N_16kernel16gru_cell_forwardIffiLi1EEEvNS_4cuda6detail10TensorInfoIT_T1_EES9_S9_S9_S9_S9_S9_S8_S8_
                                        ; -- End function
	.section	.AMDGPU.csdata,"",@progbits
; Kernel info:
; codeLenInByte = 1940
; NumSgprs: 48
; NumVgprs: 35
; NumAgprs: 0
; TotalNumVgprs: 35
; ScratchSize: 0
; MemoryBound: 0
; FloatMode: 240
; IeeeMode: 1
; LDSByteSize: 0 bytes/workgroup (compile time only)
; SGPRBlocks: 5
; VGPRBlocks: 4
; NumSGPRsForWavesPerEU: 48
; NumVGPRsForWavesPerEU: 35
; AccumOffset: 36
; Occupancy: 8
; WaveLimiterHint : 1
; COMPUTE_PGM_RSRC2:SCRATCH_EN: 0
; COMPUTE_PGM_RSRC2:USER_SGPR: 6
; COMPUTE_PGM_RSRC2:TRAP_HANDLER: 0
; COMPUTE_PGM_RSRC2:TGID_X_EN: 1
; COMPUTE_PGM_RSRC2:TGID_Y_EN: 0
; COMPUTE_PGM_RSRC2:TGID_Z_EN: 0
; COMPUTE_PGM_RSRC2:TIDIG_COMP_CNT: 0
; COMPUTE_PGM_RSRC3_GFX90A:ACCUM_OFFSET: 8
; COMPUTE_PGM_RSRC3_GFX90A:TG_SPLIT: 0
	.section	.text._ZN2at6native12_GLOBAL__N_16kernel16gru_cell_forwardIffiLi2EEEvNS_4cuda6detail10TensorInfoIT_T1_EES9_S9_S9_S9_S9_S9_S8_S8_,"axG",@progbits,_ZN2at6native12_GLOBAL__N_16kernel16gru_cell_forwardIffiLi2EEEvNS_4cuda6detail10TensorInfoIT_T1_EES9_S9_S9_S9_S9_S9_S8_S8_,comdat
	.globl	_ZN2at6native12_GLOBAL__N_16kernel16gru_cell_forwardIffiLi2EEEvNS_4cuda6detail10TensorInfoIT_T1_EES9_S9_S9_S9_S9_S9_S8_S8_ ; -- Begin function _ZN2at6native12_GLOBAL__N_16kernel16gru_cell_forwardIffiLi2EEEvNS_4cuda6detail10TensorInfoIT_T1_EES9_S9_S9_S9_S9_S9_S8_S8_
	.p2align	8
	.type	_ZN2at6native12_GLOBAL__N_16kernel16gru_cell_forwardIffiLi2EEEvNS_4cuda6detail10TensorInfoIT_T1_EES9_S9_S9_S9_S9_S9_S8_S8_,@function
_ZN2at6native12_GLOBAL__N_16kernel16gru_cell_forwardIffiLi2EEEvNS_4cuda6detail10TensorInfoIT_T1_EES9_S9_S9_S9_S9_S9_S8_S8_: ; @_ZN2at6native12_GLOBAL__N_16kernel16gru_cell_forwardIffiLi2EEEvNS_4cuda6detail10TensorInfoIT_T1_EES9_S9_S9_S9_S9_S9_S8_S8_
; %bb.0:
	s_load_dword s0, s[4:5], 0x5fc
	s_load_dwordx2 s[2:3], s[4:5], 0x5e8
	s_add_u32 s26, s4, 0x5f0
	s_addc_u32 s27, s5, 0
	s_waitcnt lgkmcnt(0)
	s_and_b32 s30, s0, 0xffff
	s_mul_i32 s6, s6, s30
	v_add_u32_e32 v0, s6, v0
	v_cmp_gt_i32_e32 vcc, s3, v0
	s_and_saveexec_b64 s[0:1], vcc
	s_cbranch_execz .LBB37_9
; %bb.1:
	s_load_dwordx2 s[6:7], s[4:5], 0x0
	s_load_dword s33, s[4:5], 0xc
	s_load_dwordx2 s[8:9], s[4:5], 0x6c
	s_load_dwordx2 s[10:11], s[4:5], 0xd8
	s_load_dword s34, s[4:5], 0xe4
	s_load_dwordx2 s[12:13], s[4:5], 0x144
	;; [unrolled: 3-line block ×3, first 2 shown]
	s_load_dword s36, s[4:5], 0x2f4
	s_load_dwordx2 s[18:19], s[4:5], 0x360
	s_load_dword s31, s[4:5], 0x36c
	s_waitcnt lgkmcnt(0)
	s_cmp_lg_u64 s[14:15], 0
	s_cselect_b64 s[0:1], -1, 0
	s_abs_i32 s37, s2
	v_cvt_f32_u32_e32 v1, s37
	s_load_dwordx2 s[20:21], s[4:5], 0x3cc
	s_load_dwordx2 s[22:23], s[4:5], 0x438
	s_load_dword s55, s[4:5], 0x444
	s_load_dwordx2 s[24:25], s[4:5], 0x4a4
	s_load_dword s39, s[26:27], 0x0
	s_abs_i32 s40, s33
	v_cvt_f32_u32_e32 v2, s40
	v_rcp_iflag_f32_e32 v1, v1
	s_abs_i32 s42, s34
	s_waitcnt lgkmcnt(0)
	s_mul_i32 s39, s39, s30
	s_sub_i32 s30, 0, s37
	v_mul_f32_e32 v1, 0x4f7ffffe, v1
	v_cvt_u32_f32_e32 v1, v1
	v_rcp_iflag_f32_e32 v2, v2
	s_abs_i32 s44, s31
	s_load_dwordx2 s[26:27], s[4:5], 0x510
	s_load_dword s38, s[4:5], 0x51c
	s_load_dwordx2 s[28:29], s[4:5], 0x57c
	v_mul_lo_u32 v3, s30, v1
	v_mul_hi_u32 v3, v1, v3
	v_add_u32_e32 v1, v1, v3
	v_cvt_f32_u32_e32 v3, s42
	v_mul_f32_e32 v2, 0x4f7ffffe, v2
	v_cvt_u32_f32_e32 v2, v2
	s_sub_i32 s30, 0, s40
	v_rcp_iflag_f32_e32 v3, v3
	s_abs_i32 s47, s55
	v_mul_lo_u32 v4, s30, v2
	v_mul_hi_u32 v4, v2, v4
	v_add_u32_e32 v6, v2, v4
	v_mul_f32_e32 v2, 0x4f7ffffe, v3
	v_cvt_f32_u32_e32 v3, s44
	v_cvt_u32_f32_e32 v2, v2
	s_sub_i32 s30, 0, s42
	s_waitcnt lgkmcnt(0)
	s_abs_i32 s48, s38
	v_rcp_iflag_f32_e32 v3, v3
	v_mul_lo_u32 v4, s30, v2
	v_mul_hi_u32 v4, v2, v4
	v_add_u32_e32 v7, v2, v4
	v_mul_f32_e32 v2, 0x4f7ffffe, v3
	v_cvt_u32_f32_e32 v2, v2
	s_sub_i32 s30, 0, s44
	v_cvt_f32_u32_e32 v3, s47
	s_mov_b64 s[4:5], 0
	v_mul_lo_u32 v4, s30, v2
	v_mul_hi_u32 v4, v2, v4
	v_add_u32_e32 v8, v2, v4
	v_cvt_f32_u32_e32 v2, s48
	v_rcp_iflag_f32_e32 v3, v3
	s_sub_i32 s30, 0, s47
	s_ashr_i32 s41, s2, 31
	v_rcp_iflag_f32_e32 v2, v2
	v_mul_f32_e32 v3, 0x4f7ffffe, v3
	v_cvt_u32_f32_e32 v3, v3
	s_ashr_i32 s43, s33, 31
	v_mul_f32_e32 v2, 0x4f7ffffe, v2
	v_cvt_u32_f32_e32 v2, v2
	v_mul_lo_u32 v4, s30, v3
	v_mul_hi_u32 v4, v3, v4
	s_sub_i32 s30, 0, s48
	v_add_u32_e32 v9, v3, v4
	v_mul_lo_u32 v3, s30, v2
	v_mul_hi_u32 v3, v2, v3
	v_add_u32_e32 v10, v2, v3
	v_cndmask_b32_e64 v2, 0, 1, s[0:1]
	s_ashr_i32 s45, s34, 31
	s_ashr_i32 s46, s31, 31
	;; [unrolled: 1-line block ×4, first 2 shown]
	s_lshl_b32 s51, s2, 1
	s_lshl_b32 s52, s2, 2
	s_sub_i32 s53, 0, s2
	s_sub_i32 s54, 0, s31
	;; [unrolled: 1-line block ×3, first 2 shown]
	v_mov_b32_e32 v11, s7
	v_mov_b32_e32 v12, s11
	;; [unrolled: 1-line block ×3, first 2 shown]
	v_cmp_ne_u32_e64 s[0:1], 1, v2
	s_mov_b32 s7, 0xbfb8aa3b
	s_mov_b32 s11, 0x42ce8ed0
	;; [unrolled: 1-line block ×7, first 2 shown]
	v_mov_b32_e32 v14, 0xbd5c1c4e
	v_mov_b32_e32 v15, 0x3e088382
	;; [unrolled: 1-line block ×3, first 2 shown]
	s_brev_b32 s60, -2
	v_mov_b32_e32 v17, 0x7f800000
	s_branch .LBB37_3
.LBB37_2:                               ;   in Loop: Header=BB37_3 Depth=1
	s_or_b64 exec, exec, s[30:31]
	v_add_f32_e32 v5, v24, v26
	v_add_f32_e32 v5, v5, v27
	;; [unrolled: 1-line block ×3, first 2 shown]
	v_mul_f32_e32 v24, 0xbfb8aa3b, v5
	v_fma_f32 v26, v5, s7, -v24
	v_rndne_f32_e32 v27, v24
	v_fmac_f32_e32 v26, 0xb2a5705f, v5
	v_sub_f32_e32 v24, v24, v27
	v_add_f32_e32 v24, v24, v26
	v_cvt_i32_f32_e32 v26, v27
	v_exp_f32_e32 v24, v24
	v_cmp_nlt_f32_e32 vcc, s11, v5
	v_mul_lo_u32 v22, s52, v22
	v_add_u32_e32 v27, v0, v22
	v_ldexp_f32 v24, v24, v26
	v_cndmask_b32_e32 v24, 0, v24, vcc
	v_cmp_ngt_f32_e32 vcc, s19, v5
	v_cndmask_b32_e32 v5, v17, v24, vcc
	v_add_f32_e32 v5, 1.0, v5
	v_div_scale_f32 v24, s[30:31], v5, v5, 1.0
	v_rcp_f32_e32 v26, v24
	v_fma_f32 v28, -v24, v26, 1.0
	v_fmac_f32_e32 v26, v28, v26
	v_div_scale_f32 v28, vcc, 1.0, v5, 1.0
	v_mul_f32_e32 v29, v28, v26
	v_fma_f32 v30, -v24, v29, v28
	v_fmac_f32_e32 v29, v30, v26
	v_fma_f32 v24, -v24, v29, v28
	v_div_fmas_f32 v24, v24, v26, v29
	v_div_fixup_f32 v24, v24, v5, 1.0
	v_xor_b32_e32 v5, s49, v20
	v_mul_hi_u32 v20, v21, v9
	v_mul_lo_u32 v26, v20, s47
	v_sub_u32_e32 v21, v21, v26
	v_add_u32_e32 v26, 1, v20
	v_cmp_le_u32_e32 vcc, s47, v21
	v_cndmask_b32_e32 v20, v20, v26, vcc
	v_subrev_u32_e32 v26, s47, v21
	v_cndmask_b32_e32 v21, v21, v26, vcc
	v_add_u32_e32 v26, 1, v20
	v_cmp_le_u32_e32 vcc, s47, v21
	v_cndmask_b32_e32 v20, v20, v26, vcc
	v_xor_b32_e32 v20, v20, v5
	v_sub_u32_e32 v5, v20, v5
	v_mad_u64_u32 v[20:21], s[30:31], s55, v5, v[0:1]
	v_mul_lo_u32 v20, v20, s25
	v_mad_u64_u32 v[20:21], s[30:31], v5, s24, v[20:21]
	v_ashrrev_i32_e32 v21, 31, v20
	v_lshlrev_b64 v[20:21], 2, v[20:21]
	v_bfi_b32 v26, s60, v4, v2
	v_mov_b32_e32 v5, s23
	v_add_co_u32_e32 v20, vcc, s22, v20
	v_sub_f32_e32 v2, v23, v26
	v_addc_co_u32_e32 v21, vcc, v5, v21, vcc
	v_fma_f32 v2, v24, v2, v26
	global_store_dword v[20:21], v2, off
	v_ashrrev_i32_e32 v2, 31, v27
	v_add3_u32 v5, v2, v22, v0
	v_xor_b32_e32 v4, s50, v2
	v_xor_b32_e32 v2, v5, v2
	v_mul_hi_u32 v5, v2, v10
	v_mul_lo_u32 v20, v5, s48
	v_sub_u32_e32 v2, v2, v20
	v_add_u32_e32 v20, 1, v5
	v_cmp_le_u32_e32 vcc, s48, v2
	v_cndmask_b32_e32 v5, v5, v20, vcc
	v_subrev_u32_e32 v20, s48, v2
	v_cndmask_b32_e32 v2, v2, v20, vcc
	v_add_u32_e32 v20, 1, v5
	v_cmp_le_u32_e32 vcc, s48, v2
	v_cndmask_b32_e32 v2, v5, v20, vcc
	v_xor_b32_e32 v2, v2, v4
	v_sub_u32_e32 v4, v2, v4
	v_mul_lo_u32 v2, v4, s38
	v_sub_u32_e32 v2, v22, v2
	v_add_u32_e32 v2, v0, v2
	v_mul_lo_u32 v2, v2, s29
	v_mad_u64_u32 v[4:5], s[30:31], v4, s28, v[2:3]
	v_ashrrev_i32_e32 v5, 31, v4
	v_lshlrev_b64 v[4:5], 2, v[4:5]
	v_mov_b32_e32 v20, s27
	v_add_co_u32_e32 v4, vcc, s26, v4
	v_addc_co_u32_e32 v5, vcc, v20, v5, vcc
	global_store_dword v[4:5], v25, off
	v_lshlrev_b32_e32 v2, 2, v19
	v_lshlrev_b32_e32 v4, 2, v18
	v_sub_u32_e32 v18, v2, v4
	v_or_b32_e32 v2, 1, v18
	v_mul_lo_u32 v2, s2, v2
	v_add_u32_e32 v4, v0, v2
	v_ashrrev_i32_e32 v4, 31, v4
	v_add3_u32 v19, v4, v2, v0
	v_xor_b32_e32 v5, s50, v4
	v_xor_b32_e32 v4, v19, v4
	v_mul_hi_u32 v19, v4, v10
	v_mul_lo_u32 v21, v19, s48
	v_sub_u32_e32 v4, v4, v21
	v_add_u32_e32 v21, 1, v19
	v_cmp_le_u32_e32 vcc, s48, v4
	v_cndmask_b32_e32 v19, v19, v21, vcc
	v_subrev_u32_e32 v21, s48, v4
	v_cndmask_b32_e32 v4, v4, v21, vcc
	v_add_u32_e32 v21, 1, v19
	v_cmp_le_u32_e32 vcc, s48, v4
	v_cndmask_b32_e32 v4, v19, v21, vcc
	v_xor_b32_e32 v4, v4, v5
	v_sub_u32_e32 v4, v4, v5
	v_mul_lo_u32 v5, v4, s38
	v_sub_u32_e32 v2, v2, v5
	v_add_u32_e32 v2, v0, v2
	v_mul_lo_u32 v2, v2, s29
	v_mad_u64_u32 v[4:5], s[30:31], v4, s28, v[2:3]
	v_ashrrev_i32_e32 v5, 31, v4
	v_lshlrev_b64 v[4:5], 2, v[4:5]
	v_add_co_u32_e32 v4, vcc, s26, v4
	v_or_b32_e32 v2, 2, v18
	v_addc_co_u32_e32 v5, vcc, v20, v5, vcc
	v_mul_lo_u32 v2, s2, v2
	global_store_dword v[4:5], v24, off
	v_add_u32_e32 v4, v0, v2
	v_ashrrev_i32_e32 v4, 31, v4
	v_add3_u32 v19, v4, v2, v0
	v_xor_b32_e32 v5, s50, v4
	v_xor_b32_e32 v4, v19, v4
	v_mul_hi_u32 v19, v4, v10
	v_mul_lo_u32 v21, v19, s48
	v_sub_u32_e32 v4, v4, v21
	v_add_u32_e32 v21, 1, v19
	v_cmp_le_u32_e32 vcc, s48, v4
	v_cndmask_b32_e32 v19, v19, v21, vcc
	v_subrev_u32_e32 v21, s48, v4
	v_cndmask_b32_e32 v4, v4, v21, vcc
	v_add_u32_e32 v21, 1, v19
	v_cmp_le_u32_e32 vcc, s48, v4
	v_cndmask_b32_e32 v4, v19, v21, vcc
	v_xor_b32_e32 v4, v4, v5
	v_sub_u32_e32 v4, v4, v5
	v_mul_lo_u32 v5, v4, s38
	v_sub_u32_e32 v2, v2, v5
	v_add_u32_e32 v2, v0, v2
	v_mul_lo_u32 v2, v2, s29
	v_mad_u64_u32 v[4:5], s[30:31], v4, s28, v[2:3]
	v_ashrrev_i32_e32 v5, 31, v4
	v_lshlrev_b64 v[4:5], 2, v[4:5]
	v_add_co_u32_e32 v4, vcc, s26, v4
	v_or_b32_e32 v2, 3, v18
	v_addc_co_u32_e32 v5, vcc, v20, v5, vcc
	v_mul_lo_u32 v2, s2, v2
	global_store_dword v[4:5], v26, off
	v_add_u32_e32 v4, v0, v2
	v_ashrrev_i32_e32 v4, 31, v4
	v_add3_u32 v19, v4, v2, v0
	v_xor_b32_e32 v5, s50, v4
	v_xor_b32_e32 v4, v19, v4
	v_mul_hi_u32 v19, v4, v10
	v_mul_lo_u32 v21, v19, s48
	v_sub_u32_e32 v4, v4, v21
	v_add_u32_e32 v21, 1, v19
	v_cmp_le_u32_e32 vcc, s48, v4
	v_cndmask_b32_e32 v19, v19, v21, vcc
	v_subrev_u32_e32 v21, s48, v4
	v_cndmask_b32_e32 v4, v4, v21, vcc
	v_add_u32_e32 v21, 1, v19
	v_cmp_le_u32_e32 vcc, s48, v4
	v_cndmask_b32_e32 v4, v19, v21, vcc
	v_xor_b32_e32 v4, v4, v5
	v_sub_u32_e32 v4, v4, v5
	v_mul_lo_u32 v5, v4, s38
	v_sub_u32_e32 v2, v2, v5
	v_add_u32_e32 v2, v0, v2
	v_mul_lo_u32 v2, v2, s29
	v_mad_u64_u32 v[4:5], s[30:31], v4, s28, v[2:3]
	v_ashrrev_i32_e32 v5, 31, v4
	v_lshlrev_b64 v[4:5], 2, v[4:5]
	v_add_co_u32_e32 v4, vcc, s26, v4
	v_add_u32_e32 v2, 4, v18
	v_addc_co_u32_e32 v5, vcc, v20, v5, vcc
	v_mul_lo_u32 v2, s2, v2
	global_store_dword v[4:5], v23, off
	v_add_u32_e32 v4, v0, v2
	v_ashrrev_i32_e32 v4, 31, v4
	v_add3_u32 v18, v4, v2, v0
	v_xor_b32_e32 v5, s50, v4
	v_xor_b32_e32 v4, v18, v4
	v_mul_hi_u32 v18, v4, v10
	v_mul_lo_u32 v19, v18, s48
	v_sub_u32_e32 v4, v4, v19
	v_add_u32_e32 v19, 1, v18
	v_cmp_le_u32_e32 vcc, s48, v4
	v_cndmask_b32_e32 v18, v18, v19, vcc
	v_subrev_u32_e32 v19, s48, v4
	v_cndmask_b32_e32 v4, v4, v19, vcc
	v_add_u32_e32 v19, 1, v18
	v_cmp_le_u32_e32 vcc, s48, v4
	v_cndmask_b32_e32 v4, v18, v19, vcc
	v_xor_b32_e32 v4, v4, v5
	v_sub_u32_e32 v4, v4, v5
	v_mul_lo_u32 v5, v4, s38
	v_sub_u32_e32 v2, v2, v5
	v_add_u32_e32 v2, v0, v2
	v_mul_lo_u32 v2, v2, s29
	v_mad_u64_u32 v[4:5], s[30:31], v4, s28, v[2:3]
	v_ashrrev_i32_e32 v5, 31, v4
	v_lshlrev_b64 v[4:5], 2, v[4:5]
	v_add_co_u32_e32 v4, vcc, s26, v4
	v_addc_co_u32_e32 v5, vcc, v20, v5, vcc
	v_add_u32_e32 v0, s39, v0
	v_cmp_le_i32_e32 vcc, s3, v0
	s_or_b64 s[4:5], vcc, s[4:5]
	global_store_dword v[4:5], v3, off
	s_andn2_b64 exec, exec, s[4:5]
	s_cbranch_execz .LBB37_9
.LBB37_3:                               ; =>This Inner Loop Header: Depth=1
	v_sub_u32_e32 v2, 0, v0
	v_max_i32_e32 v21, v0, v2
	v_mul_hi_u32 v2, v21, v1
	v_mul_lo_u32 v3, v2, s37
	v_sub_u32_e32 v3, v21, v3
	v_add_u32_e32 v4, 1, v2
	v_cmp_le_u32_e32 vcc, s37, v3
	v_cndmask_b32_e32 v2, v2, v4, vcc
	v_subrev_u32_e32 v4, s37, v3
	v_cndmask_b32_e32 v3, v3, v4, vcc
	v_ashrrev_i32_e32 v20, 31, v0
	v_add_u32_e32 v4, 1, v2
	v_cmp_le_u32_e32 vcc, s37, v3
	v_xor_b32_e32 v18, s41, v20
	v_cndmask_b32_e32 v2, v2, v4, vcc
	v_xor_b32_e32 v19, v2, v18
	v_sub_u32_e32 v22, v19, v18
	v_mul_lo_u32 v23, s51, v22
	v_add_u32_e32 v2, v0, v23
	v_ashrrev_i32_e32 v28, 31, v2
	v_add3_u32 v3, v28, v23, v0
	v_xor_b32_e32 v29, v3, v28
	v_mul_hi_u32 v3, v29, v6
	v_mul_lo_u32 v4, v3, s40
	v_sub_u32_e32 v4, v29, v4
	v_add_u32_e32 v5, 1, v3
	v_cmp_le_u32_e32 vcc, s40, v4
	v_cndmask_b32_e32 v3, v3, v5, vcc
	v_subrev_u32_e32 v5, s40, v4
	v_cndmask_b32_e32 v4, v4, v5, vcc
	v_add_u32_e32 v5, 1, v3
	v_cmp_le_u32_e32 vcc, s40, v4
	v_xor_b32_e32 v2, s43, v28
	v_cndmask_b32_e32 v3, v3, v5, vcc
	v_xor_b32_e32 v3, v3, v2
	v_lshlrev_b32_e32 v4, 1, v19
	v_lshlrev_b32_e32 v5, 1, v18
	v_sub_u32_e32 v3, v3, v2
	v_sub_u32_e32 v24, v4, v5
	v_mul_lo_u32 v2, v3, s33
	v_or_b32_e32 v4, 1, v24
	v_sub_u32_e32 v2, v23, v2
	v_mul_lo_u32 v30, s2, v4
	v_add_u32_e32 v2, v0, v2
	v_add_u32_e32 v4, v0, v30
	v_mul_lo_u32 v2, v2, s9
	v_ashrrev_i32_e32 v31, 31, v4
	v_mad_u64_u32 v[2:3], s[30:31], v3, s8, v[2:3]
	v_add3_u32 v5, v31, v30, v0
	v_ashrrev_i32_e32 v3, 31, v2
	v_xor_b32_e32 v32, v5, v31
	v_lshlrev_b64 v[2:3], 2, v[2:3]
	v_mul_hi_u32 v5, v32, v6
	v_add_co_u32_e32 v2, vcc, s6, v2
	v_mul_lo_u32 v25, v5, s40
	v_addc_co_u32_e32 v3, vcc, v11, v3, vcc
	v_sub_u32_e32 v25, v32, v25
	v_add_u32_e32 v26, 1, v5
	v_cmp_le_u32_e32 vcc, s40, v25
	v_cndmask_b32_e32 v5, v5, v26, vcc
	v_subrev_u32_e32 v26, s40, v25
	v_cndmask_b32_e32 v25, v25, v26, vcc
	v_add_u32_e32 v26, 1, v5
	v_cmp_le_u32_e32 vcc, s40, v25
	v_xor_b32_e32 v4, s43, v31
	v_cndmask_b32_e32 v5, v5, v26, vcc
	v_xor_b32_e32 v5, v5, v4
	v_sub_u32_e32 v5, v5, v4
	v_mul_lo_u32 v4, v5, s33
	v_add_u32_e32 v24, 2, v24
	v_sub_u32_e32 v4, v30, v4
	v_mul_lo_u32 v33, s2, v24
	v_add_u32_e32 v4, v0, v4
	v_add_u32_e32 v24, v0, v33
	v_mul_lo_u32 v4, v4, s9
	v_ashrrev_i32_e32 v34, 31, v24
	v_mad_u64_u32 v[4:5], s[30:31], v5, s8, v[4:5]
	v_add3_u32 v25, v34, v33, v0
	v_ashrrev_i32_e32 v5, 31, v4
	v_xor_b32_e32 v35, v25, v34
	v_lshlrev_b64 v[4:5], 2, v[4:5]
	v_mul_hi_u32 v25, v35, v6
	v_add_co_u32_e32 v4, vcc, s6, v4
	v_mul_lo_u32 v26, v25, s40
	v_addc_co_u32_e32 v5, vcc, v11, v5, vcc
	v_sub_u32_e32 v26, v35, v26
	v_add_u32_e32 v27, 1, v25
	v_cmp_le_u32_e32 vcc, s40, v26
	v_cndmask_b32_e32 v25, v25, v27, vcc
	v_subrev_u32_e32 v27, s40, v26
	v_cndmask_b32_e32 v26, v26, v27, vcc
	v_add_u32_e32 v27, 1, v25
	v_cmp_le_u32_e32 vcc, s40, v26
	v_xor_b32_e32 v24, s43, v34
	v_cndmask_b32_e32 v25, v25, v27, vcc
	v_xor_b32_e32 v25, v25, v24
	v_sub_u32_e32 v25, v25, v24
	v_mul_lo_u32 v24, v25, s33
	v_sub_u32_e32 v24, v33, v24
	v_add_u32_e32 v24, v0, v24
	v_mul_lo_u32 v24, v24, s9
	v_mad_u64_u32 v[24:25], s[30:31], v25, s8, v[24:25]
	v_ashrrev_i32_e32 v25, 31, v24
	v_lshlrev_b64 v[24:25], 2, v[24:25]
	v_add_co_u32_e32 v26, vcc, s6, v24
	v_addc_co_u32_e32 v27, vcc, v11, v25, vcc
	global_load_dword v25, v[2:3], off
	global_load_dword v24, v[4:5], off
	s_nop 0
	global_load_dword v2, v[26:27], off
	v_mul_hi_u32 v4, v29, v7
	v_mul_lo_u32 v5, v4, s42
	v_sub_u32_e32 v5, v29, v5
	v_add_u32_e32 v26, 1, v4
	v_cmp_le_u32_e32 vcc, s42, v5
	v_cndmask_b32_e32 v4, v4, v26, vcc
	v_subrev_u32_e32 v26, s42, v5
	v_cndmask_b32_e32 v5, v5, v26, vcc
	v_add_u32_e32 v26, 1, v4
	v_cmp_le_u32_e32 vcc, s42, v5
	v_xor_b32_e32 v3, s45, v28
	v_cndmask_b32_e32 v4, v4, v26, vcc
	v_xor_b32_e32 v4, v4, v3
	v_sub_u32_e32 v3, v4, v3
	v_mul_lo_u32 v4, v3, s34
	v_sub_u32_e32 v4, v23, v4
	v_add_u32_e32 v4, v0, v4
	v_mul_lo_u32 v4, v4, s13
	v_mad_u64_u32 v[4:5], s[30:31], v3, s12, v[4:5]
	v_ashrrev_i32_e32 v5, 31, v4
	v_lshlrev_b64 v[4:5], 2, v[4:5]
	v_mul_hi_u32 v23, v32, v7
	v_add_co_u32_e32 v4, vcc, s10, v4
	v_mul_lo_u32 v26, v23, s42
	v_addc_co_u32_e32 v5, vcc, v12, v5, vcc
	v_sub_u32_e32 v26, v32, v26
	v_add_u32_e32 v27, 1, v23
	v_cmp_le_u32_e32 vcc, s42, v26
	v_cndmask_b32_e32 v23, v23, v27, vcc
	v_subrev_u32_e32 v27, s42, v26
	v_cndmask_b32_e32 v26, v26, v27, vcc
	v_add_u32_e32 v27, 1, v23
	v_cmp_le_u32_e32 vcc, s42, v26
	v_xor_b32_e32 v3, s45, v31
	v_cndmask_b32_e32 v23, v23, v27, vcc
	v_xor_b32_e32 v23, v23, v3
	v_sub_u32_e32 v3, v23, v3
	v_mul_lo_u32 v23, v3, s34
	v_sub_u32_e32 v23, v30, v23
	v_add_u32_e32 v23, v0, v23
	v_mul_lo_u32 v26, v23, s13
	v_mad_u64_u32 v[26:27], s[30:31], v3, s12, v[26:27]
	v_ashrrev_i32_e32 v27, 31, v26
	v_lshlrev_b64 v[26:27], 2, v[26:27]
	v_mul_hi_u32 v23, v35, v7
	v_add_co_u32_e32 v26, vcc, s10, v26
	v_mul_lo_u32 v28, v23, s42
	v_addc_co_u32_e32 v27, vcc, v12, v27, vcc
	v_sub_u32_e32 v28, v35, v28
	v_add_u32_e32 v29, 1, v23
	v_cmp_le_u32_e32 vcc, s42, v28
	v_cndmask_b32_e32 v23, v23, v29, vcc
	v_subrev_u32_e32 v29, s42, v28
	v_cndmask_b32_e32 v28, v28, v29, vcc
	v_add_u32_e32 v29, 1, v23
	v_cmp_le_u32_e32 vcc, s42, v28
	v_xor_b32_e32 v3, s45, v34
	v_cndmask_b32_e32 v23, v23, v29, vcc
	v_xor_b32_e32 v23, v23, v3
	v_sub_u32_e32 v3, v23, v3
	v_mul_lo_u32 v23, v3, s34
	v_sub_u32_e32 v23, v33, v23
	v_add_u32_e32 v23, v0, v23
	v_mul_lo_u32 v28, v23, s13
	v_mad_u64_u32 v[28:29], s[30:31], v3, s12, v[28:29]
	v_ashrrev_i32_e32 v29, 31, v28
	v_lshlrev_b64 v[28:29], 2, v[28:29]
	v_add_co_u32_e32 v30, vcc, s10, v28
	v_addc_co_u32_e32 v31, vcc, v12, v29, vcc
	global_load_dword v28, v[4:5], off
	s_nop 0
	global_load_dword v26, v[26:27], off
	s_nop 0
	global_load_dword v3, v[30:31], off
	v_mul_hi_u32 v5, v21, v8
	v_mul_lo_u32 v23, v5, s44
	v_sub_u32_e32 v23, v21, v23
	v_add_u32_e32 v27, 1, v5
	v_cmp_le_u32_e32 vcc, s44, v23
	v_cndmask_b32_e32 v5, v5, v27, vcc
	v_subrev_u32_e32 v27, s44, v23
	v_cndmask_b32_e32 v23, v23, v27, vcc
	v_add_u32_e32 v27, 1, v5
	v_cmp_le_u32_e32 vcc, s44, v23
	v_xor_b32_e32 v4, s46, v20
	v_cndmask_b32_e32 v5, v5, v27, vcc
	v_xor_b32_e32 v5, v5, v4
	v_sub_u32_e32 v23, v5, v4
	v_mad_u64_u32 v[4:5], s[30:31], s54, v23, v[0:1]
	v_mul_lo_u32 v4, v4, s21
	v_mad_u64_u32 v[4:5], s[30:31], v23, s20, v[4:5]
	v_ashrrev_i32_e32 v5, 31, v4
	v_lshlrev_b64 v[4:5], 2, v[4:5]
	v_add_co_u32_e32 v4, vcc, s18, v4
	v_addc_co_u32_e32 v5, vcc, v13, v5, vcc
	global_load_dword v23, v[4:5], off
	s_and_b64 vcc, exec, s[0:1]
	v_mov_b32_e32 v27, 0
	v_mov_b32_e32 v31, 0
	;; [unrolled: 1-line block ×6, first 2 shown]
	s_cbranch_vccnz .LBB37_5
; %bb.4:                                ;   in Loop: Header=BB37_3 Depth=1
	v_mad_u64_u32 v[32:33], s[30:31], s53, v22, v[0:1]
	v_sub_u32_e32 v29, v18, v19
	v_mul_lo_u32 v4, v32, s35
	v_mul_lo_u32 v30, s2, v29
	v_ashrrev_i32_e32 v5, 31, v4
	v_add3_u32 v40, v30, s2, v0
	v_lshlrev_b64 v[4:5], 2, v[4:5]
	v_mul_lo_u32 v30, v40, s35
	v_mov_b32_e32 v27, s15
	v_add_co_u32_e32 v4, vcc, s14, v4
	v_ashrrev_i32_e32 v31, 31, v30
	v_add_u32_e32 v29, 2, v29
	v_addc_co_u32_e32 v5, vcc, v27, v5, vcc
	v_lshlrev_b64 v[30:31], 2, v[30:31]
	v_mad_u64_u32 v[36:37], s[30:31], s2, v29, v[0:1]
	v_add_co_u32_e32 v34, vcc, s14, v30
	v_mul_lo_u32 v30, v36, s35
	v_addc_co_u32_e32 v35, vcc, v27, v31, vcc
	v_ashrrev_i32_e32 v31, 31, v30
	v_lshlrev_b64 v[30:31], 2, v[30:31]
	v_mul_lo_u32 v32, v32, s36
	v_add_co_u32_e32 v38, vcc, s14, v30
	v_ashrrev_i32_e32 v33, 31, v32
	v_addc_co_u32_e32 v39, vcc, v27, v31, vcc
	global_load_dword v30, v[4:5], off
	global_load_dword v27, v[34:35], off
	s_nop 0
	global_load_dword v4, v[38:39], off
	v_lshlrev_b64 v[32:33], 2, v[32:33]
	v_mul_lo_u32 v34, v40, s36
	v_mov_b32_e32 v5, s17
	v_add_co_u32_e32 v32, vcc, s16, v32
	v_ashrrev_i32_e32 v35, 31, v34
	v_addc_co_u32_e32 v33, vcc, v5, v33, vcc
	v_lshlrev_b64 v[34:35], 2, v[34:35]
	v_mul_lo_u32 v36, v36, s36
	v_add_co_u32_e32 v34, vcc, s16, v34
	v_ashrrev_i32_e32 v37, 31, v36
	v_addc_co_u32_e32 v35, vcc, v5, v35, vcc
	v_lshlrev_b64 v[36:37], 2, v[36:37]
	v_add_co_u32_e32 v36, vcc, s16, v36
	v_addc_co_u32_e32 v37, vcc, v5, v37, vcc
	global_load_dword v31, v[32:33], off
	global_load_dword v29, v[34:35], off
	;; [unrolled: 1-line block ×3, first 2 shown]
.LBB37_5:                               ;   in Loop: Header=BB37_3 Depth=1
	s_waitcnt vmcnt(3)
	v_add_f32_e32 v25, v25, v28
	v_add_f32_e32 v25, v25, v30
	s_waitcnt vmcnt(2)
	v_add_f32_e32 v25, v31, v25
	v_mul_f32_e32 v28, 0xbfb8aa3b, v25
	v_fma_f32 v30, v25, s7, -v28
	v_rndne_f32_e32 v31, v28
	v_fmac_f32_e32 v30, 0xb2a5705f, v25
	v_sub_f32_e32 v28, v28, v31
	v_add_f32_e32 v28, v28, v30
	v_cvt_i32_f32_e32 v30, v31
	v_exp_f32_e32 v28, v28
	v_cmp_nlt_f32_e32 vcc, s11, v25
	s_waitcnt vmcnt(0)
	v_pk_add_f32 v[2:3], v[2:3], v[4:5]
                                        ; implicit-def: $vgpr4
	v_ldexp_f32 v28, v28, v30
	v_cndmask_b32_e32 v28, 0, v28, vcc
	v_cmp_ngt_f32_e32 vcc, s19, v25
	v_cndmask_b32_e32 v25, v17, v28, vcc
	v_add_f32_e32 v25, 1.0, v25
	v_div_scale_f32 v28, s[30:31], v25, v25, 1.0
	v_rcp_f32_e32 v30, v28
	v_fma_f32 v31, -v28, v30, 1.0
	v_fmac_f32_e32 v30, v31, v30
	v_div_scale_f32 v31, vcc, 1.0, v25, 1.0
	v_mul_f32_e32 v32, v31, v30
	v_fma_f32 v33, -v28, v32, v31
	v_fmac_f32_e32 v32, v33, v30
	v_fma_f32 v28, -v28, v32, v31
	v_div_fmas_f32 v28, v28, v30, v32
	v_div_fixup_f32 v25, v28, v25, 1.0
	v_fma_f32 v2, v3, v25, v2
	v_cmp_nlt_f32_e64 s[30:31], |v2|, s56
	s_and_saveexec_b64 s[62:63], s[30:31]
	s_xor_b64 s[30:31], exec, s[62:63]
	s_cbranch_execz .LBB37_7
; %bb.6:                                ;   in Loop: Header=BB37_3 Depth=1
	v_add_f32_e64 v4, |v2|, |v2|
	v_mul_f32_e32 v5, 0x3fb8aa3b, v4
	v_rndne_f32_e32 v28, v5
	v_sub_f32_e32 v30, v5, v28
	v_fma_f32 v5, v4, s57, -v5
	v_fmac_f32_e32 v5, 0x32a5705f, v4
	v_add_f32_e32 v5, v30, v5
	v_cvt_i32_f32_e32 v28, v28
	v_exp_f32_e32 v5, v5
	v_cmp_ngt_f32_e32 vcc, s58, v4
	v_ldexp_f32 v5, v5, v28
	v_cndmask_b32_e32 v5, 0, v5, vcc
	v_cmp_nlt_f32_e32 vcc, s59, v4
	v_cndmask_b32_e32 v4, v17, v5, vcc
	v_add_f32_e32 v4, 1.0, v4
	v_rcp_f32_e32 v4, v4
	v_fma_f32 v4, v4, -2.0, 1.0
.LBB37_7:                               ;   in Loop: Header=BB37_3 Depth=1
	s_andn2_saveexec_b64 s[30:31], s[30:31]
	s_cbranch_execz .LBB37_2
; %bb.8:                                ;   in Loop: Header=BB37_3 Depth=1
	v_mul_f32_e32 v4, v2, v2
	v_mov_b32_e32 v5, 0x3ca908c9
	v_fmac_f32_e32 v5, 0xbbbac73d, v4
	v_fma_f32 v5, v4, v5, v14
	v_fma_f32 v5, v4, v5, v15
	;; [unrolled: 1-line block ×3, first 2 shown]
	v_mul_f32_e64 v5, |v2|, v5
	v_fma_f32 v4, v4, v5, |v2|
	s_branch .LBB37_2
.LBB37_9:
	s_endpgm
	.section	.rodata,"a",@progbits
	.p2align	6, 0x0
	.amdhsa_kernel _ZN2at6native12_GLOBAL__N_16kernel16gru_cell_forwardIffiLi2EEEvNS_4cuda6detail10TensorInfoIT_T1_EES9_S9_S9_S9_S9_S9_S8_S8_
		.amdhsa_group_segment_fixed_size 0
		.amdhsa_private_segment_fixed_size 0
		.amdhsa_kernarg_size 1776
		.amdhsa_user_sgpr_count 6
		.amdhsa_user_sgpr_private_segment_buffer 1
		.amdhsa_user_sgpr_dispatch_ptr 0
		.amdhsa_user_sgpr_queue_ptr 0
		.amdhsa_user_sgpr_kernarg_segment_ptr 1
		.amdhsa_user_sgpr_dispatch_id 0
		.amdhsa_user_sgpr_flat_scratch_init 0
		.amdhsa_user_sgpr_kernarg_preload_length 0
		.amdhsa_user_sgpr_kernarg_preload_offset 0
		.amdhsa_user_sgpr_private_segment_size 0
		.amdhsa_uses_dynamic_stack 0
		.amdhsa_system_sgpr_private_segment_wavefront_offset 0
		.amdhsa_system_sgpr_workgroup_id_x 1
		.amdhsa_system_sgpr_workgroup_id_y 0
		.amdhsa_system_sgpr_workgroup_id_z 0
		.amdhsa_system_sgpr_workgroup_info 0
		.amdhsa_system_vgpr_workitem_id 0
		.amdhsa_next_free_vgpr 41
		.amdhsa_next_free_sgpr 64
		.amdhsa_accum_offset 44
		.amdhsa_reserve_vcc 1
		.amdhsa_reserve_flat_scratch 0
		.amdhsa_float_round_mode_32 0
		.amdhsa_float_round_mode_16_64 0
		.amdhsa_float_denorm_mode_32 3
		.amdhsa_float_denorm_mode_16_64 3
		.amdhsa_dx10_clamp 1
		.amdhsa_ieee_mode 1
		.amdhsa_fp16_overflow 0
		.amdhsa_tg_split 0
		.amdhsa_exception_fp_ieee_invalid_op 0
		.amdhsa_exception_fp_denorm_src 0
		.amdhsa_exception_fp_ieee_div_zero 0
		.amdhsa_exception_fp_ieee_overflow 0
		.amdhsa_exception_fp_ieee_underflow 0
		.amdhsa_exception_fp_ieee_inexact 0
		.amdhsa_exception_int_div_zero 0
	.end_amdhsa_kernel
	.section	.text._ZN2at6native12_GLOBAL__N_16kernel16gru_cell_forwardIffiLi2EEEvNS_4cuda6detail10TensorInfoIT_T1_EES9_S9_S9_S9_S9_S9_S8_S8_,"axG",@progbits,_ZN2at6native12_GLOBAL__N_16kernel16gru_cell_forwardIffiLi2EEEvNS_4cuda6detail10TensorInfoIT_T1_EES9_S9_S9_S9_S9_S9_S8_S8_,comdat
.Lfunc_end37:
	.size	_ZN2at6native12_GLOBAL__N_16kernel16gru_cell_forwardIffiLi2EEEvNS_4cuda6detail10TensorInfoIT_T1_EES9_S9_S9_S9_S9_S9_S8_S8_, .Lfunc_end37-_ZN2at6native12_GLOBAL__N_16kernel16gru_cell_forwardIffiLi2EEEvNS_4cuda6detail10TensorInfoIT_T1_EES9_S9_S9_S9_S9_S9_S8_S8_
                                        ; -- End function
	.section	.AMDGPU.csdata,"",@progbits
; Kernel info:
; codeLenInByte = 3540
; NumSgprs: 68
; NumVgprs: 41
; NumAgprs: 0
; TotalNumVgprs: 41
; ScratchSize: 0
; MemoryBound: 0
; FloatMode: 240
; IeeeMode: 1
; LDSByteSize: 0 bytes/workgroup (compile time only)
; SGPRBlocks: 8
; VGPRBlocks: 5
; NumSGPRsForWavesPerEU: 68
; NumVGPRsForWavesPerEU: 41
; AccumOffset: 44
; Occupancy: 8
; WaveLimiterHint : 1
; COMPUTE_PGM_RSRC2:SCRATCH_EN: 0
; COMPUTE_PGM_RSRC2:USER_SGPR: 6
; COMPUTE_PGM_RSRC2:TRAP_HANDLER: 0
; COMPUTE_PGM_RSRC2:TGID_X_EN: 1
; COMPUTE_PGM_RSRC2:TGID_Y_EN: 0
; COMPUTE_PGM_RSRC2:TGID_Z_EN: 0
; COMPUTE_PGM_RSRC2:TIDIG_COMP_CNT: 0
; COMPUTE_PGM_RSRC3_GFX90A:ACCUM_OFFSET: 10
; COMPUTE_PGM_RSRC3_GFX90A:TG_SPLIT: 0
	.section	.text._ZN2at6native12_GLOBAL__N_16kernel16gru_cell_forwardIfflLi1EEEvNS_4cuda6detail10TensorInfoIT_T1_EES9_S9_S9_S9_S9_S9_S8_S8_,"axG",@progbits,_ZN2at6native12_GLOBAL__N_16kernel16gru_cell_forwardIfflLi1EEEvNS_4cuda6detail10TensorInfoIT_T1_EES9_S9_S9_S9_S9_S9_S8_S8_,comdat
	.globl	_ZN2at6native12_GLOBAL__N_16kernel16gru_cell_forwardIfflLi1EEEvNS_4cuda6detail10TensorInfoIT_T1_EES9_S9_S9_S9_S9_S9_S8_S8_ ; -- Begin function _ZN2at6native12_GLOBAL__N_16kernel16gru_cell_forwardIfflLi1EEEvNS_4cuda6detail10TensorInfoIT_T1_EES9_S9_S9_S9_S9_S9_S8_S8_
	.p2align	8
	.type	_ZN2at6native12_GLOBAL__N_16kernel16gru_cell_forwardIfflLi1EEEvNS_4cuda6detail10TensorInfoIT_T1_EES9_S9_S9_S9_S9_S9_S8_S8_,@function
_ZN2at6native12_GLOBAL__N_16kernel16gru_cell_forwardIfflLi1EEEvNS_4cuda6detail10TensorInfoIT_T1_EES9_S9_S9_S9_S9_S9_S8_S8_: ; @_ZN2at6native12_GLOBAL__N_16kernel16gru_cell_forwardIfflLi1EEEvNS_4cuda6detail10TensorInfoIT_T1_EES9_S9_S9_S9_S9_S9_S8_S8_
; %bb.0:
	s_load_dword s2, s[4:5], 0xb7c
	s_load_dwordx4 s[8:11], s[4:5], 0xb60
	s_add_u32 s0, s4, 0xb70
	s_addc_u32 s1, s5, 0
	v_mov_b32_e32 v2, 0
	s_waitcnt lgkmcnt(0)
	s_and_b32 s30, s2, 0xffff
	s_mul_i32 s6, s6, s30
	v_add_u32_e32 v0, s6, v0
	v_mov_b32_e32 v1, v2
	v_cmp_gt_i64_e32 vcc, s[10:11], v[0:1]
	s_and_saveexec_b64 s[2:3], vcc
	s_cbranch_execz .LBB38_13
; %bb.1:
	s_load_dwordx2 s[2:3], s[4:5], 0x0
	s_load_dwordx2 s[6:7], s[4:5], 0xd0
	;; [unrolled: 1-line block ×12, first 2 shown]
	s_load_dword s31, s[0:1], 0x0
	s_load_dwordx2 s[24:25], s[4:5], 0x9c0
	s_load_dwordx2 s[26:27], s[4:5], 0xa90
	s_waitcnt lgkmcnt(0)
	s_cmp_lg_u64 s[16:17], 0
	v_mul_lo_u32 v3, 0, s38
	v_mul_lo_u32 v6, v0, s39
	v_mad_u64_u32 v[4:5], s[0:1], v0, s38, 0
	s_cselect_b64 s[28:29], -1, 0
	s_mul_i32 s33, s31, s30
	s_lshl_b64 s[30:31], s[8:9], 1
	s_lshl_b64 s[34:35], s[8:9], 2
	v_add3_u32 v5, v5, v6, v3
	s_sub_u32 s47, 0, s8
	v_lshlrev_b64 v[4:5], 2, v[4:5]
	s_mul_i32 s0, s33, s39
	s_mul_hi_u32 s1, s33, s38
	s_subb_u32 s48, 0, s9
	v_mov_b32_e32 v3, s37
	v_add_co_u32_e32 v4, vcc, s36, v4
	s_add_i32 s1, s1, s0
	s_mul_i32 s0, s33, s38
	v_addc_co_u32_e32 v5, vcc, v3, v5, vcc
	s_lshl_b64 s[36:37], s[0:1], 2
	v_mul_lo_u32 v3, 0, s42
	v_mul_lo_u32 v8, v0, s43
	v_mad_u64_u32 v[6:7], s[0:1], v0, s42, 0
	v_add3_u32 v7, v7, v8, v3
	v_lshlrev_b64 v[6:7], 2, v[6:7]
	s_mul_i32 s0, s33, s43
	s_mul_hi_u32 s1, s33, s42
	v_mov_b32_e32 v3, s41
	v_add_co_u32_e32 v6, vcc, s40, v6
	s_add_i32 s1, s1, s0
	s_mul_i32 s0, s33, s42
	s_mov_b64 s[4:5], 0
	s_mov_b32 s46, 0
	v_addc_co_u32_e32 v7, vcc, v3, v7, vcc
	s_lshl_b64 s[38:39], s[0:1], 2
	s_mov_b32 s49, 0xbfb8aa3b
	s_mov_b32 s50, 0x42ce8ed0
	;; [unrolled: 1-line block ×7, first 2 shown]
	v_mov_b32_e32 v14, 0xbd5c1c4e
	v_mov_b32_e32 v15, 0x3e088382
	;; [unrolled: 1-line block ×3, first 2 shown]
	s_brev_b32 s56, -2
	v_mov_b32_e32 v17, 0x7f800000
	s_branch .LBB38_3
.LBB38_2:                               ;   in Loop: Header=BB38_3 Depth=1
	s_or_b64 exec, exec, s[0:1]
	v_add_f32_e32 v13, v18, v19
	v_add_f32_e32 v13, v13, v21
	v_add_f32_e32 v13, v13, v23
	v_mul_f32_e32 v18, 0xbfb8aa3b, v13
	v_fma_f32 v19, v13, s49, -v18
	v_rndne_f32_e32 v21, v18
	v_fmac_f32_e32 v19, 0xb2a5705f, v13
	v_sub_f32_e32 v18, v18, v21
	v_add_f32_e32 v18, v18, v19
	v_exp_f32_e32 v22, v18
	v_cvt_i32_f32_e32 v21, v21
	v_cmp_nlt_f32_e32 vcc, s50, v13
	v_mad_u64_u32 v[18:19], s[0:1], s34, v8, v[0:1]
	v_ldexp_f32 v21, v22, v21
	v_cndmask_b32_e32 v21, 0, v21, vcc
	v_cmp_ngt_f32_e32 vcc, s51, v13
	v_cndmask_b32_e32 v13, v17, v21, vcc
	v_add_f32_e32 v13, 1.0, v13
	v_div_scale_f32 v21, s[0:1], v13, v13, 1.0
	v_rcp_f32_e32 v22, v21
	v_mul_lo_u32 v23, s34, v9
	v_mul_lo_u32 v24, s35, v8
	v_add3_u32 v19, v24, v19, v23
	v_fma_f32 v23, -v21, v22, 1.0
	v_fmac_f32_e32 v22, v23, v22
	v_div_scale_f32 v23, vcc, 1.0, v13, 1.0
	v_mul_f32_e32 v24, v23, v22
	v_fma_f32 v25, -v21, v24, v23
	v_fmac_f32_e32 v24, v25, v22
	v_fma_f32 v21, -v21, v24, v23
	v_div_fmas_f32 v21, v21, v22, v24
	v_bfi_b32 v10, s56, v12, v10
	v_div_fixup_f32 v21, v21, v13, 1.0
	v_sub_f32_e32 v12, v3, v10
	v_fma_f32 v12, v21, v12, v10
	global_store_dword v[6:7], v12, off
	v_mul_lo_u32 v22, v18, s27
	v_mul_lo_u32 v19, v19, s26
	v_mad_u64_u32 v[12:13], s[0:1], v18, s26, 0
	v_add3_u32 v13, v13, v22, v19
	v_lshlrev_b64 v[12:13], 2, v[12:13]
	v_mov_b32_e32 v18, s25
	v_add_co_u32_e32 v12, vcc, s24, v12
	v_addc_co_u32_e32 v13, vcc, v18, v13, vcc
	v_lshlrev_b64 v[8:9], 2, v[8:9]
	global_store_dword v[12:13], v20, off
	v_or_b32_e32 v12, 1, v8
	v_mul_lo_u32 v19, s8, v9
	v_mul_lo_u32 v20, s9, v12
	v_mad_u64_u32 v[12:13], s[0:1], s8, v12, v[0:1]
	v_add3_u32 v13, v20, v13, v19
	v_mul_lo_u32 v20, v13, s26
	v_mul_lo_u32 v22, v12, s27
	v_mad_u64_u32 v[12:13], s[0:1], v12, s26, 0
	v_add3_u32 v13, v13, v22, v20
	v_lshlrev_b64 v[12:13], 2, v[12:13]
	v_add_co_u32_e32 v12, vcc, s24, v12
	v_addc_co_u32_e32 v13, vcc, v18, v13, vcc
	global_store_dword v[12:13], v21, off
	v_or_b32_e32 v12, 2, v8
	v_mul_lo_u32 v20, s9, v12
	v_mad_u64_u32 v[12:13], s[0:1], s8, v12, v[0:1]
	v_add3_u32 v13, v20, v13, v19
	v_mul_lo_u32 v20, v13, s26
	v_mul_lo_u32 v21, v12, s27
	v_mad_u64_u32 v[12:13], s[0:1], v12, s26, 0
	v_add3_u32 v13, v13, v21, v20
	v_lshlrev_b64 v[12:13], 2, v[12:13]
	v_add_co_u32_e32 v12, vcc, s24, v12
	v_addc_co_u32_e32 v13, vcc, v18, v13, vcc
	global_store_dword v[12:13], v10, off
	v_or_b32_e32 v10, 3, v8
	v_mul_lo_u32 v20, s9, v10
	v_mad_u64_u32 v[12:13], s[0:1], s8, v10, v[0:1]
	v_add3_u32 v10, v20, v13, v19
	v_mul_lo_u32 v10, v10, s26
	v_mul_lo_u32 v19, v12, s27
	v_mad_u64_u32 v[12:13], s[0:1], v12, s26, 0
	v_add3_u32 v13, v13, v19, v10
	v_lshlrev_b64 v[12:13], 2, v[12:13]
	v_add_co_u32_e32 v12, vcc, s24, v12
	v_addc_co_u32_e32 v13, vcc, v18, v13, vcc
	global_store_dword v[12:13], v3, off
	v_add_co_u32_e32 v3, vcc, 4, v8
	v_addc_co_u32_e32 v8, vcc, 0, v9, vcc
	v_mul_lo_u32 v10, s8, v8
	v_mul_lo_u32 v12, s9, v3
	v_mad_u64_u32 v[8:9], s[0:1], s8, v3, v[0:1]
	v_add3_u32 v3, v12, v9, v10
	v_mul_lo_u32 v3, v3, s26
	v_mul_lo_u32 v10, v8, s27
	v_mad_u64_u32 v[8:9], s[0:1], v8, s26, 0
	v_add3_u32 v9, v9, v10, v3
	v_lshlrev_b64 v[8:9], 2, v[8:9]
	v_add_co_u32_e32 v8, vcc, s24, v8
	v_addc_co_u32_e32 v9, vcc, v18, v9, vcc
	v_mov_b32_e32 v3, s46
	v_add_co_u32_e32 v0, vcc, s33, v0
	v_addc_co_u32_e32 v1, vcc, v1, v3, vcc
	v_mov_b32_e32 v3, s37
	v_add_co_u32_e32 v4, vcc, s36, v4
	v_addc_co_u32_e32 v5, vcc, v5, v3, vcc
	v_cmp_le_i64_e32 vcc, s[10:11], v[0:1]
	v_mov_b32_e32 v3, s39
	s_or_b64 s[4:5], vcc, s[4:5]
	v_add_co_u32_e32 v6, vcc, s38, v6
	v_addc_co_u32_e32 v7, vcc, v7, v3, vcc
	global_store_dword v[8:9], v11, off
	s_andn2_b64 exec, exec, s[4:5]
	s_cbranch_execz .LBB38_13
.LBB38_3:                               ; =>This Inner Loop Header: Depth=1
	v_or_b32_e32 v3, s9, v1
	v_cmp_ne_u64_e32 vcc, 0, v[2:3]
                                        ; implicit-def: $vgpr8_vgpr9
	s_and_saveexec_b64 s[0:1], vcc
	s_xor_b64 s[40:41], exec, s[0:1]
	s_cbranch_execz .LBB38_5
; %bb.4:                                ;   in Loop: Header=BB38_3 Depth=1
	s_ashr_i32 s42, s9, 31
	s_add_u32 s0, s8, s42
	s_mov_b32 s43, s42
	s_addc_u32 s1, s9, s42
	s_xor_b64 s[44:45], s[0:1], s[42:43]
	v_cvt_f32_u32_e32 v3, s44
	v_cvt_f32_u32_e32 v8, s45
	s_sub_u32 s0, 0, s44
	s_subb_u32 s1, 0, s45
	v_mac_f32_e32 v3, 0x4f800000, v8
	v_rcp_f32_e32 v3, v3
	v_mul_f32_e32 v3, 0x5f7ffffc, v3
	v_mul_f32_e32 v8, 0x2f800000, v3
	v_trunc_f32_e32 v8, v8
	v_mac_f32_e32 v3, 0xcf800000, v8
	v_cvt_u32_f32_e32 v8, v8
	v_cvt_u32_f32_e32 v3, v3
	v_mul_lo_u32 v9, s0, v8
	v_mul_hi_u32 v11, s0, v3
	v_mul_lo_u32 v10, s1, v3
	v_add_u32_e32 v9, v11, v9
	v_mul_lo_u32 v12, s0, v3
	v_add_u32_e32 v9, v9, v10
	v_mul_lo_u32 v11, v3, v9
	v_mul_hi_u32 v13, v3, v12
	v_mul_hi_u32 v10, v3, v9
	v_add_co_u32_e32 v11, vcc, v13, v11
	v_addc_co_u32_e32 v10, vcc, 0, v10, vcc
	v_mul_hi_u32 v18, v8, v12
	v_mul_lo_u32 v12, v8, v12
	v_add_co_u32_e32 v11, vcc, v11, v12
	v_mul_hi_u32 v13, v8, v9
	v_addc_co_u32_e32 v10, vcc, v10, v18, vcc
	v_addc_co_u32_e32 v11, vcc, 0, v13, vcc
	v_mul_lo_u32 v9, v8, v9
	v_add_co_u32_e32 v9, vcc, v10, v9
	v_addc_co_u32_e32 v10, vcc, 0, v11, vcc
	v_add_co_u32_e32 v3, vcc, v3, v9
	v_addc_co_u32_e32 v8, vcc, v8, v10, vcc
	v_mul_lo_u32 v9, s0, v8
	v_mul_hi_u32 v10, s0, v3
	v_add_u32_e32 v9, v10, v9
	v_mul_lo_u32 v10, s1, v3
	v_add_u32_e32 v9, v9, v10
	v_mul_lo_u32 v11, s0, v3
	v_mul_hi_u32 v12, v8, v11
	v_mul_lo_u32 v13, v8, v11
	v_mul_lo_u32 v19, v3, v9
	v_mul_hi_u32 v11, v3, v11
	v_mul_hi_u32 v18, v3, v9
	v_add_co_u32_e32 v11, vcc, v11, v19
	v_addc_co_u32_e32 v18, vcc, 0, v18, vcc
	v_add_co_u32_e32 v11, vcc, v11, v13
	v_mul_hi_u32 v10, v8, v9
	v_addc_co_u32_e32 v11, vcc, v18, v12, vcc
	v_addc_co_u32_e32 v10, vcc, 0, v10, vcc
	v_mul_lo_u32 v9, v8, v9
	v_add_co_u32_e32 v9, vcc, v11, v9
	v_addc_co_u32_e32 v10, vcc, 0, v10, vcc
	v_add_co_u32_e32 v3, vcc, v3, v9
	v_addc_co_u32_e32 v10, vcc, v8, v10, vcc
	v_ashrrev_i32_e32 v12, 31, v1
	v_add_co_u32_e32 v8, vcc, v0, v12
	v_addc_co_u32_e32 v9, vcc, v1, v12, vcc
	v_xor_b32_e32 v18, v8, v12
	v_xor_b32_e32 v13, v9, v12
	v_mad_u64_u32 v[8:9], s[0:1], v18, v10, 0
	v_mul_hi_u32 v11, v18, v3
	v_add_co_u32_e32 v19, vcc, v11, v8
	v_addc_co_u32_e32 v20, vcc, 0, v9, vcc
	v_mad_u64_u32 v[8:9], s[0:1], v13, v10, 0
	v_mad_u64_u32 v[10:11], s[0:1], v13, v3, 0
	v_add_co_u32_e32 v3, vcc, v19, v10
	v_addc_co_u32_e32 v3, vcc, v20, v11, vcc
	v_addc_co_u32_e32 v9, vcc, 0, v9, vcc
	v_add_co_u32_e32 v3, vcc, v3, v8
	v_addc_co_u32_e32 v10, vcc, 0, v9, vcc
	v_mul_lo_u32 v11, s45, v3
	v_mul_lo_u32 v19, s44, v10
	v_mad_u64_u32 v[8:9], s[0:1], s44, v3, 0
	v_add3_u32 v9, v9, v19, v11
	v_sub_u32_e32 v11, v13, v9
	v_mov_b32_e32 v19, s45
	v_sub_co_u32_e32 v8, vcc, v18, v8
	v_subb_co_u32_e64 v11, s[0:1], v11, v19, vcc
	v_subrev_co_u32_e64 v18, s[0:1], s44, v8
	v_subbrev_co_u32_e64 v11, s[0:1], 0, v11, s[0:1]
	v_cmp_le_u32_e64 s[0:1], s45, v11
	v_cndmask_b32_e64 v19, 0, -1, s[0:1]
	v_cmp_le_u32_e64 s[0:1], s44, v18
	v_cndmask_b32_e64 v18, 0, -1, s[0:1]
	v_cmp_eq_u32_e64 s[0:1], s45, v11
	v_cndmask_b32_e64 v11, v19, v18, s[0:1]
	v_add_co_u32_e64 v18, s[0:1], 2, v3
	v_subb_co_u32_e32 v9, vcc, v13, v9, vcc
	v_addc_co_u32_e64 v19, s[0:1], 0, v10, s[0:1]
	v_cmp_le_u32_e32 vcc, s45, v9
	v_add_co_u32_e64 v20, s[0:1], 1, v3
	v_cndmask_b32_e64 v13, 0, -1, vcc
	v_cmp_le_u32_e32 vcc, s44, v8
	v_addc_co_u32_e64 v21, s[0:1], 0, v10, s[0:1]
	v_cndmask_b32_e64 v8, 0, -1, vcc
	v_cmp_eq_u32_e32 vcc, s45, v9
	v_cmp_ne_u32_e64 s[0:1], 0, v11
	v_cndmask_b32_e32 v8, v13, v8, vcc
	v_cmp_ne_u32_e32 vcc, 0, v8
	v_cndmask_b32_e64 v9, v20, v18, s[0:1]
	v_cndmask_b32_e64 v11, v21, v19, s[0:1]
	v_cndmask_b32_e32 v3, v3, v9, vcc
	v_xor_b32_e32 v9, s42, v12
	v_cndmask_b32_e32 v8, v10, v11, vcc
	v_xor_b32_e32 v3, v3, v9
	v_xor_b32_e32 v10, v8, v9
	v_sub_co_u32_e32 v8, vcc, v3, v9
	v_subb_co_u32_e32 v9, vcc, v10, v9, vcc
.LBB38_5:                               ;   in Loop: Header=BB38_3 Depth=1
	s_andn2_saveexec_b64 s[0:1], s[40:41]
	s_cbranch_execz .LBB38_7
; %bb.6:                                ;   in Loop: Header=BB38_3 Depth=1
	v_cvt_f32_u32_e32 v3, s8
	s_sub_i32 s40, 0, s8
	v_rcp_iflag_f32_e32 v3, v3
	v_mul_f32_e32 v3, 0x4f7ffffe, v3
	v_cvt_u32_f32_e32 v3, v3
	v_mul_lo_u32 v8, s40, v3
	v_mul_hi_u32 v8, v3, v8
	v_add_u32_e32 v3, v3, v8
	v_mul_hi_u32 v3, v0, v3
	v_mul_lo_u32 v8, v3, s8
	v_sub_u32_e32 v8, v0, v8
	v_add_u32_e32 v9, 1, v3
	v_subrev_u32_e32 v10, s8, v8
	v_cmp_le_u32_e32 vcc, s8, v8
	v_cndmask_b32_e32 v8, v8, v10, vcc
	v_cndmask_b32_e32 v3, v3, v9, vcc
	v_add_u32_e32 v9, 1, v3
	v_cmp_le_u32_e32 vcc, s8, v8
	v_cndmask_b32_e32 v8, v3, v9, vcc
	v_mov_b32_e32 v9, v2
.LBB38_7:                               ;   in Loop: Header=BB38_3 Depth=1
	s_or_b64 exec, exec, s[0:1]
	v_mad_u64_u32 v[12:13], s[0:1], s30, v8, v[0:1]
	v_mul_lo_u32 v3, s30, v9
	v_mul_lo_u32 v10, s31, v8
	v_add3_u32 v3, v10, v13, v3
	v_mul_lo_u32 v13, v12, s7
	v_mul_lo_u32 v18, v3, s6
	v_mad_u64_u32 v[10:11], s[0:1], v12, s6, 0
	v_add3_u32 v11, v11, v13, v18
	v_lshlrev_b64 v[18:19], 1, v[8:9]
	v_or_b32_e32 v20, 1, v18
	v_mul_lo_u32 v21, s8, v19
	v_mul_lo_u32 v24, s9, v20
	v_mad_u64_u32 v[22:23], s[0:1], s8, v20, v[0:1]
	v_add3_u32 v23, v24, v23, v21
	v_lshlrev_b64 v[10:11], 2, v[10:11]
	v_mul_lo_u32 v24, v23, s6
	v_mul_lo_u32 v25, v22, s7
	v_mad_u64_u32 v[20:21], s[0:1], v22, s6, 0
	v_mov_b32_e32 v13, s3
	v_add_co_u32_e32 v10, vcc, s2, v10
	v_add3_u32 v21, v21, v25, v24
	v_addc_co_u32_e32 v11, vcc, v13, v11, vcc
	v_lshlrev_b64 v[20:21], 2, v[20:21]
	v_add_co_u32_e32 v24, vcc, s2, v20
	v_addc_co_u32_e32 v25, vcc, v13, v21, vcc
	v_add_co_u32_e32 v18, vcc, 2, v18
	v_addc_co_u32_e32 v19, vcc, 0, v19, vcc
	v_mul_lo_u32 v19, s8, v19
	v_mul_lo_u32 v20, s9, v18
	v_mad_u64_u32 v[26:27], s[0:1], s8, v18, v[0:1]
	v_add3_u32 v21, v20, v27, v19
	v_mul_lo_u32 v20, v21, s6
	v_mul_lo_u32 v27, v26, s7
	v_mad_u64_u32 v[18:19], s[0:1], v26, s6, 0
	v_add3_u32 v19, v19, v27, v20
	v_lshlrev_b64 v[18:19], 2, v[18:19]
	v_add_co_u32_e32 v28, vcc, s2, v18
	v_addc_co_u32_e32 v29, vcc, v13, v19, vcc
	global_load_dword v20, v[10:11], off
	global_load_dword v18, v[24:25], off
	s_nop 0
	global_load_dword v10, v[28:29], off
	v_mul_lo_u32 v11, v12, s15
	v_mul_lo_u32 v3, v3, s14
	v_mad_u64_u32 v[12:13], s[0:1], v12, s14, 0
	v_add3_u32 v13, v13, v11, v3
	v_lshlrev_b64 v[12:13], 2, v[12:13]
	v_mul_lo_u32 v11, v23, s14
	v_mul_lo_u32 v19, v22, s15
	v_mad_u64_u32 v[22:23], s[0:1], v22, s14, 0
	v_mov_b32_e32 v3, s13
	v_add_co_u32_e32 v12, vcc, s12, v12
	v_add3_u32 v23, v23, v19, v11
	v_addc_co_u32_e32 v13, vcc, v3, v13, vcc
	v_lshlrev_b64 v[22:23], 2, v[22:23]
	v_add_co_u32_e32 v24, vcc, s12, v22
	v_addc_co_u32_e32 v25, vcc, v3, v23, vcc
	v_mul_lo_u32 v11, v21, s14
	v_mul_lo_u32 v19, v26, s15
	v_mad_u64_u32 v[22:23], s[0:1], v26, s14, 0
	v_add3_u32 v23, v23, v19, v11
	v_lshlrev_b64 v[22:23], 2, v[22:23]
	v_add_co_u32_e32 v26, vcc, s12, v22
	v_addc_co_u32_e32 v27, vcc, v3, v23, vcc
	global_load_dword v22, v[12:13], off
	global_load_dword v19, v[24:25], off
	;; [unrolled: 1-line block ×4, first 2 shown]
	s_andn2_b64 vcc, exec, s[28:29]
	v_mov_b32_e32 v21, 0
	v_mov_b32_e32 v25, 0
	;; [unrolled: 1-line block ×6, first 2 shown]
	s_cbranch_vccnz .LBB38_9
; %bb.8:                                ;   in Loop: Header=BB38_3 Depth=1
	v_mad_u64_u32 v[26:27], s[0:1], s47, v8, v[0:1]
	v_mul_lo_u32 v12, s47, v9
	v_mul_lo_u32 v13, s48, v8
	v_add3_u32 v23, v13, v27, v12
	v_mul_lo_u32 v21, v26, s19
	v_mul_lo_u32 v24, v23, s18
	v_mad_u64_u32 v[12:13], s[0:1], v26, s18, 0
	v_add3_u32 v13, v13, v21, v24
	v_lshlrev_b64 v[12:13], 2, v[12:13]
	v_mov_b32_e32 v21, s17
	v_add_co_u32_e32 v12, vcc, s16, v12
	v_addc_co_u32_e32 v13, vcc, v21, v13, vcc
	v_sub_co_u32_e32 v24, vcc, 1, v8
	v_subb_co_u32_e32 v25, vcc, 0, v9, vcc
	v_mul_lo_u32 v25, s8, v25
	v_mul_lo_u32 v27, s9, v24
	v_mad_u64_u32 v[28:29], s[0:1], s8, v24, v[0:1]
	v_add3_u32 v29, v27, v29, v25
	v_mul_lo_u32 v27, v29, s18
	v_mul_lo_u32 v30, v28, s19
	v_mad_u64_u32 v[24:25], s[0:1], v28, s18, 0
	v_add3_u32 v25, v25, v30, v27
	v_lshlrev_b64 v[24:25], 2, v[24:25]
	v_add_co_u32_e32 v30, vcc, s16, v24
	v_addc_co_u32_e32 v31, vcc, v21, v25, vcc
	v_sub_co_u32_e32 v24, vcc, 2, v8
	v_subb_co_u32_e32 v25, vcc, 0, v9, vcc
	v_mul_lo_u32 v25, s8, v25
	v_mul_lo_u32 v27, s9, v24
	v_mad_u64_u32 v[32:33], s[0:1], s8, v24, v[0:1]
	v_add3_u32 v33, v27, v33, v25
	v_mul_lo_u32 v27, v33, s18
	v_mul_lo_u32 v34, v32, s19
	v_mad_u64_u32 v[24:25], s[0:1], v32, s18, 0
	v_add3_u32 v25, v25, v34, v27
	v_lshlrev_b64 v[24:25], 2, v[24:25]
	v_add_co_u32_e32 v34, vcc, s16, v24
	v_addc_co_u32_e32 v35, vcc, v21, v25, vcc
	global_load_dword v24, v[12:13], off
	global_load_dword v21, v[30:31], off
	s_nop 0
	global_load_dword v12, v[34:35], off
	v_mul_lo_u32 v13, v26, s23
	v_mul_lo_u32 v23, v23, s22
	v_mad_u64_u32 v[26:27], s[0:1], v26, s22, 0
	v_add3_u32 v27, v27, v13, v23
	v_lshlrev_b64 v[26:27], 2, v[26:27]
	v_mul_lo_u32 v23, v29, s22
	v_mul_lo_u32 v25, v28, s23
	v_mad_u64_u32 v[28:29], s[0:1], v28, s22, 0
	v_mov_b32_e32 v13, s21
	v_add_co_u32_e32 v26, vcc, s20, v26
	v_add3_u32 v29, v29, v25, v23
	v_addc_co_u32_e32 v27, vcc, v13, v27, vcc
	v_lshlrev_b64 v[28:29], 2, v[28:29]
	v_mul_lo_u32 v23, v33, s22
	v_mul_lo_u32 v25, v32, s23
	v_mad_u64_u32 v[30:31], s[0:1], v32, s22, 0
	v_add_co_u32_e32 v28, vcc, s20, v28
	v_add3_u32 v31, v31, v25, v23
	v_addc_co_u32_e32 v29, vcc, v13, v29, vcc
	v_lshlrev_b64 v[30:31], 2, v[30:31]
	v_add_co_u32_e32 v30, vcc, s20, v30
	v_addc_co_u32_e32 v31, vcc, v13, v31, vcc
	global_load_dword v25, v[26:27], off
	global_load_dword v23, v[28:29], off
	global_load_dword v13, v[30:31], off
.LBB38_9:                               ;   in Loop: Header=BB38_3 Depth=1
	s_waitcnt vmcnt(3)
	v_add_f32_e32 v20, v20, v22
	v_add_f32_e32 v20, v20, v24
	s_waitcnt vmcnt(2)
	v_add_f32_e32 v20, v25, v20
	v_mul_f32_e32 v22, 0xbfb8aa3b, v20
	v_fma_f32 v24, v20, s49, -v22
	v_rndne_f32_e32 v25, v22
	v_fmac_f32_e32 v24, 0xb2a5705f, v20
	v_sub_f32_e32 v22, v22, v25
	v_add_f32_e32 v22, v22, v24
	v_cvt_i32_f32_e32 v24, v25
	v_exp_f32_e32 v22, v22
	v_cmp_nlt_f32_e32 vcc, s50, v20
	s_waitcnt vmcnt(0)
	v_pk_add_f32 v[10:11], v[10:11], v[12:13]
                                        ; implicit-def: $vgpr12
	v_ldexp_f32 v22, v22, v24
	v_cndmask_b32_e32 v22, 0, v22, vcc
	v_cmp_ngt_f32_e32 vcc, s51, v20
	v_cndmask_b32_e32 v20, v17, v22, vcc
	v_add_f32_e32 v20, 1.0, v20
	v_div_scale_f32 v22, s[0:1], v20, v20, 1.0
	v_rcp_f32_e32 v24, v22
	v_fma_f32 v25, -v22, v24, 1.0
	v_fmac_f32_e32 v24, v25, v24
	v_div_scale_f32 v25, vcc, 1.0, v20, 1.0
	v_mul_f32_e32 v26, v25, v24
	v_fma_f32 v27, -v22, v26, v25
	v_fmac_f32_e32 v26, v27, v24
	v_fma_f32 v22, -v22, v26, v25
	v_div_fmas_f32 v22, v22, v24, v26
	v_div_fixup_f32 v20, v22, v20, 1.0
	v_fma_f32 v10, v11, v20, v10
	v_cmp_nlt_f32_e64 s[0:1], |v10|, s52
	s_and_saveexec_b64 s[40:41], s[0:1]
	s_xor_b64 s[0:1], exec, s[40:41]
	s_cbranch_execz .LBB38_11
; %bb.10:                               ;   in Loop: Header=BB38_3 Depth=1
	v_add_f32_e64 v12, |v10|, |v10|
	v_mul_f32_e32 v13, 0x3fb8aa3b, v12
	v_rndne_f32_e32 v22, v13
	v_sub_f32_e32 v24, v13, v22
	v_fma_f32 v13, v12, s53, -v13
	v_fmac_f32_e32 v13, 0x32a5705f, v12
	v_add_f32_e32 v13, v24, v13
	v_cvt_i32_f32_e32 v22, v22
	v_exp_f32_e32 v13, v13
	v_cmp_ngt_f32_e32 vcc, s54, v12
	v_ldexp_f32 v13, v13, v22
	v_cndmask_b32_e32 v13, 0, v13, vcc
	v_cmp_nlt_f32_e32 vcc, s55, v12
	v_cndmask_b32_e32 v12, v17, v13, vcc
	v_add_f32_e32 v12, 1.0, v12
	v_rcp_f32_e32 v12, v12
	v_fma_f32 v12, v12, -2.0, 1.0
.LBB38_11:                              ;   in Loop: Header=BB38_3 Depth=1
	s_andn2_saveexec_b64 s[0:1], s[0:1]
	s_cbranch_execz .LBB38_2
; %bb.12:                               ;   in Loop: Header=BB38_3 Depth=1
	v_mul_f32_e32 v12, v10, v10
	v_mov_b32_e32 v13, 0x3ca908c9
	v_fmac_f32_e32 v13, 0xbbbac73d, v12
	v_fma_f32 v13, v12, v13, v14
	v_fma_f32 v13, v12, v13, v15
	;; [unrolled: 1-line block ×3, first 2 shown]
	v_mul_f32_e64 v13, |v10|, v13
	v_fma_f32 v12, v12, v13, |v10|
	s_branch .LBB38_2
.LBB38_13:
	s_endpgm
	.section	.rodata,"a",@progbits
	.p2align	6, 0x0
	.amdhsa_kernel _ZN2at6native12_GLOBAL__N_16kernel16gru_cell_forwardIfflLi1EEEvNS_4cuda6detail10TensorInfoIT_T1_EES9_S9_S9_S9_S9_S9_S8_S8_
		.amdhsa_group_segment_fixed_size 0
		.amdhsa_private_segment_fixed_size 0
		.amdhsa_kernarg_size 3184
		.amdhsa_user_sgpr_count 6
		.amdhsa_user_sgpr_private_segment_buffer 1
		.amdhsa_user_sgpr_dispatch_ptr 0
		.amdhsa_user_sgpr_queue_ptr 0
		.amdhsa_user_sgpr_kernarg_segment_ptr 1
		.amdhsa_user_sgpr_dispatch_id 0
		.amdhsa_user_sgpr_flat_scratch_init 0
		.amdhsa_user_sgpr_kernarg_preload_length 0
		.amdhsa_user_sgpr_kernarg_preload_offset 0
		.amdhsa_user_sgpr_private_segment_size 0
		.amdhsa_uses_dynamic_stack 0
		.amdhsa_system_sgpr_private_segment_wavefront_offset 0
		.amdhsa_system_sgpr_workgroup_id_x 1
		.amdhsa_system_sgpr_workgroup_id_y 0
		.amdhsa_system_sgpr_workgroup_id_z 0
		.amdhsa_system_sgpr_workgroup_info 0
		.amdhsa_system_vgpr_workitem_id 0
		.amdhsa_next_free_vgpr 36
		.amdhsa_next_free_sgpr 57
		.amdhsa_accum_offset 36
		.amdhsa_reserve_vcc 1
		.amdhsa_reserve_flat_scratch 0
		.amdhsa_float_round_mode_32 0
		.amdhsa_float_round_mode_16_64 0
		.amdhsa_float_denorm_mode_32 3
		.amdhsa_float_denorm_mode_16_64 3
		.amdhsa_dx10_clamp 1
		.amdhsa_ieee_mode 1
		.amdhsa_fp16_overflow 0
		.amdhsa_tg_split 0
		.amdhsa_exception_fp_ieee_invalid_op 0
		.amdhsa_exception_fp_denorm_src 0
		.amdhsa_exception_fp_ieee_div_zero 0
		.amdhsa_exception_fp_ieee_overflow 0
		.amdhsa_exception_fp_ieee_underflow 0
		.amdhsa_exception_fp_ieee_inexact 0
		.amdhsa_exception_int_div_zero 0
	.end_amdhsa_kernel
	.section	.text._ZN2at6native12_GLOBAL__N_16kernel16gru_cell_forwardIfflLi1EEEvNS_4cuda6detail10TensorInfoIT_T1_EES9_S9_S9_S9_S9_S9_S8_S8_,"axG",@progbits,_ZN2at6native12_GLOBAL__N_16kernel16gru_cell_forwardIfflLi1EEEvNS_4cuda6detail10TensorInfoIT_T1_EES9_S9_S9_S9_S9_S9_S8_S8_,comdat
.Lfunc_end38:
	.size	_ZN2at6native12_GLOBAL__N_16kernel16gru_cell_forwardIfflLi1EEEvNS_4cuda6detail10TensorInfoIT_T1_EES9_S9_S9_S9_S9_S9_S8_S8_, .Lfunc_end38-_ZN2at6native12_GLOBAL__N_16kernel16gru_cell_forwardIfflLi1EEEvNS_4cuda6detail10TensorInfoIT_T1_EES9_S9_S9_S9_S9_S9_S8_S8_
                                        ; -- End function
	.section	.AMDGPU.csdata,"",@progbits
; Kernel info:
; codeLenInByte = 3300
; NumSgprs: 61
; NumVgprs: 36
; NumAgprs: 0
; TotalNumVgprs: 36
; ScratchSize: 0
; MemoryBound: 0
; FloatMode: 240
; IeeeMode: 1
; LDSByteSize: 0 bytes/workgroup (compile time only)
; SGPRBlocks: 7
; VGPRBlocks: 4
; NumSGPRsForWavesPerEU: 61
; NumVGPRsForWavesPerEU: 36
; AccumOffset: 36
; Occupancy: 8
; WaveLimiterHint : 1
; COMPUTE_PGM_RSRC2:SCRATCH_EN: 0
; COMPUTE_PGM_RSRC2:USER_SGPR: 6
; COMPUTE_PGM_RSRC2:TRAP_HANDLER: 0
; COMPUTE_PGM_RSRC2:TGID_X_EN: 1
; COMPUTE_PGM_RSRC2:TGID_Y_EN: 0
; COMPUTE_PGM_RSRC2:TGID_Z_EN: 0
; COMPUTE_PGM_RSRC2:TIDIG_COMP_CNT: 0
; COMPUTE_PGM_RSRC3_GFX90A:ACCUM_OFFSET: 8
; COMPUTE_PGM_RSRC3_GFX90A:TG_SPLIT: 0
	.section	.text._ZN2at6native12_GLOBAL__N_16kernel16gru_cell_forwardIfflLi2EEEvNS_4cuda6detail10TensorInfoIT_T1_EES9_S9_S9_S9_S9_S9_S8_S8_,"axG",@progbits,_ZN2at6native12_GLOBAL__N_16kernel16gru_cell_forwardIfflLi2EEEvNS_4cuda6detail10TensorInfoIT_T1_EES9_S9_S9_S9_S9_S9_S8_S8_,comdat
	.globl	_ZN2at6native12_GLOBAL__N_16kernel16gru_cell_forwardIfflLi2EEEvNS_4cuda6detail10TensorInfoIT_T1_EES9_S9_S9_S9_S9_S9_S8_S8_ ; -- Begin function _ZN2at6native12_GLOBAL__N_16kernel16gru_cell_forwardIfflLi2EEEvNS_4cuda6detail10TensorInfoIT_T1_EES9_S9_S9_S9_S9_S9_S8_S8_
	.p2align	8
	.type	_ZN2at6native12_GLOBAL__N_16kernel16gru_cell_forwardIfflLi2EEEvNS_4cuda6detail10TensorInfoIT_T1_EES9_S9_S9_S9_S9_S9_S8_S8_,@function
_ZN2at6native12_GLOBAL__N_16kernel16gru_cell_forwardIfflLi2EEEvNS_4cuda6detail10TensorInfoIT_T1_EES9_S9_S9_S9_S9_S9_S8_S8_: ; @_ZN2at6native12_GLOBAL__N_16kernel16gru_cell_forwardIfflLi2EEEvNS_4cuda6detail10TensorInfoIT_T1_EES9_S9_S9_S9_S9_S9_S8_S8_
; %bb.0:
	s_load_dword s2, s[4:5], 0xb7c
	s_load_dwordx4 s[8:11], s[4:5], 0xb60
	s_add_u32 s0, s4, 0xb70
	s_addc_u32 s1, s5, 0
	v_mov_b32_e32 v2, 0
	s_waitcnt lgkmcnt(0)
	s_and_b32 s33, s2, 0xffff
	s_mul_i32 s6, s6, s33
	v_add_u32_e32 v0, s6, v0
	v_mov_b32_e32 v1, v2
	v_cmp_gt_i64_e32 vcc, s[10:11], v[0:1]
	s_and_saveexec_b64 s[2:3], vcc
	s_cbranch_execz .LBB39_65
; %bb.1:
	v_cvt_f32_u32_e32 v3, s8
	s_load_dwordx2 s[2:3], s[4:5], 0x0
	s_load_dwordx2 s[28:29], s[4:5], 0x10
	s_load_dwordx4 s[12:15], s[4:5], 0xd0
	s_load_dwordx2 s[30:31], s[4:5], 0x1a0
	s_load_dwordx2 s[34:35], s[4:5], 0x1b0
	s_load_dwordx4 s[16:19], s[4:5], 0x270
	s_load_dwordx2 s[36:37], s[4:5], 0x340
	s_load_dwordx2 s[38:39], s[4:5], 0x410
	;; [unrolled: 1-line block ×6, first 2 shown]
	s_load_dwordx4 s[20:23], s[4:5], 0x750
	s_load_dwordx2 s[48:49], s[4:5], 0x820
	s_load_dwordx2 s[50:51], s[4:5], 0x830
	s_load_dwordx4 s[24:27], s[4:5], 0x8f0
	s_load_dwordx2 s[52:53], s[4:5], 0x9c0
	s_load_dwordx2 s[54:55], s[4:5], 0x9d0
	s_nop 0
	s_load_dword s0, s[0:1], 0x0
	s_nop 0
	s_load_dwordx4 s[4:7], s[4:5], 0xa90
	s_waitcnt lgkmcnt(0)
	s_cmp_lg_u64 s[36:37], 0
	s_cselect_b64 s[58:59], -1, 0
	v_rcp_iflag_f32_e32 v3, v3
	s_lshl_b64 s[60:61], s[8:9], 1
	s_lshl_b64 s[62:63], s[8:9], 2
	s_sub_u32 s71, 0, s8
	s_subb_u32 s72, 0, s9
	v_mul_f32_e32 v3, 0x4f7ffffe, v3
	s_sub_u32 s73, 0, s46
	v_cvt_u32_f32_e32 v24, v3
	s_subb_u32 s74, 0, s47
	s_sub_u32 s75, 0, s50
	s_mov_b64 s[56:57], 0
	s_mul_i32 s33, s0, s33
	s_mov_b32 s70, 0
	s_subb_u32 s76, 0, s51
	s_mov_b32 s77, 0xbfb8aa3b
	s_mov_b32 s78, 0x42ce8ed0
	;; [unrolled: 1-line block ×7, first 2 shown]
	v_mov_b32_e32 v22, 0xbd5c1c4e
	v_mov_b32_e32 v23, 0x3e088382
	;; [unrolled: 1-line block ×3, first 2 shown]
	s_brev_b32 s84, -2
	v_mov_b32_e32 v26, 0x7f800000
	s_branch .LBB39_3
.LBB39_2:                               ;   in Loop: Header=BB39_3 Depth=1
	s_or_b64 exec, exec, s[0:1]
	v_mad_u64_u32 v[4:5], s[0:1], s8, v10, 0
	v_add3_u32 v3, v5, v12, v11
	v_mul_lo_u32 v5, v9, s54
	v_mul_lo_u32 v6, v8, s55
	v_mad_u64_u32 v[10:11], s[0:1], v8, s54, 0
	v_add3_u32 v5, v11, v6, v5
	v_sub_co_u32_e32 v4, vcc, v4, v10
	v_subb_co_u32_e32 v3, vcc, v3, v5, vcc
	v_add_co_u32_e32 v4, vcc, v0, v4
	v_addc_co_u32_e32 v3, vcc, v1, v3, vcc
	v_mul_lo_u32 v3, v3, s6
	v_mul_lo_u32 v6, v4, s7
	v_mad_u64_u32 v[4:5], s[0:1], v4, s6, 0
	v_add3_u32 v5, v5, v6, v3
	v_mul_lo_u32 v3, v9, s4
	v_mul_lo_u32 v6, v8, s5
	v_mad_u64_u32 v[8:9], s[0:1], v8, s4, 0
	v_add3_u32 v9, v9, v6, v3
	v_lshlrev_b64 v[8:9], 2, v[8:9]
	v_mov_b32_e32 v3, s53
	v_add_co_u32_e32 v6, vcc, s52, v8
	v_addc_co_u32_e32 v3, vcc, v3, v9, vcc
	v_lshlrev_b64 v[4:5], 2, v[4:5]
	v_add_co_u32_e32 v4, vcc, v6, v4
	v_addc_co_u32_e32 v5, vcc, v3, v5, vcc
	v_mov_b32_e32 v3, s70
	v_add_co_u32_e32 v0, vcc, s33, v0
	v_addc_co_u32_e32 v1, vcc, v1, v3, vcc
	v_cmp_le_i64_e32 vcc, s[10:11], v[0:1]
	s_or_b64 s[56:57], vcc, s[56:57]
	global_store_dword v[4:5], v7, off
	s_andn2_b64 exec, exec, s[56:57]
	s_cbranch_execz .LBB39_65
.LBB39_3:                               ; =>This Inner Loop Header: Depth=1
	v_or_b32_e32 v3, s9, v1
	v_cmp_ne_u64_e32 vcc, 0, v[2:3]
	v_ashrrev_i32_e32 v27, 31, v1
                                        ; implicit-def: $vgpr4_vgpr5
	s_and_saveexec_b64 s[0:1], vcc
	s_xor_b64 s[64:65], exec, s[0:1]
	s_cbranch_execz .LBB39_5
; %bb.4:                                ;   in Loop: Header=BB39_3 Depth=1
	s_ashr_i32 s66, s9, 31
	s_add_u32 s0, s8, s66
	s_mov_b32 s67, s66
	s_addc_u32 s1, s9, s66
	s_xor_b64 s[68:69], s[0:1], s[66:67]
	v_cvt_f32_u32_e32 v3, s68
	v_cvt_f32_u32_e32 v4, s69
	s_sub_u32 s0, 0, s68
	s_subb_u32 s1, 0, s69
	v_mac_f32_e32 v3, 0x4f800000, v4
	v_rcp_f32_e32 v3, v3
	v_mul_f32_e32 v3, 0x5f7ffffc, v3
	v_mul_f32_e32 v4, 0x2f800000, v3
	v_trunc_f32_e32 v4, v4
	v_mac_f32_e32 v3, 0xcf800000, v4
	v_cvt_u32_f32_e32 v4, v4
	v_cvt_u32_f32_e32 v3, v3
	v_mul_lo_u32 v5, s0, v4
	v_mul_hi_u32 v7, s0, v3
	v_mul_lo_u32 v6, s1, v3
	v_add_u32_e32 v5, v7, v5
	v_mul_lo_u32 v8, s0, v3
	v_add_u32_e32 v5, v5, v6
	v_mul_lo_u32 v7, v3, v5
	v_mul_hi_u32 v9, v3, v8
	v_mul_hi_u32 v6, v3, v5
	v_add_co_u32_e32 v7, vcc, v9, v7
	v_addc_co_u32_e32 v6, vcc, 0, v6, vcc
	v_mul_hi_u32 v10, v4, v8
	v_mul_lo_u32 v8, v4, v8
	v_add_co_u32_e32 v7, vcc, v7, v8
	v_mul_hi_u32 v9, v4, v5
	v_addc_co_u32_e32 v6, vcc, v6, v10, vcc
	v_addc_co_u32_e32 v7, vcc, 0, v9, vcc
	v_mul_lo_u32 v5, v4, v5
	v_add_co_u32_e32 v5, vcc, v6, v5
	v_addc_co_u32_e32 v6, vcc, 0, v7, vcc
	v_add_co_u32_e32 v3, vcc, v3, v5
	v_addc_co_u32_e32 v4, vcc, v4, v6, vcc
	v_mul_lo_u32 v5, s0, v4
	v_mul_hi_u32 v6, s0, v3
	v_add_u32_e32 v5, v6, v5
	v_mul_lo_u32 v6, s1, v3
	v_add_u32_e32 v5, v5, v6
	v_mul_lo_u32 v7, s0, v3
	v_mul_hi_u32 v8, v4, v7
	v_mul_lo_u32 v9, v4, v7
	v_mul_lo_u32 v11, v3, v5
	v_mul_hi_u32 v7, v3, v7
	v_mul_hi_u32 v10, v3, v5
	v_add_co_u32_e32 v7, vcc, v7, v11
	v_addc_co_u32_e32 v10, vcc, 0, v10, vcc
	v_add_co_u32_e32 v7, vcc, v7, v9
	v_mul_hi_u32 v6, v4, v5
	v_addc_co_u32_e32 v7, vcc, v10, v8, vcc
	v_addc_co_u32_e32 v6, vcc, 0, v6, vcc
	v_mul_lo_u32 v5, v4, v5
	v_add_co_u32_e32 v5, vcc, v7, v5
	v_addc_co_u32_e32 v6, vcc, 0, v6, vcc
	v_add_co_u32_e32 v3, vcc, v3, v5
	v_addc_co_u32_e32 v6, vcc, v4, v6, vcc
	;; [unrolled: 2-line block ×3, first 2 shown]
	v_xor_b32_e32 v9, v4, v27
	v_xor_b32_e32 v8, v5, v27
	v_mad_u64_u32 v[4:5], s[0:1], v9, v6, 0
	v_mul_hi_u32 v7, v9, v3
	v_add_co_u32_e32 v10, vcc, v7, v4
	v_addc_co_u32_e32 v11, vcc, 0, v5, vcc
	v_mad_u64_u32 v[4:5], s[0:1], v8, v6, 0
	v_mad_u64_u32 v[6:7], s[0:1], v8, v3, 0
	v_add_co_u32_e32 v3, vcc, v10, v6
	v_addc_co_u32_e32 v3, vcc, v11, v7, vcc
	v_addc_co_u32_e32 v5, vcc, 0, v5, vcc
	v_add_co_u32_e32 v3, vcc, v3, v4
	v_addc_co_u32_e32 v6, vcc, 0, v5, vcc
	v_mul_lo_u32 v7, s69, v3
	v_mul_lo_u32 v10, s68, v6
	v_mad_u64_u32 v[4:5], s[0:1], s68, v3, 0
	v_add3_u32 v5, v5, v10, v7
	v_sub_u32_e32 v7, v8, v5
	v_mov_b32_e32 v10, s69
	v_sub_co_u32_e32 v4, vcc, v9, v4
	v_subb_co_u32_e64 v7, s[0:1], v7, v10, vcc
	v_subrev_co_u32_e64 v9, s[0:1], s68, v4
	v_subbrev_co_u32_e64 v7, s[0:1], 0, v7, s[0:1]
	v_cmp_le_u32_e64 s[0:1], s69, v7
	v_cndmask_b32_e64 v10, 0, -1, s[0:1]
	v_cmp_le_u32_e64 s[0:1], s68, v9
	v_cndmask_b32_e64 v9, 0, -1, s[0:1]
	v_cmp_eq_u32_e64 s[0:1], s69, v7
	v_cndmask_b32_e64 v7, v10, v9, s[0:1]
	v_add_co_u32_e64 v9, s[0:1], 2, v3
	v_subb_co_u32_e32 v5, vcc, v8, v5, vcc
	v_addc_co_u32_e64 v10, s[0:1], 0, v6, s[0:1]
	v_cmp_le_u32_e32 vcc, s69, v5
	v_add_co_u32_e64 v11, s[0:1], 1, v3
	v_cndmask_b32_e64 v8, 0, -1, vcc
	v_cmp_le_u32_e32 vcc, s68, v4
	v_addc_co_u32_e64 v12, s[0:1], 0, v6, s[0:1]
	v_cndmask_b32_e64 v4, 0, -1, vcc
	v_cmp_eq_u32_e32 vcc, s69, v5
	v_cmp_ne_u32_e64 s[0:1], 0, v7
	v_cndmask_b32_e32 v4, v8, v4, vcc
	v_cmp_ne_u32_e32 vcc, 0, v4
	v_cndmask_b32_e64 v5, v11, v9, s[0:1]
	v_cndmask_b32_e64 v7, v12, v10, s[0:1]
	v_cndmask_b32_e32 v3, v3, v5, vcc
	v_xor_b32_e32 v5, s66, v27
	v_cndmask_b32_e32 v4, v6, v7, vcc
	v_xor_b32_e32 v3, v3, v5
	v_xor_b32_e32 v6, v4, v5
	v_sub_co_u32_e32 v4, vcc, v3, v5
	v_subb_co_u32_e32 v5, vcc, v6, v5, vcc
.LBB39_5:                               ;   in Loop: Header=BB39_3 Depth=1
	s_andn2_saveexec_b64 s[0:1], s[64:65]
	s_cbranch_execz .LBB39_7
; %bb.6:                                ;   in Loop: Header=BB39_3 Depth=1
	s_sub_i32 s64, 0, s8
	v_mul_lo_u32 v3, s64, v24
	v_mul_hi_u32 v3, v24, v3
	v_add_u32_e32 v3, v24, v3
	v_mul_hi_u32 v3, v0, v3
	v_mul_lo_u32 v4, v3, s8
	v_sub_u32_e32 v4, v0, v4
	v_subrev_u32_e32 v5, s8, v4
	v_cmp_le_u32_e32 vcc, s8, v4
	v_cndmask_b32_e32 v4, v4, v5, vcc
	v_add_u32_e32 v5, 1, v3
	v_cndmask_b32_e32 v3, v3, v5, vcc
	v_add_u32_e32 v5, 1, v3
	v_cmp_le_u32_e32 vcc, s8, v4
	v_cndmask_b32_e32 v4, v3, v5, vcc
	v_mov_b32_e32 v5, v2
.LBB39_7:                               ;   in Loop: Header=BB39_3 Depth=1
	s_or_b64 exec, exec, s[0:1]
	v_mul_lo_u32 v10, s61, v4
	v_mul_lo_u32 v11, s60, v5
	v_mad_u64_u32 v[8:9], s[0:1], s60, v4, v[0:1]
	v_add3_u32 v9, v10, v9, v11
	v_or_b32_e32 v3, s29, v9
	v_cmp_ne_u64_e32 vcc, 0, v[2:3]
	v_ashrrev_i32_e32 v28, 31, v9
                                        ; implicit-def: $vgpr6_vgpr7
	s_and_saveexec_b64 s[0:1], vcc
	s_xor_b64 s[64:65], exec, s[0:1]
	s_cbranch_execz .LBB39_9
; %bb.8:                                ;   in Loop: Header=BB39_3 Depth=1
	s_ashr_i32 s66, s29, 31
	s_add_u32 s0, s28, s66
	s_mov_b32 s67, s66
	s_addc_u32 s1, s29, s66
	s_xor_b64 s[68:69], s[0:1], s[66:67]
	v_cvt_f32_u32_e32 v3, s68
	v_cvt_f32_u32_e32 v6, s69
	s_sub_u32 s0, 0, s68
	s_subb_u32 s1, 0, s69
	v_mac_f32_e32 v3, 0x4f800000, v6
	v_rcp_f32_e32 v3, v3
	v_mul_f32_e32 v3, 0x5f7ffffc, v3
	v_mul_f32_e32 v6, 0x2f800000, v3
	v_trunc_f32_e32 v6, v6
	v_mac_f32_e32 v3, 0xcf800000, v6
	v_cvt_u32_f32_e32 v6, v6
	v_cvt_u32_f32_e32 v3, v3
	v_mul_lo_u32 v7, s0, v6
	v_mul_hi_u32 v13, s0, v3
	v_mul_lo_u32 v12, s1, v3
	v_add_u32_e32 v7, v13, v7
	v_mul_lo_u32 v14, s0, v3
	v_add_u32_e32 v7, v7, v12
	v_mul_lo_u32 v13, v3, v7
	v_mul_hi_u32 v15, v3, v14
	v_mul_hi_u32 v12, v3, v7
	v_add_co_u32_e32 v13, vcc, v15, v13
	v_addc_co_u32_e32 v12, vcc, 0, v12, vcc
	v_mul_hi_u32 v16, v6, v14
	v_mul_lo_u32 v14, v6, v14
	v_add_co_u32_e32 v13, vcc, v13, v14
	v_mul_hi_u32 v15, v6, v7
	v_addc_co_u32_e32 v12, vcc, v12, v16, vcc
	v_addc_co_u32_e32 v13, vcc, 0, v15, vcc
	v_mul_lo_u32 v7, v6, v7
	v_add_co_u32_e32 v7, vcc, v12, v7
	v_addc_co_u32_e32 v12, vcc, 0, v13, vcc
	v_add_co_u32_e32 v3, vcc, v3, v7
	v_addc_co_u32_e32 v6, vcc, v6, v12, vcc
	v_mul_lo_u32 v7, s0, v6
	v_mul_hi_u32 v12, s0, v3
	v_add_u32_e32 v7, v12, v7
	v_mul_lo_u32 v12, s1, v3
	v_add_u32_e32 v7, v7, v12
	v_mul_lo_u32 v13, s0, v3
	v_mul_hi_u32 v14, v6, v13
	v_mul_lo_u32 v15, v6, v13
	v_mul_lo_u32 v17, v3, v7
	v_mul_hi_u32 v13, v3, v13
	v_mul_hi_u32 v16, v3, v7
	v_add_co_u32_e32 v13, vcc, v13, v17
	v_addc_co_u32_e32 v16, vcc, 0, v16, vcc
	v_add_co_u32_e32 v13, vcc, v13, v15
	v_mul_hi_u32 v12, v6, v7
	v_addc_co_u32_e32 v13, vcc, v16, v14, vcc
	v_addc_co_u32_e32 v12, vcc, 0, v12, vcc
	v_mul_lo_u32 v7, v6, v7
	v_add_co_u32_e32 v7, vcc, v13, v7
	v_addc_co_u32_e32 v12, vcc, 0, v12, vcc
	v_add_co_u32_e32 v3, vcc, v3, v7
	v_addc_co_u32_e32 v12, vcc, v6, v12, vcc
	;; [unrolled: 2-line block ×3, first 2 shown]
	v_xor_b32_e32 v15, v6, v28
	v_xor_b32_e32 v14, v7, v28
	v_mad_u64_u32 v[6:7], s[0:1], v15, v12, 0
	v_mul_hi_u32 v13, v15, v3
	v_add_co_u32_e32 v16, vcc, v13, v6
	v_addc_co_u32_e32 v17, vcc, 0, v7, vcc
	v_mad_u64_u32 v[6:7], s[0:1], v14, v12, 0
	v_mad_u64_u32 v[12:13], s[0:1], v14, v3, 0
	v_add_co_u32_e32 v3, vcc, v16, v12
	v_addc_co_u32_e32 v3, vcc, v17, v13, vcc
	v_addc_co_u32_e32 v7, vcc, 0, v7, vcc
	v_add_co_u32_e32 v3, vcc, v3, v6
	v_addc_co_u32_e32 v12, vcc, 0, v7, vcc
	v_mul_lo_u32 v13, s69, v3
	v_mul_lo_u32 v16, s68, v12
	v_mad_u64_u32 v[6:7], s[0:1], s68, v3, 0
	v_add3_u32 v7, v7, v16, v13
	v_sub_u32_e32 v13, v14, v7
	v_mov_b32_e32 v16, s69
	v_sub_co_u32_e32 v6, vcc, v15, v6
	v_subb_co_u32_e64 v13, s[0:1], v13, v16, vcc
	v_subrev_co_u32_e64 v15, s[0:1], s68, v6
	v_subbrev_co_u32_e64 v13, s[0:1], 0, v13, s[0:1]
	v_cmp_le_u32_e64 s[0:1], s69, v13
	v_cndmask_b32_e64 v16, 0, -1, s[0:1]
	v_cmp_le_u32_e64 s[0:1], s68, v15
	v_cndmask_b32_e64 v15, 0, -1, s[0:1]
	v_cmp_eq_u32_e64 s[0:1], s69, v13
	v_cndmask_b32_e64 v13, v16, v15, s[0:1]
	v_add_co_u32_e64 v15, s[0:1], 2, v3
	v_subb_co_u32_e32 v7, vcc, v14, v7, vcc
	v_addc_co_u32_e64 v16, s[0:1], 0, v12, s[0:1]
	v_cmp_le_u32_e32 vcc, s69, v7
	v_add_co_u32_e64 v17, s[0:1], 1, v3
	v_cndmask_b32_e64 v14, 0, -1, vcc
	v_cmp_le_u32_e32 vcc, s68, v6
	v_addc_co_u32_e64 v18, s[0:1], 0, v12, s[0:1]
	v_cndmask_b32_e64 v6, 0, -1, vcc
	v_cmp_eq_u32_e32 vcc, s69, v7
	v_cmp_ne_u32_e64 s[0:1], 0, v13
	v_cndmask_b32_e32 v6, v14, v6, vcc
	v_cmp_ne_u32_e32 vcc, 0, v6
	v_cndmask_b32_e64 v7, v17, v15, s[0:1]
	v_cndmask_b32_e64 v13, v18, v16, s[0:1]
	v_cndmask_b32_e32 v3, v3, v7, vcc
	v_xor_b32_e32 v7, s66, v28
	v_cndmask_b32_e32 v6, v12, v13, vcc
	v_xor_b32_e32 v3, v3, v7
	v_xor_b32_e32 v12, v6, v7
	v_sub_co_u32_e32 v6, vcc, v3, v7
	v_subb_co_u32_e32 v7, vcc, v12, v7, vcc
.LBB39_9:                               ;   in Loop: Header=BB39_3 Depth=1
	s_or_saveexec_b64 s[0:1], s[64:65]
	v_cvt_f32_u32_e32 v18, s28
	s_xor_b64 exec, exec, s[0:1]
	s_cbranch_execz .LBB39_11
; %bb.10:                               ;   in Loop: Header=BB39_3 Depth=1
	v_rcp_iflag_f32_e32 v3, v18
	s_sub_i32 s64, 0, s28
	v_mul_f32_e32 v3, 0x4f7ffffe, v3
	v_cvt_u32_f32_e32 v3, v3
	v_mul_lo_u32 v6, s64, v3
	v_mul_hi_u32 v6, v3, v6
	v_add_u32_e32 v3, v3, v6
	v_mul_hi_u32 v3, v8, v3
	v_mul_lo_u32 v6, v3, s28
	v_sub_u32_e32 v6, v8, v6
	v_add_u32_e32 v7, 1, v3
	v_subrev_u32_e32 v12, s28, v6
	v_cmp_le_u32_e32 vcc, s28, v6
	v_cndmask_b32_e32 v6, v6, v12, vcc
	v_cndmask_b32_e32 v3, v3, v7, vcc
	v_add_u32_e32 v7, 1, v3
	v_cmp_le_u32_e32 vcc, s28, v6
	v_cndmask_b32_e32 v6, v3, v7, vcc
	v_mov_b32_e32 v7, v2
.LBB39_11:                              ;   in Loop: Header=BB39_3 Depth=1
	s_or_b64 exec, exec, s[0:1]
	v_mad_u64_u32 v[14:15], s[0:1], s60, v4, 0
	v_add3_u32 v31, v15, v11, v10
	v_mul_lo_u32 v3, v7, s28
	v_mul_lo_u32 v12, v6, s29
	v_mad_u64_u32 v[10:11], s[0:1], v6, s28, 0
	v_add3_u32 v3, v11, v12, v3
	v_sub_co_u32_e32 v10, vcc, v14, v10
	v_subb_co_u32_e32 v3, vcc, v31, v3, vcc
	v_add_co_u32_e32 v10, vcc, v0, v10
	v_addc_co_u32_e32 v3, vcc, v1, v3, vcc
	v_mul_lo_u32 v3, v3, s14
	v_mul_lo_u32 v12, v10, s15
	v_mad_u64_u32 v[10:11], s[0:1], v10, s14, 0
	v_add3_u32 v11, v11, v12, v3
	v_mul_lo_u32 v3, v7, s12
	v_mul_lo_u32 v12, v6, s13
	v_mad_u64_u32 v[6:7], s[0:1], v6, s12, 0
	v_add3_u32 v7, v7, v12, v3
	v_lshlrev_b64 v[6:7], 2, v[6:7]
	v_mov_b32_e32 v3, s3
	v_add_co_u32_e32 v12, vcc, s2, v6
	v_addc_co_u32_e32 v3, vcc, v3, v7, vcc
	v_lshlrev_b64 v[6:7], 2, v[10:11]
	v_add_co_u32_e32 v6, vcc, v12, v6
	v_addc_co_u32_e32 v7, vcc, v3, v7, vcc
	global_load_dword v15, v[6:7], off
	v_lshlrev_b64 v[6:7], 1, v[4:5]
	v_or_b32_e32 v16, 1, v6
	v_mul_lo_u32 v19, s9, v16
	v_mul_lo_u32 v20, s8, v7
	v_mad_u64_u32 v[10:11], s[0:1], s8, v16, v[0:1]
	v_add3_u32 v11, v19, v11, v20
	v_or_b32_e32 v3, s29, v11
	v_cmp_ne_u64_e32 vcc, 0, v[2:3]
	v_ashrrev_i32_e32 v29, 31, v11
                                        ; implicit-def: $vgpr12_vgpr13
	s_and_saveexec_b64 s[0:1], vcc
	s_xor_b64 s[64:65], exec, s[0:1]
	s_cbranch_execz .LBB39_13
; %bb.12:                               ;   in Loop: Header=BB39_3 Depth=1
	s_ashr_i32 s66, s29, 31
	s_add_u32 s0, s28, s66
	s_mov_b32 s67, s66
	s_addc_u32 s1, s29, s66
	s_xor_b64 s[68:69], s[0:1], s[66:67]
	v_cvt_f32_u32_e32 v3, s68
	v_cvt_f32_u32_e32 v12, s69
	s_sub_u32 s0, 0, s68
	s_subb_u32 s1, 0, s69
	v_mac_f32_e32 v3, 0x4f800000, v12
	v_rcp_f32_e32 v3, v3
	v_mul_f32_e32 v3, 0x5f7ffffc, v3
	v_mul_f32_e32 v12, 0x2f800000, v3
	v_trunc_f32_e32 v12, v12
	v_mac_f32_e32 v3, 0xcf800000, v12
	v_cvt_u32_f32_e32 v12, v12
	v_cvt_u32_f32_e32 v3, v3
	v_mul_lo_u32 v13, s0, v12
	v_mul_hi_u32 v21, s0, v3
	v_mul_lo_u32 v17, s1, v3
	v_add_u32_e32 v13, v21, v13
	v_mul_lo_u32 v30, s0, v3
	v_add_u32_e32 v13, v13, v17
	v_mul_lo_u32 v21, v3, v13
	v_mul_hi_u32 v32, v3, v30
	v_mul_hi_u32 v17, v3, v13
	v_add_co_u32_e32 v21, vcc, v32, v21
	v_addc_co_u32_e32 v17, vcc, 0, v17, vcc
	v_mul_hi_u32 v33, v12, v30
	v_mul_lo_u32 v30, v12, v30
	v_add_co_u32_e32 v21, vcc, v21, v30
	v_mul_hi_u32 v32, v12, v13
	v_addc_co_u32_e32 v17, vcc, v17, v33, vcc
	v_addc_co_u32_e32 v21, vcc, 0, v32, vcc
	v_mul_lo_u32 v13, v12, v13
	v_add_co_u32_e32 v13, vcc, v17, v13
	v_addc_co_u32_e32 v17, vcc, 0, v21, vcc
	v_add_co_u32_e32 v3, vcc, v3, v13
	v_addc_co_u32_e32 v12, vcc, v12, v17, vcc
	v_mul_lo_u32 v13, s0, v12
	v_mul_hi_u32 v17, s0, v3
	v_add_u32_e32 v13, v17, v13
	v_mul_lo_u32 v17, s1, v3
	v_add_u32_e32 v13, v13, v17
	v_mul_lo_u32 v21, s0, v3
	v_mul_hi_u32 v30, v12, v21
	v_mul_lo_u32 v32, v12, v21
	v_mul_lo_u32 v34, v3, v13
	v_mul_hi_u32 v21, v3, v21
	v_mul_hi_u32 v33, v3, v13
	v_add_co_u32_e32 v21, vcc, v21, v34
	v_addc_co_u32_e32 v33, vcc, 0, v33, vcc
	v_add_co_u32_e32 v21, vcc, v21, v32
	v_mul_hi_u32 v17, v12, v13
	v_addc_co_u32_e32 v21, vcc, v33, v30, vcc
	v_addc_co_u32_e32 v17, vcc, 0, v17, vcc
	v_mul_lo_u32 v13, v12, v13
	v_add_co_u32_e32 v13, vcc, v21, v13
	v_addc_co_u32_e32 v17, vcc, 0, v17, vcc
	v_add_co_u32_e32 v3, vcc, v3, v13
	v_addc_co_u32_e32 v17, vcc, v12, v17, vcc
	;; [unrolled: 2-line block ×3, first 2 shown]
	v_xor_b32_e32 v30, v12, v29
	v_xor_b32_e32 v21, v13, v29
	v_mad_u64_u32 v[12:13], s[0:1], v30, v17, 0
	v_mul_hi_u32 v32, v30, v3
	v_add_co_u32_e32 v34, vcc, v32, v12
	v_addc_co_u32_e32 v35, vcc, 0, v13, vcc
	v_mad_u64_u32 v[32:33], s[0:1], v21, v3, 0
	v_add_co_u32_e32 v3, vcc, v34, v32
	v_mad_u64_u32 v[12:13], s[0:1], v21, v17, 0
	v_addc_co_u32_e32 v3, vcc, v35, v33, vcc
	v_addc_co_u32_e32 v13, vcc, 0, v13, vcc
	v_add_co_u32_e32 v3, vcc, v3, v12
	v_addc_co_u32_e32 v17, vcc, 0, v13, vcc
	v_mul_lo_u32 v32, s69, v3
	v_mul_lo_u32 v33, s68, v17
	v_mad_u64_u32 v[12:13], s[0:1], s68, v3, 0
	v_add3_u32 v13, v13, v33, v32
	v_sub_u32_e32 v32, v21, v13
	v_mov_b32_e32 v33, s69
	v_sub_co_u32_e32 v12, vcc, v30, v12
	v_subb_co_u32_e64 v30, s[0:1], v32, v33, vcc
	v_subrev_co_u32_e64 v32, s[0:1], s68, v12
	v_subbrev_co_u32_e64 v30, s[0:1], 0, v30, s[0:1]
	v_cmp_le_u32_e64 s[0:1], s69, v30
	v_cndmask_b32_e64 v33, 0, -1, s[0:1]
	v_cmp_le_u32_e64 s[0:1], s68, v32
	v_cndmask_b32_e64 v32, 0, -1, s[0:1]
	v_cmp_eq_u32_e64 s[0:1], s69, v30
	v_cndmask_b32_e64 v30, v33, v32, s[0:1]
	v_add_co_u32_e64 v32, s[0:1], 2, v3
	v_subb_co_u32_e32 v13, vcc, v21, v13, vcc
	v_addc_co_u32_e64 v33, s[0:1], 0, v17, s[0:1]
	v_cmp_le_u32_e32 vcc, s69, v13
	v_add_co_u32_e64 v34, s[0:1], 1, v3
	v_cndmask_b32_e64 v21, 0, -1, vcc
	v_cmp_le_u32_e32 vcc, s68, v12
	v_addc_co_u32_e64 v35, s[0:1], 0, v17, s[0:1]
	v_cndmask_b32_e64 v12, 0, -1, vcc
	v_cmp_eq_u32_e32 vcc, s69, v13
	v_cmp_ne_u32_e64 s[0:1], 0, v30
	v_cndmask_b32_e32 v12, v21, v12, vcc
	v_cmp_ne_u32_e32 vcc, 0, v12
	v_cndmask_b32_e64 v13, v34, v32, s[0:1]
	v_cndmask_b32_e64 v30, v35, v33, s[0:1]
	v_cndmask_b32_e32 v3, v3, v13, vcc
	v_xor_b32_e32 v13, s66, v29
	v_cndmask_b32_e32 v12, v17, v30, vcc
	v_xor_b32_e32 v3, v3, v13
	v_xor_b32_e32 v17, v12, v13
	v_sub_co_u32_e32 v12, vcc, v3, v13
	v_subb_co_u32_e32 v13, vcc, v17, v13, vcc
.LBB39_13:                              ;   in Loop: Header=BB39_3 Depth=1
	s_andn2_saveexec_b64 s[0:1], s[64:65]
	s_cbranch_execz .LBB39_15
; %bb.14:                               ;   in Loop: Header=BB39_3 Depth=1
	v_rcp_iflag_f32_e32 v3, v18
	s_sub_i32 s64, 0, s28
	v_mul_f32_e32 v3, 0x4f7ffffe, v3
	v_cvt_u32_f32_e32 v3, v3
	v_mul_lo_u32 v12, s64, v3
	v_mul_hi_u32 v12, v3, v12
	v_add_u32_e32 v3, v3, v12
	v_mul_hi_u32 v3, v10, v3
	v_mul_lo_u32 v12, v3, s28
	v_sub_u32_e32 v12, v10, v12
	v_add_u32_e32 v13, 1, v3
	v_subrev_u32_e32 v17, s28, v12
	v_cmp_le_u32_e32 vcc, s28, v12
	v_cndmask_b32_e32 v12, v12, v17, vcc
	v_cndmask_b32_e32 v3, v3, v13, vcc
	v_add_u32_e32 v13, 1, v3
	v_cmp_le_u32_e32 vcc, s28, v12
	v_cndmask_b32_e32 v12, v3, v13, vcc
	v_mov_b32_e32 v13, v2
.LBB39_15:                              ;   in Loop: Header=BB39_3 Depth=1
	s_or_b64 exec, exec, s[0:1]
	v_mad_u64_u32 v[16:17], s[0:1], s8, v16, 0
	v_add3_u32 v32, v17, v20, v19
	v_mul_lo_u32 v3, v13, s28
	v_mul_lo_u32 v17, v12, s29
	v_mad_u64_u32 v[20:21], s[0:1], v12, s28, 0
	v_add3_u32 v3, v21, v17, v3
	v_sub_co_u32_e32 v17, vcc, v16, v20
	v_subb_co_u32_e32 v3, vcc, v32, v3, vcc
	v_add_co_u32_e32 v17, vcc, v0, v17
	v_addc_co_u32_e32 v3, vcc, v1, v3, vcc
	v_mul_lo_u32 v3, v3, s14
	v_mul_lo_u32 v19, v17, s15
	v_mad_u64_u32 v[20:21], s[0:1], v17, s14, 0
	v_add3_u32 v21, v21, v19, v3
	v_mul_lo_u32 v3, v13, s12
	v_mul_lo_u32 v17, v12, s13
	v_mad_u64_u32 v[12:13], s[0:1], v12, s12, 0
	v_add3_u32 v13, v13, v17, v3
	v_lshlrev_b64 v[12:13], 2, v[12:13]
	v_mov_b32_e32 v3, s3
	v_add_co_u32_e32 v17, vcc, s2, v12
	v_addc_co_u32_e32 v3, vcc, v3, v13, vcc
	v_lshlrev_b64 v[12:13], 2, v[20:21]
	v_add_co_u32_e32 v12, vcc, v17, v12
	v_addc_co_u32_e32 v13, vcc, v3, v13, vcc
	global_load_dword v17, v[12:13], off
	v_add_co_u32_e32 v19, vcc, 2, v6
	v_addc_co_u32_e32 v3, vcc, 0, v7, vcc
	v_mul_lo_u32 v20, s9, v19
	v_mul_lo_u32 v21, s8, v3
	v_mad_u64_u32 v[12:13], s[0:1], s8, v19, v[0:1]
	v_add3_u32 v13, v20, v13, v21
	v_or_b32_e32 v3, s29, v13
	v_cmp_ne_u64_e32 vcc, 0, v[2:3]
	v_ashrrev_i32_e32 v30, 31, v13
                                        ; implicit-def: $vgpr6_vgpr7
	s_and_saveexec_b64 s[0:1], vcc
	s_xor_b64 s[64:65], exec, s[0:1]
	s_cbranch_execz .LBB39_17
; %bb.16:                               ;   in Loop: Header=BB39_3 Depth=1
	s_ashr_i32 s66, s29, 31
	s_add_u32 s0, s28, s66
	s_mov_b32 s67, s66
	s_addc_u32 s1, s29, s66
	s_xor_b64 s[68:69], s[0:1], s[66:67]
	v_cvt_f32_u32_e32 v3, s68
	v_cvt_f32_u32_e32 v6, s69
	s_sub_u32 s0, 0, s68
	s_subb_u32 s1, 0, s69
	v_mac_f32_e32 v3, 0x4f800000, v6
	v_rcp_f32_e32 v3, v3
	v_mul_f32_e32 v3, 0x5f7ffffc, v3
	v_mul_f32_e32 v6, 0x2f800000, v3
	v_trunc_f32_e32 v6, v6
	v_mac_f32_e32 v3, 0xcf800000, v6
	v_cvt_u32_f32_e32 v6, v6
	v_cvt_u32_f32_e32 v3, v3
	v_mul_lo_u32 v7, s0, v6
	v_mul_hi_u32 v33, s0, v3
	v_mul_lo_u32 v18, s1, v3
	v_add_u32_e32 v7, v33, v7
	v_mul_lo_u32 v34, s0, v3
	v_add_u32_e32 v7, v7, v18
	v_mul_lo_u32 v33, v3, v7
	v_mul_hi_u32 v35, v3, v34
	v_mul_hi_u32 v18, v3, v7
	v_add_co_u32_e32 v33, vcc, v35, v33
	v_addc_co_u32_e32 v18, vcc, 0, v18, vcc
	v_mul_hi_u32 v36, v6, v34
	v_mul_lo_u32 v34, v6, v34
	v_add_co_u32_e32 v33, vcc, v33, v34
	v_mul_hi_u32 v35, v6, v7
	v_addc_co_u32_e32 v18, vcc, v18, v36, vcc
	v_addc_co_u32_e32 v33, vcc, 0, v35, vcc
	v_mul_lo_u32 v7, v6, v7
	v_add_co_u32_e32 v7, vcc, v18, v7
	v_addc_co_u32_e32 v18, vcc, 0, v33, vcc
	v_add_co_u32_e32 v3, vcc, v3, v7
	v_addc_co_u32_e32 v6, vcc, v6, v18, vcc
	v_mul_lo_u32 v7, s0, v6
	v_mul_hi_u32 v18, s0, v3
	v_add_u32_e32 v7, v18, v7
	v_mul_lo_u32 v18, s1, v3
	v_add_u32_e32 v7, v7, v18
	v_mul_lo_u32 v33, s0, v3
	v_mul_hi_u32 v34, v6, v33
	v_mul_lo_u32 v35, v6, v33
	v_mul_lo_u32 v37, v3, v7
	v_mul_hi_u32 v33, v3, v33
	v_mul_hi_u32 v36, v3, v7
	v_add_co_u32_e32 v33, vcc, v33, v37
	v_addc_co_u32_e32 v36, vcc, 0, v36, vcc
	v_add_co_u32_e32 v33, vcc, v33, v35
	v_mul_hi_u32 v18, v6, v7
	v_addc_co_u32_e32 v33, vcc, v36, v34, vcc
	v_addc_co_u32_e32 v18, vcc, 0, v18, vcc
	v_mul_lo_u32 v7, v6, v7
	v_add_co_u32_e32 v7, vcc, v33, v7
	v_addc_co_u32_e32 v18, vcc, 0, v18, vcc
	v_add_co_u32_e32 v3, vcc, v3, v7
	v_addc_co_u32_e32 v18, vcc, v6, v18, vcc
	v_add_co_u32_e32 v6, vcc, v12, v30
	v_addc_co_u32_e32 v7, vcc, v13, v30, vcc
	v_xor_b32_e32 v36, v6, v30
	v_xor_b32_e32 v33, v7, v30
	v_mad_u64_u32 v[6:7], s[0:1], v36, v18, 0
	v_mul_hi_u32 v34, v36, v3
	v_add_co_u32_e32 v37, vcc, v34, v6
	v_addc_co_u32_e32 v38, vcc, 0, v7, vcc
	v_mad_u64_u32 v[34:35], s[0:1], v33, v3, 0
	v_add_co_u32_e32 v3, vcc, v37, v34
	v_mad_u64_u32 v[6:7], s[0:1], v33, v18, 0
	v_addc_co_u32_e32 v3, vcc, v38, v35, vcc
	v_addc_co_u32_e32 v7, vcc, 0, v7, vcc
	v_add_co_u32_e32 v3, vcc, v3, v6
	v_addc_co_u32_e32 v18, vcc, 0, v7, vcc
	v_mul_lo_u32 v34, s69, v3
	v_mul_lo_u32 v35, s68, v18
	v_mad_u64_u32 v[6:7], s[0:1], s68, v3, 0
	v_add3_u32 v7, v7, v35, v34
	v_sub_u32_e32 v34, v33, v7
	v_mov_b32_e32 v35, s69
	v_sub_co_u32_e32 v6, vcc, v36, v6
	v_subb_co_u32_e64 v34, s[0:1], v34, v35, vcc
	v_subrev_co_u32_e64 v35, s[0:1], s68, v6
	v_subbrev_co_u32_e64 v34, s[0:1], 0, v34, s[0:1]
	v_cmp_le_u32_e64 s[0:1], s69, v34
	v_cndmask_b32_e64 v36, 0, -1, s[0:1]
	v_cmp_le_u32_e64 s[0:1], s68, v35
	v_cndmask_b32_e64 v35, 0, -1, s[0:1]
	v_cmp_eq_u32_e64 s[0:1], s69, v34
	v_cndmask_b32_e64 v34, v36, v35, s[0:1]
	v_add_co_u32_e64 v35, s[0:1], 2, v3
	v_subb_co_u32_e32 v7, vcc, v33, v7, vcc
	v_addc_co_u32_e64 v36, s[0:1], 0, v18, s[0:1]
	v_cmp_le_u32_e32 vcc, s69, v7
	v_add_co_u32_e64 v37, s[0:1], 1, v3
	v_cndmask_b32_e64 v33, 0, -1, vcc
	v_cmp_le_u32_e32 vcc, s68, v6
	v_addc_co_u32_e64 v38, s[0:1], 0, v18, s[0:1]
	v_cndmask_b32_e64 v6, 0, -1, vcc
	v_cmp_eq_u32_e32 vcc, s69, v7
	v_cmp_ne_u32_e64 s[0:1], 0, v34
	v_cndmask_b32_e32 v6, v33, v6, vcc
	v_cmp_ne_u32_e32 vcc, 0, v6
	v_cndmask_b32_e64 v7, v37, v35, s[0:1]
	v_cndmask_b32_e64 v34, v38, v36, s[0:1]
	v_cndmask_b32_e32 v3, v3, v7, vcc
	v_xor_b32_e32 v7, s66, v30
	v_cndmask_b32_e32 v6, v18, v34, vcc
	v_xor_b32_e32 v3, v3, v7
	v_xor_b32_e32 v18, v6, v7
	v_sub_co_u32_e32 v6, vcc, v3, v7
	v_subb_co_u32_e32 v7, vcc, v18, v7, vcc
                                        ; implicit-def: $vgpr18
.LBB39_17:                              ;   in Loop: Header=BB39_3 Depth=1
	s_andn2_saveexec_b64 s[0:1], s[64:65]
	s_cbranch_execz .LBB39_19
; %bb.18:                               ;   in Loop: Header=BB39_3 Depth=1
	v_rcp_iflag_f32_e32 v3, v18
	s_sub_i32 s64, 0, s28
	v_mul_f32_e32 v3, 0x4f7ffffe, v3
	v_cvt_u32_f32_e32 v3, v3
	v_mul_lo_u32 v6, s64, v3
	v_mul_hi_u32 v6, v3, v6
	v_add_u32_e32 v3, v3, v6
	v_mul_hi_u32 v3, v12, v3
	v_mul_lo_u32 v6, v3, s28
	v_sub_u32_e32 v6, v12, v6
	v_add_u32_e32 v7, 1, v3
	v_subrev_u32_e32 v18, s28, v6
	v_cmp_le_u32_e32 vcc, s28, v6
	v_cndmask_b32_e32 v6, v6, v18, vcc
	v_cndmask_b32_e32 v3, v3, v7, vcc
	v_add_u32_e32 v7, 1, v3
	v_cmp_le_u32_e32 vcc, s28, v6
	v_cndmask_b32_e32 v6, v3, v7, vcc
	v_mov_b32_e32 v7, v2
.LBB39_19:                              ;   in Loop: Header=BB39_3 Depth=1
	s_or_b64 exec, exec, s[0:1]
	v_mad_u64_u32 v[18:19], s[0:1], s8, v19, 0
	v_add3_u32 v19, v19, v21, v20
	v_mul_lo_u32 v3, v7, s28
	v_mul_lo_u32 v33, v6, s29
	v_mad_u64_u32 v[20:21], s[0:1], v6, s28, 0
	v_add3_u32 v3, v21, v33, v3
	v_sub_co_u32_e32 v20, vcc, v18, v20
	v_subb_co_u32_e32 v3, vcc, v19, v3, vcc
	v_add_co_u32_e32 v20, vcc, v0, v20
	v_addc_co_u32_e32 v3, vcc, v1, v3, vcc
	v_mul_lo_u32 v3, v3, s14
	v_mul_lo_u32 v33, v20, s15
	v_mad_u64_u32 v[20:21], s[0:1], v20, s14, 0
	v_add3_u32 v21, v21, v33, v3
	v_mul_lo_u32 v3, v7, s12
	v_mul_lo_u32 v33, v6, s13
	v_mad_u64_u32 v[6:7], s[0:1], v6, s12, 0
	v_add3_u32 v7, v7, v33, v3
	v_lshlrev_b64 v[6:7], 2, v[6:7]
	v_mov_b32_e32 v3, s3
	v_add_co_u32_e32 v33, vcc, s2, v6
	v_addc_co_u32_e32 v3, vcc, v3, v7, vcc
	v_lshlrev_b64 v[6:7], 2, v[20:21]
	v_add_co_u32_e32 v6, vcc, v33, v6
	v_addc_co_u32_e32 v7, vcc, v3, v7, vcc
	global_load_dword v6, v[6:7], off
	v_or_b32_e32 v3, s35, v9
	v_cmp_ne_u64_e32 vcc, 0, v[2:3]
                                        ; implicit-def: $vgpr20_vgpr21
	s_and_saveexec_b64 s[0:1], vcc
	s_xor_b64 s[64:65], exec, s[0:1]
	s_cbranch_execz .LBB39_21
; %bb.20:                               ;   in Loop: Header=BB39_3 Depth=1
	s_ashr_i32 s66, s35, 31
	s_add_u32 s0, s34, s66
	s_mov_b32 s67, s66
	s_addc_u32 s1, s35, s66
	s_xor_b64 s[68:69], s[0:1], s[66:67]
	v_cvt_f32_u32_e32 v3, s68
	v_cvt_f32_u32_e32 v7, s69
	s_sub_u32 s0, 0, s68
	s_subb_u32 s1, 0, s69
	v_mac_f32_e32 v3, 0x4f800000, v7
	v_rcp_f32_e32 v3, v3
	v_mul_f32_e32 v3, 0x5f7ffffc, v3
	v_mul_f32_e32 v7, 0x2f800000, v3
	v_trunc_f32_e32 v7, v7
	v_mac_f32_e32 v3, 0xcf800000, v7
	v_cvt_u32_f32_e32 v7, v7
	v_cvt_u32_f32_e32 v3, v3
	v_mul_lo_u32 v20, s0, v7
	v_mul_hi_u32 v33, s0, v3
	v_mul_lo_u32 v21, s1, v3
	v_add_u32_e32 v20, v33, v20
	v_mul_lo_u32 v34, s0, v3
	v_add_u32_e32 v20, v20, v21
	v_mul_lo_u32 v33, v3, v20
	v_mul_hi_u32 v35, v3, v34
	v_mul_hi_u32 v21, v3, v20
	v_add_co_u32_e32 v33, vcc, v35, v33
	v_addc_co_u32_e32 v21, vcc, 0, v21, vcc
	v_mul_hi_u32 v36, v7, v34
	v_mul_lo_u32 v34, v7, v34
	v_add_co_u32_e32 v33, vcc, v33, v34
	v_mul_hi_u32 v35, v7, v20
	v_addc_co_u32_e32 v21, vcc, v21, v36, vcc
	v_addc_co_u32_e32 v33, vcc, 0, v35, vcc
	v_mul_lo_u32 v20, v7, v20
	v_add_co_u32_e32 v20, vcc, v21, v20
	v_addc_co_u32_e32 v21, vcc, 0, v33, vcc
	v_add_co_u32_e32 v3, vcc, v3, v20
	v_addc_co_u32_e32 v7, vcc, v7, v21, vcc
	v_mul_lo_u32 v20, s0, v7
	v_mul_hi_u32 v21, s0, v3
	v_add_u32_e32 v20, v21, v20
	v_mul_lo_u32 v21, s1, v3
	v_add_u32_e32 v20, v20, v21
	v_mul_lo_u32 v33, s0, v3
	v_mul_hi_u32 v34, v7, v33
	v_mul_lo_u32 v35, v7, v33
	v_mul_lo_u32 v37, v3, v20
	v_mul_hi_u32 v33, v3, v33
	v_mul_hi_u32 v36, v3, v20
	v_add_co_u32_e32 v33, vcc, v33, v37
	v_addc_co_u32_e32 v36, vcc, 0, v36, vcc
	v_add_co_u32_e32 v33, vcc, v33, v35
	v_mul_hi_u32 v21, v7, v20
	v_addc_co_u32_e32 v33, vcc, v36, v34, vcc
	v_addc_co_u32_e32 v21, vcc, 0, v21, vcc
	v_mul_lo_u32 v20, v7, v20
	v_add_co_u32_e32 v20, vcc, v33, v20
	v_addc_co_u32_e32 v21, vcc, 0, v21, vcc
	v_add_co_u32_e32 v3, vcc, v3, v20
	v_addc_co_u32_e32 v7, vcc, v7, v21, vcc
	;; [unrolled: 2-line block ×3, first 2 shown]
	v_xor_b32_e32 v34, v8, v28
	v_xor_b32_e32 v33, v9, v28
	v_mad_u64_u32 v[8:9], s[0:1], v34, v7, 0
	v_mul_hi_u32 v20, v34, v3
	v_add_co_u32_e32 v35, vcc, v20, v8
	v_addc_co_u32_e32 v36, vcc, 0, v9, vcc
	v_mad_u64_u32 v[20:21], s[0:1], v33, v3, 0
	v_add_co_u32_e32 v3, vcc, v35, v20
	v_mad_u64_u32 v[8:9], s[0:1], v33, v7, 0
	v_addc_co_u32_e32 v3, vcc, v36, v21, vcc
	v_addc_co_u32_e32 v7, vcc, 0, v9, vcc
	v_add_co_u32_e32 v3, vcc, v3, v8
	v_addc_co_u32_e32 v7, vcc, 0, v7, vcc
	v_mul_lo_u32 v20, s69, v3
	v_mul_lo_u32 v21, s68, v7
	v_mad_u64_u32 v[8:9], s[0:1], s68, v3, 0
	v_add3_u32 v9, v9, v21, v20
	v_sub_u32_e32 v20, v33, v9
	v_mov_b32_e32 v21, s69
	v_sub_co_u32_e32 v8, vcc, v34, v8
	v_subb_co_u32_e64 v20, s[0:1], v20, v21, vcc
	v_subrev_co_u32_e64 v21, s[0:1], s68, v8
	v_subbrev_co_u32_e64 v20, s[0:1], 0, v20, s[0:1]
	v_cmp_le_u32_e64 s[0:1], s69, v20
	v_cndmask_b32_e64 v34, 0, -1, s[0:1]
	v_cmp_le_u32_e64 s[0:1], s68, v21
	v_cndmask_b32_e64 v21, 0, -1, s[0:1]
	v_cmp_eq_u32_e64 s[0:1], s69, v20
	v_cndmask_b32_e64 v20, v34, v21, s[0:1]
	v_add_co_u32_e64 v21, s[0:1], 2, v3
	v_subb_co_u32_e32 v9, vcc, v33, v9, vcc
	v_addc_co_u32_e64 v34, s[0:1], 0, v7, s[0:1]
	v_cmp_le_u32_e32 vcc, s69, v9
	v_add_co_u32_e64 v35, s[0:1], 1, v3
	v_cndmask_b32_e64 v33, 0, -1, vcc
	v_cmp_le_u32_e32 vcc, s68, v8
	v_addc_co_u32_e64 v36, s[0:1], 0, v7, s[0:1]
	v_cndmask_b32_e64 v8, 0, -1, vcc
	v_cmp_eq_u32_e32 vcc, s69, v9
	v_cmp_ne_u32_e64 s[0:1], 0, v20
	v_cndmask_b32_e32 v8, v33, v8, vcc
	v_cmp_ne_u32_e32 vcc, 0, v8
	v_cndmask_b32_e64 v8, v35, v21, s[0:1]
	v_cndmask_b32_e64 v20, v36, v34, s[0:1]
	v_cndmask_b32_e32 v3, v3, v8, vcc
	v_xor_b32_e32 v8, s66, v28
	v_cndmask_b32_e32 v7, v7, v20, vcc
	v_xor_b32_e32 v3, v3, v8
	v_xor_b32_e32 v7, v7, v8
	v_sub_co_u32_e32 v20, vcc, v3, v8
	v_subb_co_u32_e32 v21, vcc, v7, v8, vcc
                                        ; implicit-def: $vgpr8_vgpr9
.LBB39_21:                              ;   in Loop: Header=BB39_3 Depth=1
	s_or_saveexec_b64 s[0:1], s[64:65]
	v_cvt_f32_u32_e32 v7, s34
	s_xor_b64 exec, exec, s[0:1]
	s_cbranch_execz .LBB39_23
; %bb.22:                               ;   in Loop: Header=BB39_3 Depth=1
	v_rcp_iflag_f32_e32 v3, v7
	s_sub_i32 s64, 0, s34
	v_mov_b32_e32 v21, v2
	v_mul_f32_e32 v3, 0x4f7ffffe, v3
	v_cvt_u32_f32_e32 v3, v3
	v_mul_lo_u32 v9, s64, v3
	v_mul_hi_u32 v9, v3, v9
	v_add_u32_e32 v3, v3, v9
	v_mul_hi_u32 v3, v8, v3
	v_mul_lo_u32 v9, v3, s34
	v_sub_u32_e32 v8, v8, v9
	v_add_u32_e32 v20, 1, v3
	v_subrev_u32_e32 v9, s34, v8
	v_cmp_le_u32_e32 vcc, s34, v8
	v_cndmask_b32_e32 v8, v8, v9, vcc
	v_cndmask_b32_e32 v3, v3, v20, vcc
	v_add_u32_e32 v9, 1, v3
	v_cmp_le_u32_e32 vcc, s34, v8
	v_cndmask_b32_e32 v20, v3, v9, vcc
.LBB39_23:                              ;   in Loop: Header=BB39_3 Depth=1
	s_or_b64 exec, exec, s[0:1]
	v_mul_lo_u32 v3, v21, s34
	v_mul_lo_u32 v28, v20, s35
	v_mad_u64_u32 v[8:9], s[0:1], v20, s34, 0
	v_add3_u32 v3, v9, v28, v3
	v_sub_co_u32_e32 v8, vcc, v14, v8
	v_subb_co_u32_e32 v3, vcc, v31, v3, vcc
	v_add_co_u32_e32 v8, vcc, v0, v8
	v_addc_co_u32_e32 v3, vcc, v1, v3, vcc
	v_mul_lo_u32 v3, v3, s18
	v_mul_lo_u32 v14, v8, s19
	v_mad_u64_u32 v[8:9], s[0:1], v8, s18, 0
	v_add3_u32 v9, v9, v14, v3
	v_mul_lo_u32 v3, v21, s16
	v_mul_lo_u32 v14, v20, s17
	v_mad_u64_u32 v[20:21], s[0:1], v20, s16, 0
	v_add3_u32 v21, v21, v14, v3
	v_lshlrev_b64 v[20:21], 2, v[20:21]
	v_mov_b32_e32 v3, s31
	v_add_co_u32_e32 v14, vcc, s30, v20
	v_addc_co_u32_e32 v3, vcc, v3, v21, vcc
	v_lshlrev_b64 v[8:9], 2, v[8:9]
	v_add_co_u32_e32 v8, vcc, v14, v8
	v_addc_co_u32_e32 v9, vcc, v3, v9, vcc
	global_load_dword v14, v[8:9], off
	v_or_b32_e32 v3, s35, v11
	v_cmp_ne_u64_e32 vcc, 0, v[2:3]
                                        ; implicit-def: $vgpr8_vgpr9
	s_and_saveexec_b64 s[0:1], vcc
	s_xor_b64 s[64:65], exec, s[0:1]
	s_cbranch_execz .LBB39_25
; %bb.24:                               ;   in Loop: Header=BB39_3 Depth=1
	s_ashr_i32 s66, s35, 31
	s_add_u32 s0, s34, s66
	s_mov_b32 s67, s66
	s_addc_u32 s1, s35, s66
	s_xor_b64 s[68:69], s[0:1], s[66:67]
	v_cvt_f32_u32_e32 v3, s68
	v_cvt_f32_u32_e32 v8, s69
	s_sub_u32 s0, 0, s68
	s_subb_u32 s1, 0, s69
	v_mac_f32_e32 v3, 0x4f800000, v8
	v_rcp_f32_e32 v3, v3
	v_mul_f32_e32 v3, 0x5f7ffffc, v3
	v_mul_f32_e32 v8, 0x2f800000, v3
	v_trunc_f32_e32 v8, v8
	v_mac_f32_e32 v3, 0xcf800000, v8
	v_cvt_u32_f32_e32 v8, v8
	v_cvt_u32_f32_e32 v3, v3
	v_mul_lo_u32 v9, s0, v8
	v_mul_hi_u32 v21, s0, v3
	v_mul_lo_u32 v20, s1, v3
	v_add_u32_e32 v9, v21, v9
	v_mul_lo_u32 v28, s0, v3
	v_add_u32_e32 v9, v9, v20
	v_mul_lo_u32 v21, v3, v9
	v_mul_hi_u32 v31, v3, v28
	v_mul_hi_u32 v20, v3, v9
	v_add_co_u32_e32 v21, vcc, v31, v21
	v_addc_co_u32_e32 v20, vcc, 0, v20, vcc
	v_mul_hi_u32 v33, v8, v28
	v_mul_lo_u32 v28, v8, v28
	v_add_co_u32_e32 v21, vcc, v21, v28
	v_mul_hi_u32 v31, v8, v9
	v_addc_co_u32_e32 v20, vcc, v20, v33, vcc
	v_addc_co_u32_e32 v21, vcc, 0, v31, vcc
	v_mul_lo_u32 v9, v8, v9
	v_add_co_u32_e32 v9, vcc, v20, v9
	v_addc_co_u32_e32 v20, vcc, 0, v21, vcc
	v_add_co_u32_e32 v3, vcc, v3, v9
	v_addc_co_u32_e32 v8, vcc, v8, v20, vcc
	v_mul_lo_u32 v9, s0, v8
	v_mul_hi_u32 v20, s0, v3
	v_add_u32_e32 v9, v20, v9
	v_mul_lo_u32 v20, s1, v3
	v_add_u32_e32 v9, v9, v20
	v_mul_lo_u32 v21, s0, v3
	v_mul_hi_u32 v28, v8, v21
	v_mul_lo_u32 v31, v8, v21
	v_mul_lo_u32 v34, v3, v9
	v_mul_hi_u32 v21, v3, v21
	v_mul_hi_u32 v33, v3, v9
	v_add_co_u32_e32 v21, vcc, v21, v34
	v_addc_co_u32_e32 v33, vcc, 0, v33, vcc
	v_add_co_u32_e32 v21, vcc, v21, v31
	v_mul_hi_u32 v20, v8, v9
	v_addc_co_u32_e32 v21, vcc, v33, v28, vcc
	v_addc_co_u32_e32 v20, vcc, 0, v20, vcc
	v_mul_lo_u32 v9, v8, v9
	v_add_co_u32_e32 v9, vcc, v21, v9
	v_addc_co_u32_e32 v20, vcc, 0, v20, vcc
	v_add_co_u32_e32 v3, vcc, v3, v9
	v_addc_co_u32_e32 v20, vcc, v8, v20, vcc
	;; [unrolled: 2-line block ×3, first 2 shown]
	v_xor_b32_e32 v28, v8, v29
	v_xor_b32_e32 v21, v9, v29
	v_mad_u64_u32 v[8:9], s[0:1], v28, v20, 0
	v_mul_hi_u32 v10, v28, v3
	v_add_co_u32_e32 v31, vcc, v10, v8
	v_addc_co_u32_e32 v33, vcc, 0, v9, vcc
	v_mad_u64_u32 v[10:11], s[0:1], v21, v3, 0
	v_add_co_u32_e32 v3, vcc, v31, v10
	v_mad_u64_u32 v[8:9], s[0:1], v21, v20, 0
	v_addc_co_u32_e32 v3, vcc, v33, v11, vcc
	v_addc_co_u32_e32 v9, vcc, 0, v9, vcc
	v_add_co_u32_e32 v3, vcc, v3, v8
	v_addc_co_u32_e32 v10, vcc, 0, v9, vcc
	v_mul_lo_u32 v11, s69, v3
	v_mul_lo_u32 v20, s68, v10
	v_mad_u64_u32 v[8:9], s[0:1], s68, v3, 0
	v_add3_u32 v9, v9, v20, v11
	v_sub_u32_e32 v11, v21, v9
	v_mov_b32_e32 v20, s69
	v_sub_co_u32_e32 v8, vcc, v28, v8
	v_subb_co_u32_e64 v11, s[0:1], v11, v20, vcc
	v_subrev_co_u32_e64 v20, s[0:1], s68, v8
	v_subbrev_co_u32_e64 v11, s[0:1], 0, v11, s[0:1]
	v_cmp_le_u32_e64 s[0:1], s69, v11
	v_cndmask_b32_e64 v28, 0, -1, s[0:1]
	v_cmp_le_u32_e64 s[0:1], s68, v20
	v_cndmask_b32_e64 v20, 0, -1, s[0:1]
	v_cmp_eq_u32_e64 s[0:1], s69, v11
	v_cndmask_b32_e64 v11, v28, v20, s[0:1]
	v_add_co_u32_e64 v20, s[0:1], 2, v3
	v_subb_co_u32_e32 v9, vcc, v21, v9, vcc
	v_addc_co_u32_e64 v28, s[0:1], 0, v10, s[0:1]
	v_cmp_le_u32_e32 vcc, s69, v9
	v_add_co_u32_e64 v31, s[0:1], 1, v3
	v_cndmask_b32_e64 v21, 0, -1, vcc
	v_cmp_le_u32_e32 vcc, s68, v8
	v_addc_co_u32_e64 v33, s[0:1], 0, v10, s[0:1]
	v_cndmask_b32_e64 v8, 0, -1, vcc
	v_cmp_eq_u32_e32 vcc, s69, v9
	v_cmp_ne_u32_e64 s[0:1], 0, v11
	v_cndmask_b32_e32 v8, v21, v8, vcc
	v_cmp_ne_u32_e32 vcc, 0, v8
	v_cndmask_b32_e64 v9, v31, v20, s[0:1]
	v_cndmask_b32_e64 v11, v33, v28, s[0:1]
	v_cndmask_b32_e32 v3, v3, v9, vcc
	v_xor_b32_e32 v9, s66, v29
	v_cndmask_b32_e32 v8, v10, v11, vcc
	v_xor_b32_e32 v3, v3, v9
	v_xor_b32_e32 v10, v8, v9
	v_sub_co_u32_e32 v8, vcc, v3, v9
	v_subb_co_u32_e32 v9, vcc, v10, v9, vcc
                                        ; implicit-def: $vgpr10_vgpr11
.LBB39_25:                              ;   in Loop: Header=BB39_3 Depth=1
	s_andn2_saveexec_b64 s[0:1], s[64:65]
	s_cbranch_execz .LBB39_27
; %bb.26:                               ;   in Loop: Header=BB39_3 Depth=1
	v_rcp_iflag_f32_e32 v3, v7
	s_sub_i32 s64, 0, s34
	v_mul_f32_e32 v3, 0x4f7ffffe, v3
	v_cvt_u32_f32_e32 v3, v3
	v_mul_lo_u32 v8, s64, v3
	v_mul_hi_u32 v8, v3, v8
	v_add_u32_e32 v3, v3, v8
	v_mul_hi_u32 v3, v10, v3
	v_mul_lo_u32 v8, v3, s34
	v_sub_u32_e32 v8, v10, v8
	v_add_u32_e32 v9, 1, v3
	v_subrev_u32_e32 v10, s34, v8
	v_cmp_le_u32_e32 vcc, s34, v8
	v_cndmask_b32_e32 v8, v8, v10, vcc
	v_cndmask_b32_e32 v3, v3, v9, vcc
	v_add_u32_e32 v9, 1, v3
	v_cmp_le_u32_e32 vcc, s34, v8
	v_cndmask_b32_e32 v8, v3, v9, vcc
	v_mov_b32_e32 v9, v2
.LBB39_27:                              ;   in Loop: Header=BB39_3 Depth=1
	s_or_b64 exec, exec, s[0:1]
	v_mul_lo_u32 v3, v9, s34
	v_mul_lo_u32 v20, v8, s35
	v_mad_u64_u32 v[10:11], s[0:1], v8, s34, 0
	v_add3_u32 v3, v11, v20, v3
	v_sub_co_u32_e32 v10, vcc, v16, v10
	v_subb_co_u32_e32 v3, vcc, v32, v3, vcc
	v_add_co_u32_e32 v10, vcc, v0, v10
	v_addc_co_u32_e32 v3, vcc, v1, v3, vcc
	v_mul_lo_u32 v3, v3, s18
	v_mul_lo_u32 v16, v10, s19
	v_mad_u64_u32 v[10:11], s[0:1], v10, s18, 0
	v_add3_u32 v11, v11, v16, v3
	v_mul_lo_u32 v3, v9, s16
	v_mul_lo_u32 v16, v8, s17
	v_mad_u64_u32 v[8:9], s[0:1], v8, s16, 0
	v_add3_u32 v9, v9, v16, v3
	v_lshlrev_b64 v[8:9], 2, v[8:9]
	v_mov_b32_e32 v3, s31
	v_add_co_u32_e32 v16, vcc, s30, v8
	v_addc_co_u32_e32 v3, vcc, v3, v9, vcc
	v_lshlrev_b64 v[8:9], 2, v[10:11]
	v_add_co_u32_e32 v8, vcc, v16, v8
	v_addc_co_u32_e32 v9, vcc, v3, v9, vcc
	global_load_dword v16, v[8:9], off
	v_or_b32_e32 v3, s35, v13
	v_cmp_ne_u64_e32 vcc, 0, v[2:3]
                                        ; implicit-def: $vgpr8_vgpr9
	s_and_saveexec_b64 s[0:1], vcc
	s_xor_b64 s[64:65], exec, s[0:1]
	s_cbranch_execz .LBB39_29
; %bb.28:                               ;   in Loop: Header=BB39_3 Depth=1
	s_ashr_i32 s66, s35, 31
	s_add_u32 s0, s34, s66
	s_mov_b32 s67, s66
	s_addc_u32 s1, s35, s66
	s_xor_b64 s[68:69], s[0:1], s[66:67]
	v_cvt_f32_u32_e32 v3, s68
	v_cvt_f32_u32_e32 v7, s69
	s_sub_u32 s0, 0, s68
	s_subb_u32 s1, 0, s69
	v_mac_f32_e32 v3, 0x4f800000, v7
	v_rcp_f32_e32 v3, v3
	v_mul_f32_e32 v3, 0x5f7ffffc, v3
	v_mul_f32_e32 v7, 0x2f800000, v3
	v_trunc_f32_e32 v7, v7
	v_mac_f32_e32 v3, 0xcf800000, v7
	v_cvt_u32_f32_e32 v7, v7
	v_cvt_u32_f32_e32 v3, v3
	v_mul_lo_u32 v8, s0, v7
	v_mul_hi_u32 v10, s0, v3
	v_mul_lo_u32 v9, s1, v3
	v_add_u32_e32 v8, v10, v8
	v_mul_lo_u32 v11, s0, v3
	v_add_u32_e32 v8, v8, v9
	v_mul_lo_u32 v10, v3, v8
	v_mul_hi_u32 v20, v3, v11
	v_mul_hi_u32 v9, v3, v8
	v_add_co_u32_e32 v10, vcc, v20, v10
	v_addc_co_u32_e32 v9, vcc, 0, v9, vcc
	v_mul_hi_u32 v21, v7, v11
	v_mul_lo_u32 v11, v7, v11
	v_add_co_u32_e32 v10, vcc, v10, v11
	v_mul_hi_u32 v20, v7, v8
	v_addc_co_u32_e32 v9, vcc, v9, v21, vcc
	v_addc_co_u32_e32 v10, vcc, 0, v20, vcc
	v_mul_lo_u32 v8, v7, v8
	v_add_co_u32_e32 v8, vcc, v9, v8
	v_addc_co_u32_e32 v9, vcc, 0, v10, vcc
	v_add_co_u32_e32 v3, vcc, v3, v8
	v_addc_co_u32_e32 v7, vcc, v7, v9, vcc
	v_mul_lo_u32 v8, s0, v7
	v_mul_hi_u32 v9, s0, v3
	v_add_u32_e32 v8, v9, v8
	v_mul_lo_u32 v9, s1, v3
	v_add_u32_e32 v8, v8, v9
	v_mul_lo_u32 v10, s0, v3
	v_mul_hi_u32 v11, v7, v10
	v_mul_lo_u32 v20, v7, v10
	v_mul_lo_u32 v28, v3, v8
	v_mul_hi_u32 v10, v3, v10
	v_mul_hi_u32 v21, v3, v8
	v_add_co_u32_e32 v10, vcc, v10, v28
	v_addc_co_u32_e32 v21, vcc, 0, v21, vcc
	v_add_co_u32_e32 v10, vcc, v10, v20
	v_mul_hi_u32 v9, v7, v8
	v_addc_co_u32_e32 v10, vcc, v21, v11, vcc
	v_addc_co_u32_e32 v9, vcc, 0, v9, vcc
	v_mul_lo_u32 v8, v7, v8
	v_add_co_u32_e32 v8, vcc, v10, v8
	v_addc_co_u32_e32 v9, vcc, 0, v9, vcc
	v_add_co_u32_e32 v3, vcc, v3, v8
	v_addc_co_u32_e32 v7, vcc, v7, v9, vcc
	;; [unrolled: 2-line block ×3, first 2 shown]
	v_xor_b32_e32 v13, v8, v30
	v_xor_b32_e32 v12, v9, v30
	v_mad_u64_u32 v[8:9], s[0:1], v13, v7, 0
	v_mul_hi_u32 v10, v13, v3
	v_add_co_u32_e32 v20, vcc, v10, v8
	v_addc_co_u32_e32 v21, vcc, 0, v9, vcc
	v_mad_u64_u32 v[10:11], s[0:1], v12, v3, 0
	v_add_co_u32_e32 v3, vcc, v20, v10
	v_mad_u64_u32 v[8:9], s[0:1], v12, v7, 0
	v_addc_co_u32_e32 v3, vcc, v21, v11, vcc
	v_addc_co_u32_e32 v7, vcc, 0, v9, vcc
	v_add_co_u32_e32 v3, vcc, v3, v8
	v_addc_co_u32_e32 v7, vcc, 0, v7, vcc
	v_mul_lo_u32 v10, s69, v3
	v_mul_lo_u32 v11, s68, v7
	v_mad_u64_u32 v[8:9], s[0:1], s68, v3, 0
	v_add3_u32 v9, v9, v11, v10
	v_sub_u32_e32 v10, v12, v9
	v_mov_b32_e32 v11, s69
	v_sub_co_u32_e32 v8, vcc, v13, v8
	v_subb_co_u32_e64 v10, s[0:1], v10, v11, vcc
	v_subrev_co_u32_e64 v11, s[0:1], s68, v8
	v_subbrev_co_u32_e64 v10, s[0:1], 0, v10, s[0:1]
	v_cmp_le_u32_e64 s[0:1], s69, v10
	v_cndmask_b32_e64 v13, 0, -1, s[0:1]
	v_cmp_le_u32_e64 s[0:1], s68, v11
	v_cndmask_b32_e64 v11, 0, -1, s[0:1]
	v_cmp_eq_u32_e64 s[0:1], s69, v10
	v_cndmask_b32_e64 v10, v13, v11, s[0:1]
	v_add_co_u32_e64 v11, s[0:1], 2, v3
	v_subb_co_u32_e32 v9, vcc, v12, v9, vcc
	v_addc_co_u32_e64 v13, s[0:1], 0, v7, s[0:1]
	v_cmp_le_u32_e32 vcc, s69, v9
	v_add_co_u32_e64 v20, s[0:1], 1, v3
	v_cndmask_b32_e64 v12, 0, -1, vcc
	v_cmp_le_u32_e32 vcc, s68, v8
	v_addc_co_u32_e64 v21, s[0:1], 0, v7, s[0:1]
	v_cndmask_b32_e64 v8, 0, -1, vcc
	v_cmp_eq_u32_e32 vcc, s69, v9
	v_cmp_ne_u32_e64 s[0:1], 0, v10
	v_cndmask_b32_e32 v8, v12, v8, vcc
	v_cmp_ne_u32_e32 vcc, 0, v8
	v_cndmask_b32_e64 v8, v20, v11, s[0:1]
	v_cndmask_b32_e64 v10, v21, v13, s[0:1]
	v_cndmask_b32_e32 v3, v3, v8, vcc
	v_xor_b32_e32 v9, s66, v30
	v_cndmask_b32_e32 v7, v7, v10, vcc
	v_xor_b32_e32 v3, v3, v9
	v_xor_b32_e32 v7, v7, v9
	v_sub_co_u32_e32 v8, vcc, v3, v9
	v_subb_co_u32_e32 v9, vcc, v7, v9, vcc
                                        ; implicit-def: $vgpr7
                                        ; implicit-def: $vgpr12_vgpr13
.LBB39_29:                              ;   in Loop: Header=BB39_3 Depth=1
	s_andn2_saveexec_b64 s[0:1], s[64:65]
	s_cbranch_execz .LBB39_31
; %bb.30:                               ;   in Loop: Header=BB39_3 Depth=1
	v_rcp_iflag_f32_e32 v3, v7
	s_sub_i32 s64, 0, s34
	v_mul_f32_e32 v3, 0x4f7ffffe, v3
	v_cvt_u32_f32_e32 v3, v3
	v_mul_lo_u32 v7, s64, v3
	v_mul_hi_u32 v7, v3, v7
	v_add_u32_e32 v3, v3, v7
	v_mul_hi_u32 v3, v12, v3
	v_mul_lo_u32 v7, v3, s34
	v_sub_u32_e32 v7, v12, v7
	v_add_u32_e32 v8, 1, v3
	v_subrev_u32_e32 v9, s34, v7
	v_cmp_le_u32_e32 vcc, s34, v7
	v_cndmask_b32_e32 v7, v7, v9, vcc
	v_cndmask_b32_e32 v3, v3, v8, vcc
	v_add_u32_e32 v8, 1, v3
	v_cmp_le_u32_e32 vcc, s34, v7
	v_cndmask_b32_e32 v8, v3, v8, vcc
	v_mov_b32_e32 v9, v2
.LBB39_31:                              ;   in Loop: Header=BB39_3 Depth=1
	s_or_b64 exec, exec, s[0:1]
	v_mul_lo_u32 v3, v9, s34
	v_mul_lo_u32 v7, v8, s35
	v_mad_u64_u32 v[10:11], s[0:1], v8, s34, 0
	v_add3_u32 v3, v11, v7, v3
	v_sub_co_u32_e32 v7, vcc, v18, v10
	v_subb_co_u32_e32 v3, vcc, v19, v3, vcc
	v_add_co_u32_e32 v7, vcc, v0, v7
	v_addc_co_u32_e32 v3, vcc, v1, v3, vcc
	v_mul_lo_u32 v3, v3, s18
	v_mul_lo_u32 v12, v7, s19
	v_mad_u64_u32 v[10:11], s[0:1], v7, s18, 0
	v_add3_u32 v11, v11, v12, v3
	v_mul_lo_u32 v3, v9, s16
	v_mul_lo_u32 v7, v8, s17
	v_mad_u64_u32 v[8:9], s[0:1], v8, s16, 0
	v_add3_u32 v9, v9, v7, v3
	v_lshlrev_b64 v[8:9], 2, v[8:9]
	v_mov_b32_e32 v3, s31
	v_add_co_u32_e32 v7, vcc, s30, v8
	v_addc_co_u32_e32 v3, vcc, v3, v9, vcc
	v_lshlrev_b64 v[8:9], 2, v[10:11]
	v_add_co_u32_e32 v8, vcc, v7, v8
	v_addc_co_u32_e32 v9, vcc, v3, v9, vcc
	global_load_dword v7, v[8:9], off
	v_or_b32_e32 v3, s47, v1
	v_cmp_ne_u64_e32 vcc, 0, v[2:3]
                                        ; implicit-def: $vgpr8_vgpr9
	s_and_saveexec_b64 s[0:1], vcc
	s_xor_b64 s[64:65], exec, s[0:1]
	s_cbranch_execz .LBB39_33
; %bb.32:                               ;   in Loop: Header=BB39_3 Depth=1
	s_ashr_i32 s66, s47, 31
	s_add_u32 s0, s46, s66
	s_mov_b32 s67, s66
	s_addc_u32 s1, s47, s66
	s_xor_b64 s[68:69], s[0:1], s[66:67]
	v_cvt_f32_u32_e32 v3, s68
	v_cvt_f32_u32_e32 v8, s69
	s_sub_u32 s0, 0, s68
	s_subb_u32 s1, 0, s69
	v_mac_f32_e32 v3, 0x4f800000, v8
	v_rcp_f32_e32 v3, v3
	v_mul_f32_e32 v3, 0x5f7ffffc, v3
	v_mul_f32_e32 v8, 0x2f800000, v3
	v_trunc_f32_e32 v8, v8
	v_mac_f32_e32 v3, 0xcf800000, v8
	v_cvt_u32_f32_e32 v8, v8
	v_cvt_u32_f32_e32 v3, v3
	v_mul_lo_u32 v9, s0, v8
	v_mul_hi_u32 v11, s0, v3
	v_mul_lo_u32 v10, s1, v3
	v_add_u32_e32 v9, v11, v9
	v_mul_lo_u32 v12, s0, v3
	v_add_u32_e32 v9, v9, v10
	v_mul_lo_u32 v11, v3, v9
	v_mul_hi_u32 v13, v3, v12
	v_mul_hi_u32 v10, v3, v9
	v_add_co_u32_e32 v11, vcc, v13, v11
	v_addc_co_u32_e32 v10, vcc, 0, v10, vcc
	v_mul_hi_u32 v18, v8, v12
	v_mul_lo_u32 v12, v8, v12
	v_add_co_u32_e32 v11, vcc, v11, v12
	v_mul_hi_u32 v13, v8, v9
	v_addc_co_u32_e32 v10, vcc, v10, v18, vcc
	v_addc_co_u32_e32 v11, vcc, 0, v13, vcc
	v_mul_lo_u32 v9, v8, v9
	v_add_co_u32_e32 v9, vcc, v10, v9
	v_addc_co_u32_e32 v10, vcc, 0, v11, vcc
	v_add_co_u32_e32 v3, vcc, v3, v9
	v_addc_co_u32_e32 v8, vcc, v8, v10, vcc
	v_mul_lo_u32 v9, s0, v8
	v_mul_hi_u32 v10, s0, v3
	v_add_u32_e32 v9, v10, v9
	v_mul_lo_u32 v10, s1, v3
	v_add_u32_e32 v9, v9, v10
	v_mul_lo_u32 v11, s0, v3
	v_mul_hi_u32 v12, v8, v11
	v_mul_lo_u32 v13, v8, v11
	v_mul_lo_u32 v19, v3, v9
	v_mul_hi_u32 v11, v3, v11
	v_mul_hi_u32 v18, v3, v9
	v_add_co_u32_e32 v11, vcc, v11, v19
	v_addc_co_u32_e32 v18, vcc, 0, v18, vcc
	v_add_co_u32_e32 v11, vcc, v11, v13
	v_mul_hi_u32 v10, v8, v9
	v_addc_co_u32_e32 v11, vcc, v18, v12, vcc
	v_addc_co_u32_e32 v10, vcc, 0, v10, vcc
	v_mul_lo_u32 v9, v8, v9
	v_add_co_u32_e32 v9, vcc, v11, v9
	v_addc_co_u32_e32 v10, vcc, 0, v10, vcc
	v_add_co_u32_e32 v3, vcc, v3, v9
	v_addc_co_u32_e32 v10, vcc, v8, v10, vcc
	;; [unrolled: 2-line block ×3, first 2 shown]
	v_xor_b32_e32 v13, v8, v27
	v_xor_b32_e32 v12, v9, v27
	v_mad_u64_u32 v[8:9], s[0:1], v13, v10, 0
	v_mul_hi_u32 v11, v13, v3
	v_add_co_u32_e32 v18, vcc, v11, v8
	v_addc_co_u32_e32 v19, vcc, 0, v9, vcc
	v_mad_u64_u32 v[8:9], s[0:1], v12, v10, 0
	v_mad_u64_u32 v[10:11], s[0:1], v12, v3, 0
	v_add_co_u32_e32 v3, vcc, v18, v10
	v_addc_co_u32_e32 v3, vcc, v19, v11, vcc
	v_addc_co_u32_e32 v9, vcc, 0, v9, vcc
	v_add_co_u32_e32 v3, vcc, v3, v8
	v_addc_co_u32_e32 v10, vcc, 0, v9, vcc
	v_mul_lo_u32 v11, s69, v3
	v_mul_lo_u32 v18, s68, v10
	v_mad_u64_u32 v[8:9], s[0:1], s68, v3, 0
	v_add3_u32 v9, v9, v18, v11
	v_sub_u32_e32 v11, v12, v9
	v_mov_b32_e32 v18, s69
	v_sub_co_u32_e32 v8, vcc, v13, v8
	v_subb_co_u32_e64 v11, s[0:1], v11, v18, vcc
	v_subrev_co_u32_e64 v13, s[0:1], s68, v8
	v_subbrev_co_u32_e64 v11, s[0:1], 0, v11, s[0:1]
	v_cmp_le_u32_e64 s[0:1], s69, v11
	v_cndmask_b32_e64 v18, 0, -1, s[0:1]
	v_cmp_le_u32_e64 s[0:1], s68, v13
	v_cndmask_b32_e64 v13, 0, -1, s[0:1]
	v_cmp_eq_u32_e64 s[0:1], s69, v11
	v_cndmask_b32_e64 v11, v18, v13, s[0:1]
	v_add_co_u32_e64 v13, s[0:1], 2, v3
	v_subb_co_u32_e32 v9, vcc, v12, v9, vcc
	v_addc_co_u32_e64 v18, s[0:1], 0, v10, s[0:1]
	v_cmp_le_u32_e32 vcc, s69, v9
	v_add_co_u32_e64 v19, s[0:1], 1, v3
	v_cndmask_b32_e64 v12, 0, -1, vcc
	v_cmp_le_u32_e32 vcc, s68, v8
	v_addc_co_u32_e64 v20, s[0:1], 0, v10, s[0:1]
	v_cndmask_b32_e64 v8, 0, -1, vcc
	v_cmp_eq_u32_e32 vcc, s69, v9
	v_cmp_ne_u32_e64 s[0:1], 0, v11
	v_cndmask_b32_e32 v8, v12, v8, vcc
	v_cmp_ne_u32_e32 vcc, 0, v8
	v_cndmask_b32_e64 v9, v19, v13, s[0:1]
	v_cndmask_b32_e64 v11, v20, v18, s[0:1]
	v_cndmask_b32_e32 v3, v3, v9, vcc
	v_xor_b32_e32 v9, s66, v27
	v_cndmask_b32_e32 v8, v10, v11, vcc
	v_xor_b32_e32 v3, v3, v9
	v_xor_b32_e32 v10, v8, v9
	v_sub_co_u32_e32 v8, vcc, v3, v9
	v_subb_co_u32_e32 v9, vcc, v10, v9, vcc
.LBB39_33:                              ;   in Loop: Header=BB39_3 Depth=1
	s_andn2_saveexec_b64 s[0:1], s[64:65]
	s_cbranch_execz .LBB39_35
; %bb.34:                               ;   in Loop: Header=BB39_3 Depth=1
	v_cvt_f32_u32_e32 v3, s46
	s_sub_i32 s64, 0, s46
	v_rcp_iflag_f32_e32 v3, v3
	v_mul_f32_e32 v3, 0x4f7ffffe, v3
	v_cvt_u32_f32_e32 v3, v3
	v_mul_lo_u32 v8, s64, v3
	v_mul_hi_u32 v8, v3, v8
	v_add_u32_e32 v3, v3, v8
	v_mul_hi_u32 v3, v0, v3
	v_mul_lo_u32 v8, v3, s46
	v_sub_u32_e32 v8, v0, v8
	v_add_u32_e32 v9, 1, v3
	v_subrev_u32_e32 v10, s46, v8
	v_cmp_le_u32_e32 vcc, s46, v8
	v_cndmask_b32_e32 v8, v8, v10, vcc
	v_cndmask_b32_e32 v3, v3, v9, vcc
	v_add_u32_e32 v9, 1, v3
	v_cmp_le_u32_e32 vcc, s46, v8
	v_cndmask_b32_e32 v8, v3, v9, vcc
	v_mov_b32_e32 v9, v2
.LBB39_35:                              ;   in Loop: Header=BB39_3 Depth=1
	s_or_b64 exec, exec, s[0:1]
	v_mad_u64_u32 v[10:11], s[0:1], s73, v8, v[0:1]
	v_mul_lo_u32 v3, s73, v9
	v_mul_lo_u32 v12, s74, v8
	v_add3_u32 v3, v12, v11, v3
	v_mul_lo_u32 v12, v10, s23
	v_mul_lo_u32 v3, v3, s22
	v_mad_u64_u32 v[10:11], s[0:1], v10, s22, 0
	v_add3_u32 v11, v11, v12, v3
	v_mul_lo_u32 v3, v9, s20
	v_mul_lo_u32 v12, v8, s21
	v_mad_u64_u32 v[8:9], s[0:1], v8, s20, 0
	v_add3_u32 v9, v9, v12, v3
	v_lshlrev_b64 v[8:9], 2, v[8:9]
	v_mov_b32_e32 v3, s45
	v_add_co_u32_e32 v12, vcc, s44, v8
	v_addc_co_u32_e32 v3, vcc, v3, v9, vcc
	v_lshlrev_b64 v[8:9], 2, v[10:11]
	v_add_co_u32_e32 v8, vcc, v12, v8
	v_addc_co_u32_e32 v9, vcc, v3, v9, vcc
	global_load_dword v12, v[8:9], off
	v_or_b32_e32 v3, s51, v1
	v_cmp_ne_u64_e32 vcc, 0, v[2:3]
                                        ; implicit-def: $vgpr8_vgpr9
	s_and_saveexec_b64 s[0:1], vcc
	s_xor_b64 s[64:65], exec, s[0:1]
	s_cbranch_execz .LBB39_37
; %bb.36:                               ;   in Loop: Header=BB39_3 Depth=1
	s_ashr_i32 s66, s51, 31
	s_add_u32 s0, s50, s66
	s_mov_b32 s67, s66
	s_addc_u32 s1, s51, s66
	s_xor_b64 s[68:69], s[0:1], s[66:67]
	v_cvt_f32_u32_e32 v3, s68
	v_cvt_f32_u32_e32 v8, s69
	s_sub_u32 s0, 0, s68
	s_subb_u32 s1, 0, s69
	v_mac_f32_e32 v3, 0x4f800000, v8
	v_rcp_f32_e32 v3, v3
	v_mul_f32_e32 v3, 0x5f7ffffc, v3
	v_mul_f32_e32 v8, 0x2f800000, v3
	v_trunc_f32_e32 v8, v8
	v_mac_f32_e32 v3, 0xcf800000, v8
	v_cvt_u32_f32_e32 v8, v8
	v_cvt_u32_f32_e32 v3, v3
	v_mul_lo_u32 v9, s0, v8
	v_mul_hi_u32 v11, s0, v3
	v_mul_lo_u32 v10, s1, v3
	v_add_u32_e32 v9, v11, v9
	v_mul_lo_u32 v13, s0, v3
	v_add_u32_e32 v9, v9, v10
	v_mul_lo_u32 v11, v3, v9
	v_mul_hi_u32 v18, v3, v13
	v_mul_hi_u32 v10, v3, v9
	v_add_co_u32_e32 v11, vcc, v18, v11
	v_addc_co_u32_e32 v10, vcc, 0, v10, vcc
	v_mul_hi_u32 v19, v8, v13
	v_mul_lo_u32 v13, v8, v13
	v_add_co_u32_e32 v11, vcc, v11, v13
	v_mul_hi_u32 v18, v8, v9
	v_addc_co_u32_e32 v10, vcc, v10, v19, vcc
	v_addc_co_u32_e32 v11, vcc, 0, v18, vcc
	v_mul_lo_u32 v9, v8, v9
	v_add_co_u32_e32 v9, vcc, v10, v9
	v_addc_co_u32_e32 v10, vcc, 0, v11, vcc
	v_add_co_u32_e32 v3, vcc, v3, v9
	v_addc_co_u32_e32 v8, vcc, v8, v10, vcc
	v_mul_lo_u32 v9, s0, v8
	v_mul_hi_u32 v10, s0, v3
	v_add_u32_e32 v9, v10, v9
	v_mul_lo_u32 v10, s1, v3
	v_add_u32_e32 v9, v9, v10
	v_mul_lo_u32 v11, s0, v3
	v_mul_hi_u32 v13, v8, v11
	v_mul_lo_u32 v18, v8, v11
	v_mul_lo_u32 v20, v3, v9
	v_mul_hi_u32 v11, v3, v11
	v_mul_hi_u32 v19, v3, v9
	v_add_co_u32_e32 v11, vcc, v11, v20
	v_addc_co_u32_e32 v19, vcc, 0, v19, vcc
	v_add_co_u32_e32 v11, vcc, v11, v18
	v_mul_hi_u32 v10, v8, v9
	v_addc_co_u32_e32 v11, vcc, v19, v13, vcc
	v_addc_co_u32_e32 v10, vcc, 0, v10, vcc
	v_mul_lo_u32 v9, v8, v9
	v_add_co_u32_e32 v9, vcc, v11, v9
	v_addc_co_u32_e32 v10, vcc, 0, v10, vcc
	v_add_co_u32_e32 v3, vcc, v3, v9
	v_addc_co_u32_e32 v10, vcc, v8, v10, vcc
	;; [unrolled: 2-line block ×3, first 2 shown]
	v_xor_b32_e32 v18, v8, v27
	v_xor_b32_e32 v13, v9, v27
	v_mad_u64_u32 v[8:9], s[0:1], v18, v10, 0
	v_mul_hi_u32 v11, v18, v3
	v_add_co_u32_e32 v19, vcc, v11, v8
	v_addc_co_u32_e32 v20, vcc, 0, v9, vcc
	v_mad_u64_u32 v[8:9], s[0:1], v13, v10, 0
	v_mad_u64_u32 v[10:11], s[0:1], v13, v3, 0
	v_add_co_u32_e32 v3, vcc, v19, v10
	v_addc_co_u32_e32 v3, vcc, v20, v11, vcc
	v_addc_co_u32_e32 v9, vcc, 0, v9, vcc
	v_add_co_u32_e32 v3, vcc, v3, v8
	v_addc_co_u32_e32 v10, vcc, 0, v9, vcc
	v_mul_lo_u32 v11, s69, v3
	v_mul_lo_u32 v19, s68, v10
	v_mad_u64_u32 v[8:9], s[0:1], s68, v3, 0
	v_add3_u32 v9, v9, v19, v11
	v_sub_u32_e32 v11, v13, v9
	v_mov_b32_e32 v19, s69
	v_sub_co_u32_e32 v8, vcc, v18, v8
	v_subb_co_u32_e64 v11, s[0:1], v11, v19, vcc
	v_subrev_co_u32_e64 v18, s[0:1], s68, v8
	v_subbrev_co_u32_e64 v11, s[0:1], 0, v11, s[0:1]
	v_cmp_le_u32_e64 s[0:1], s69, v11
	v_cndmask_b32_e64 v19, 0, -1, s[0:1]
	v_cmp_le_u32_e64 s[0:1], s68, v18
	v_cndmask_b32_e64 v18, 0, -1, s[0:1]
	v_cmp_eq_u32_e64 s[0:1], s69, v11
	v_cndmask_b32_e64 v11, v19, v18, s[0:1]
	v_add_co_u32_e64 v18, s[0:1], 2, v3
	v_subb_co_u32_e32 v9, vcc, v13, v9, vcc
	v_addc_co_u32_e64 v19, s[0:1], 0, v10, s[0:1]
	v_cmp_le_u32_e32 vcc, s69, v9
	v_add_co_u32_e64 v20, s[0:1], 1, v3
	v_cndmask_b32_e64 v13, 0, -1, vcc
	v_cmp_le_u32_e32 vcc, s68, v8
	v_addc_co_u32_e64 v21, s[0:1], 0, v10, s[0:1]
	v_cndmask_b32_e64 v8, 0, -1, vcc
	v_cmp_eq_u32_e32 vcc, s69, v9
	v_cmp_ne_u32_e64 s[0:1], 0, v11
	v_cndmask_b32_e32 v8, v13, v8, vcc
	v_cmp_ne_u32_e32 vcc, 0, v8
	v_cndmask_b32_e64 v9, v20, v18, s[0:1]
	v_cndmask_b32_e64 v11, v21, v19, s[0:1]
	v_cndmask_b32_e32 v3, v3, v9, vcc
	v_xor_b32_e32 v9, s66, v27
	v_cndmask_b32_e32 v8, v10, v11, vcc
	v_xor_b32_e32 v3, v3, v9
	v_xor_b32_e32 v10, v8, v9
	v_sub_co_u32_e32 v8, vcc, v3, v9
	v_subb_co_u32_e32 v9, vcc, v10, v9, vcc
.LBB39_37:                              ;   in Loop: Header=BB39_3 Depth=1
	s_andn2_saveexec_b64 s[0:1], s[64:65]
	s_cbranch_execz .LBB39_39
; %bb.38:                               ;   in Loop: Header=BB39_3 Depth=1
	v_cvt_f32_u32_e32 v3, s50
	s_sub_i32 s64, 0, s50
	v_rcp_iflag_f32_e32 v3, v3
	v_mul_f32_e32 v3, 0x4f7ffffe, v3
	v_cvt_u32_f32_e32 v3, v3
	v_mul_lo_u32 v8, s64, v3
	v_mul_hi_u32 v8, v3, v8
	v_add_u32_e32 v3, v3, v8
	v_mul_hi_u32 v3, v0, v3
	v_mul_lo_u32 v8, v3, s50
	v_sub_u32_e32 v8, v0, v8
	v_add_u32_e32 v9, 1, v3
	v_subrev_u32_e32 v10, s50, v8
	v_cmp_le_u32_e32 vcc, s50, v8
	v_cndmask_b32_e32 v8, v8, v10, vcc
	v_cndmask_b32_e32 v3, v3, v9, vcc
	v_add_u32_e32 v9, 1, v3
	v_cmp_le_u32_e32 vcc, s50, v8
	v_cndmask_b32_e32 v8, v3, v9, vcc
	v_mov_b32_e32 v9, v2
.LBB39_39:                              ;   in Loop: Header=BB39_3 Depth=1
	s_or_b64 exec, exec, s[0:1]
	s_andn2_b64 vcc, exec, s[58:59]
	v_mov_b32_e32 v3, 0
	v_mov_b32_e32 v19, 0
	;; [unrolled: 1-line block ×6, first 2 shown]
	s_cbranch_vccnz .LBB39_41
; %bb.40:                               ;   in Loop: Header=BB39_3 Depth=1
	v_mad_u64_u32 v[20:21], s[0:1], s71, v4, v[0:1]
	v_mul_lo_u32 v3, s71, v5
	v_mul_lo_u32 v10, s72, v4
	v_add3_u32 v13, v10, v21, v3
	v_mul_lo_u32 v3, v20, s39
	v_mul_lo_u32 v18, v13, s38
	v_mad_u64_u32 v[10:11], s[0:1], v20, s38, 0
	v_add3_u32 v11, v11, v3, v18
	v_lshlrev_b64 v[10:11], 2, v[10:11]
	v_mov_b32_e32 v3, s37
	v_add_co_u32_e32 v10, vcc, s36, v10
	v_addc_co_u32_e32 v11, vcc, v3, v11, vcc
	v_sub_co_u32_e32 v18, vcc, 1, v4
	v_subb_co_u32_e32 v19, vcc, 0, v5, vcc
	v_mul_lo_u32 v19, s8, v19
	v_mul_lo_u32 v21, s9, v18
	v_mad_u64_u32 v[28:29], s[0:1], s8, v18, v[0:1]
	v_add3_u32 v27, v21, v29, v19
	v_mul_lo_u32 v21, v27, s38
	v_mul_lo_u32 v29, v28, s39
	v_mad_u64_u32 v[18:19], s[0:1], v28, s38, 0
	v_add3_u32 v19, v19, v29, v21
	v_lshlrev_b64 v[18:19], 2, v[18:19]
	v_add_co_u32_e32 v30, vcc, s36, v18
	v_addc_co_u32_e32 v31, vcc, v3, v19, vcc
	v_sub_co_u32_e32 v18, vcc, 2, v4
	v_subb_co_u32_e32 v19, vcc, 0, v5, vcc
	v_mul_lo_u32 v19, s8, v19
	v_mul_lo_u32 v21, s9, v18
	v_mad_u64_u32 v[32:33], s[0:1], s8, v18, v[0:1]
	v_add3_u32 v33, v21, v33, v19
	v_mul_lo_u32 v21, v33, s38
	v_mul_lo_u32 v29, v32, s39
	v_mad_u64_u32 v[18:19], s[0:1], v32, s38, 0
	v_add3_u32 v19, v19, v29, v21
	v_lshlrev_b64 v[18:19], 2, v[18:19]
	v_add_co_u32_e32 v34, vcc, s36, v18
	v_addc_co_u32_e32 v35, vcc, v3, v19, vcc
	global_load_dword v18, v[10:11], off
	global_load_dword v3, v[30:31], off
	s_nop 0
	global_load_dword v10, v[34:35], off
	v_mul_lo_u32 v11, v20, s43
	v_mul_lo_u32 v13, v13, s42
	v_mad_u64_u32 v[20:21], s[0:1], v20, s42, 0
	v_add3_u32 v21, v21, v11, v13
	v_lshlrev_b64 v[20:21], 2, v[20:21]
	v_mul_lo_u32 v13, v27, s42
	v_mul_lo_u32 v19, v28, s43
	v_mad_u64_u32 v[28:29], s[0:1], v28, s42, 0
	v_mov_b32_e32 v11, s41
	v_add_co_u32_e32 v20, vcc, s40, v20
	v_add3_u32 v29, v29, v19, v13
	v_addc_co_u32_e32 v21, vcc, v11, v21, vcc
	v_lshlrev_b64 v[28:29], 2, v[28:29]
	v_mul_lo_u32 v13, v33, s42
	v_mul_lo_u32 v19, v32, s43
	v_mad_u64_u32 v[30:31], s[0:1], v32, s42, 0
	v_add_co_u32_e32 v28, vcc, s40, v28
	v_add3_u32 v31, v31, v19, v13
	v_addc_co_u32_e32 v29, vcc, v11, v29, vcc
	v_lshlrev_b64 v[30:31], 2, v[30:31]
	v_add_co_u32_e32 v30, vcc, s40, v30
	v_addc_co_u32_e32 v31, vcc, v11, v31, vcc
	global_load_dword v19, v[20:21], off
	global_load_dword v13, v[28:29], off
	;; [unrolled: 1-line block ×3, first 2 shown]
.LBB39_41:                              ;   in Loop: Header=BB39_3 Depth=1
	s_waitcnt vmcnt(3)
	v_add_f32_e32 v14, v15, v14
	v_add_f32_e32 v14, v14, v18
	s_waitcnt vmcnt(2)
	v_add_f32_e32 v14, v19, v14
	v_mul_f32_e32 v15, 0xbfb8aa3b, v14
	v_fma_f32 v18, v14, s77, -v15
	v_rndne_f32_e32 v19, v15
	v_fmac_f32_e32 v18, 0xb2a5705f, v14
	v_sub_f32_e32 v15, v15, v19
	v_add_f32_e32 v15, v15, v18
	v_cvt_i32_f32_e32 v18, v19
	v_exp_f32_e32 v15, v15
	v_cmp_nlt_f32_e32 vcc, s78, v14
	s_waitcnt vmcnt(0)
	v_pk_add_f32 v[6:7], v[6:7], v[10:11]
	v_ldexp_f32 v15, v15, v18
	v_cndmask_b32_e32 v15, 0, v15, vcc
	v_cmp_ngt_f32_e32 vcc, s79, v14
	v_cndmask_b32_e32 v14, v26, v15, vcc
	v_add_f32_e32 v14, 1.0, v14
	v_div_scale_f32 v15, s[0:1], v14, v14, 1.0
	v_rcp_f32_e32 v18, v15
	v_fma_f32 v19, -v15, v18, 1.0
	v_fmac_f32_e32 v18, v19, v18
	v_div_scale_f32 v19, vcc, 1.0, v14, 1.0
	v_mul_f32_e32 v20, v19, v18
	v_fma_f32 v21, -v15, v20, v19
	v_fmac_f32_e32 v20, v21, v18
	v_fma_f32 v15, -v15, v20, v19
	v_div_fmas_f32 v15, v15, v18, v20
	v_div_fixup_f32 v15, v15, v14, 1.0
	v_fma_f32 v6, v7, v15, v6
	v_cmp_nlt_f32_e64 s[0:1], |v6|, s80
                                        ; implicit-def: $vgpr18
	s_and_saveexec_b64 s[64:65], s[0:1]
	s_xor_b64 s[0:1], exec, s[64:65]
	s_cbranch_execz .LBB39_43
; %bb.42:                               ;   in Loop: Header=BB39_3 Depth=1
	v_add_f32_e64 v10, |v6|, |v6|
	v_mul_f32_e32 v11, 0x3fb8aa3b, v10
	v_rndne_f32_e32 v14, v11
	v_sub_f32_e32 v18, v11, v14
	v_fma_f32 v11, v10, s81, -v11
	v_fmac_f32_e32 v11, 0x32a5705f, v10
	v_add_f32_e32 v11, v18, v11
	v_cvt_i32_f32_e32 v14, v14
	v_exp_f32_e32 v11, v11
	v_cmp_ngt_f32_e32 vcc, s82, v10
	v_ldexp_f32 v11, v11, v14
	v_cndmask_b32_e32 v11, 0, v11, vcc
	v_cmp_nlt_f32_e32 vcc, s83, v10
	v_cndmask_b32_e32 v10, v26, v11, vcc
	v_add_f32_e32 v10, 1.0, v10
	v_rcp_f32_e32 v10, v10
	v_fma_f32 v18, v10, -2.0, 1.0
.LBB39_43:                              ;   in Loop: Header=BB39_3 Depth=1
	s_andn2_saveexec_b64 s[0:1], s[0:1]
; %bb.44:                               ;   in Loop: Header=BB39_3 Depth=1
	v_mul_f32_e32 v10, v6, v6
	v_mov_b32_e32 v11, 0x3ca908c9
	v_fmac_f32_e32 v11, 0xbbbac73d, v10
	v_fma_f32 v11, v10, v11, v22
	v_fma_f32 v11, v10, v11, v23
	;; [unrolled: 1-line block ×3, first 2 shown]
	v_mul_f32_e64 v11, |v6|, v11
	v_fma_f32 v18, v10, v11, |v6|
; %bb.45:                               ;   in Loop: Header=BB39_3 Depth=1
	s_or_b64 exec, exec, s[0:1]
	v_add_f32_e32 v10, v17, v16
	v_add_f32_e32 v3, v10, v3
	;; [unrolled: 1-line block ×3, first 2 shown]
	v_mul_f32_e32 v10, 0xbfb8aa3b, v3
	v_fma_f32 v11, v3, s77, -v10
	v_rndne_f32_e32 v13, v10
	v_fmac_f32_e32 v11, 0xb2a5705f, v3
	v_sub_f32_e32 v10, v10, v13
	v_add_f32_e32 v10, v10, v11
	v_exp_f32_e32 v10, v10
	v_cvt_i32_f32_e32 v11, v13
	v_cmp_nlt_f32_e32 vcc, s78, v3
	v_mul_lo_u32 v16, s63, v4
	v_mul_lo_u32 v17, s62, v5
	v_ldexp_f32 v10, v10, v11
	v_cndmask_b32_e32 v10, 0, v10, vcc
	v_cmp_ngt_f32_e32 vcc, s79, v3
	v_cndmask_b32_e32 v3, v26, v10, vcc
	v_add_f32_e32 v3, 1.0, v3
	v_div_scale_f32 v13, s[0:1], v3, v3, 1.0
	v_rcp_f32_e32 v14, v13
	v_mad_u64_u32 v[10:11], s[0:1], s62, v4, v[0:1]
	v_add3_u32 v11, v16, v11, v17
	v_fma_f32 v19, -v13, v14, 1.0
	v_fmac_f32_e32 v14, v19, v14
	v_div_scale_f32 v19, vcc, 1.0, v3, 1.0
	v_mul_f32_e32 v20, v19, v14
	v_fma_f32 v21, -v13, v20, v19
	v_fmac_f32_e32 v20, v21, v14
	v_fma_f32 v13, -v13, v20, v19
	v_div_fmas_f32 v13, v13, v14, v20
	v_div_fixup_f32 v14, v13, v3, 1.0
	v_mad_u64_u32 v[20:21], s[0:1], s75, v8, v[0:1]
	v_mul_lo_u32 v3, s75, v9
	v_mul_lo_u32 v13, s76, v8
	v_add3_u32 v3, v13, v21, v3
	v_mul_lo_u32 v13, v20, s27
	v_mul_lo_u32 v3, v3, s26
	v_mad_u64_u32 v[20:21], s[0:1], v20, s26, 0
	v_add3_u32 v21, v21, v13, v3
	v_mul_lo_u32 v3, v9, s24
	v_mul_lo_u32 v13, v8, s25
	v_mad_u64_u32 v[8:9], s[0:1], v8, s24, 0
	v_add3_u32 v9, v9, v13, v3
	v_lshlrev_b64 v[8:9], 2, v[8:9]
	v_mov_b32_e32 v3, s49
	v_add_co_u32_e32 v13, vcc, s48, v8
	v_addc_co_u32_e32 v3, vcc, v3, v9, vcc
	v_lshlrev_b64 v[8:9], 2, v[20:21]
	v_add_co_u32_e32 v8, vcc, v13, v8
	v_bfi_b32 v13, s84, v18, v6
	v_addc_co_u32_e32 v9, vcc, v3, v9, vcc
	v_sub_f32_e32 v3, v12, v13
	v_fma_f32 v3, v14, v3, v13
	global_store_dword v[8:9], v3, off
	v_or_b32_e32 v3, s55, v11
	v_cmp_ne_u64_e32 vcc, 0, v[2:3]
                                        ; implicit-def: $vgpr8_vgpr9
	s_and_saveexec_b64 s[0:1], vcc
	s_xor_b64 s[64:65], exec, s[0:1]
	s_cbranch_execz .LBB39_47
; %bb.46:                               ;   in Loop: Header=BB39_3 Depth=1
	s_ashr_i32 s66, s55, 31
	s_add_u32 s0, s54, s66
	s_mov_b32 s67, s66
	s_addc_u32 s1, s55, s66
	s_xor_b64 s[68:69], s[0:1], s[66:67]
	v_cvt_f32_u32_e32 v3, s68
	v_cvt_f32_u32_e32 v6, s69
	s_sub_u32 s0, 0, s68
	s_subb_u32 s1, 0, s69
	v_mac_f32_e32 v3, 0x4f800000, v6
	v_rcp_f32_e32 v3, v3
	v_mul_f32_e32 v3, 0x5f7ffffc, v3
	v_mul_f32_e32 v6, 0x2f800000, v3
	v_trunc_f32_e32 v6, v6
	v_mac_f32_e32 v3, 0xcf800000, v6
	v_cvt_u32_f32_e32 v6, v6
	v_cvt_u32_f32_e32 v3, v3
	v_mul_lo_u32 v8, s0, v6
	v_mul_hi_u32 v18, s0, v3
	v_mul_lo_u32 v9, s1, v3
	v_add_u32_e32 v8, v18, v8
	v_mul_lo_u32 v19, s0, v3
	v_add_u32_e32 v8, v8, v9
	v_mul_lo_u32 v18, v3, v8
	v_mul_hi_u32 v20, v3, v19
	v_mul_hi_u32 v9, v3, v8
	v_add_co_u32_e32 v18, vcc, v20, v18
	v_addc_co_u32_e32 v9, vcc, 0, v9, vcc
	v_mul_hi_u32 v21, v6, v19
	v_mul_lo_u32 v19, v6, v19
	v_add_co_u32_e32 v18, vcc, v18, v19
	v_mul_hi_u32 v20, v6, v8
	v_addc_co_u32_e32 v9, vcc, v9, v21, vcc
	v_addc_co_u32_e32 v18, vcc, 0, v20, vcc
	v_mul_lo_u32 v8, v6, v8
	v_add_co_u32_e32 v8, vcc, v9, v8
	v_addc_co_u32_e32 v9, vcc, 0, v18, vcc
	v_add_co_u32_e32 v3, vcc, v3, v8
	v_addc_co_u32_e32 v6, vcc, v6, v9, vcc
	v_mul_lo_u32 v8, s0, v6
	v_mul_hi_u32 v9, s0, v3
	v_add_u32_e32 v8, v9, v8
	v_mul_lo_u32 v9, s1, v3
	v_add_u32_e32 v8, v8, v9
	v_mul_lo_u32 v18, s0, v3
	v_mul_hi_u32 v19, v6, v18
	v_mul_lo_u32 v20, v6, v18
	v_mul_lo_u32 v27, v3, v8
	v_mul_hi_u32 v18, v3, v18
	v_mul_hi_u32 v21, v3, v8
	v_add_co_u32_e32 v18, vcc, v18, v27
	v_addc_co_u32_e32 v21, vcc, 0, v21, vcc
	v_add_co_u32_e32 v18, vcc, v18, v20
	v_mul_hi_u32 v9, v6, v8
	v_addc_co_u32_e32 v18, vcc, v21, v19, vcc
	v_addc_co_u32_e32 v9, vcc, 0, v9, vcc
	v_mul_lo_u32 v8, v6, v8
	v_add_co_u32_e32 v8, vcc, v18, v8
	v_addc_co_u32_e32 v9, vcc, 0, v9, vcc
	v_add_co_u32_e32 v3, vcc, v3, v8
	v_addc_co_u32_e32 v6, vcc, v6, v9, vcc
	v_ashrrev_i32_e32 v18, 31, v11
	v_add_co_u32_e32 v8, vcc, v10, v18
	v_addc_co_u32_e32 v9, vcc, v11, v18, vcc
	v_xor_b32_e32 v20, v8, v18
	v_xor_b32_e32 v19, v9, v18
	v_mad_u64_u32 v[8:9], s[0:1], v20, v6, 0
	v_mul_hi_u32 v10, v20, v3
	v_add_co_u32_e32 v21, vcc, v10, v8
	v_addc_co_u32_e32 v27, vcc, 0, v9, vcc
	v_mad_u64_u32 v[10:11], s[0:1], v19, v3, 0
	v_add_co_u32_e32 v3, vcc, v21, v10
	v_mad_u64_u32 v[8:9], s[0:1], v19, v6, 0
	v_addc_co_u32_e32 v3, vcc, v27, v11, vcc
	v_addc_co_u32_e32 v6, vcc, 0, v9, vcc
	v_add_co_u32_e32 v3, vcc, v3, v8
	v_addc_co_u32_e32 v6, vcc, 0, v6, vcc
	v_mul_lo_u32 v10, s69, v3
	v_mul_lo_u32 v11, s68, v6
	v_mad_u64_u32 v[8:9], s[0:1], s68, v3, 0
	v_add3_u32 v9, v9, v11, v10
	v_sub_u32_e32 v10, v19, v9
	v_mov_b32_e32 v11, s69
	v_sub_co_u32_e32 v8, vcc, v20, v8
	v_subb_co_u32_e64 v10, s[0:1], v10, v11, vcc
	v_subrev_co_u32_e64 v11, s[0:1], s68, v8
	v_subbrev_co_u32_e64 v10, s[0:1], 0, v10, s[0:1]
	v_cmp_le_u32_e64 s[0:1], s69, v10
	v_cndmask_b32_e64 v20, 0, -1, s[0:1]
	v_cmp_le_u32_e64 s[0:1], s68, v11
	v_cndmask_b32_e64 v11, 0, -1, s[0:1]
	v_cmp_eq_u32_e64 s[0:1], s69, v10
	v_cndmask_b32_e64 v10, v20, v11, s[0:1]
	v_add_co_u32_e64 v11, s[0:1], 2, v3
	v_subb_co_u32_e32 v9, vcc, v19, v9, vcc
	v_addc_co_u32_e64 v20, s[0:1], 0, v6, s[0:1]
	v_cmp_le_u32_e32 vcc, s69, v9
	v_add_co_u32_e64 v21, s[0:1], 1, v3
	v_cndmask_b32_e64 v19, 0, -1, vcc
	v_cmp_le_u32_e32 vcc, s68, v8
	v_addc_co_u32_e64 v27, s[0:1], 0, v6, s[0:1]
	v_cndmask_b32_e64 v8, 0, -1, vcc
	v_cmp_eq_u32_e32 vcc, s69, v9
	v_cmp_ne_u32_e64 s[0:1], 0, v10
	v_cndmask_b32_e32 v8, v19, v8, vcc
	v_cmp_ne_u32_e32 vcc, 0, v8
	v_cndmask_b32_e64 v8, v21, v11, s[0:1]
	v_cndmask_b32_e64 v10, v27, v20, s[0:1]
	v_cndmask_b32_e32 v3, v3, v8, vcc
	v_xor_b32_e32 v9, s66, v18
	v_cndmask_b32_e32 v6, v6, v10, vcc
	v_xor_b32_e32 v3, v3, v9
	v_xor_b32_e32 v6, v6, v9
	v_sub_co_u32_e32 v8, vcc, v3, v9
	v_subb_co_u32_e32 v9, vcc, v6, v9, vcc
                                        ; implicit-def: $vgpr10_vgpr11
.LBB39_47:                              ;   in Loop: Header=BB39_3 Depth=1
	s_or_saveexec_b64 s[0:1], s[64:65]
	v_cvt_f32_u32_e32 v6, s54
	s_xor_b64 exec, exec, s[0:1]
	s_cbranch_execz .LBB39_49
; %bb.48:                               ;   in Loop: Header=BB39_3 Depth=1
	v_rcp_iflag_f32_e32 v3, v6
	s_sub_i32 s64, 0, s54
	v_mul_f32_e32 v3, 0x4f7ffffe, v3
	v_cvt_u32_f32_e32 v3, v3
	v_mul_lo_u32 v8, s64, v3
	v_mul_hi_u32 v8, v3, v8
	v_add_u32_e32 v3, v3, v8
	v_mul_hi_u32 v3, v10, v3
	v_mul_lo_u32 v8, v3, s54
	v_sub_u32_e32 v8, v10, v8
	v_add_u32_e32 v9, 1, v3
	v_subrev_u32_e32 v10, s54, v8
	v_cmp_le_u32_e32 vcc, s54, v8
	v_cndmask_b32_e32 v8, v8, v10, vcc
	v_cndmask_b32_e32 v3, v3, v9, vcc
	v_add_u32_e32 v9, 1, v3
	v_cmp_le_u32_e32 vcc, s54, v8
	v_cndmask_b32_e32 v8, v3, v9, vcc
	v_mov_b32_e32 v9, v2
.LBB39_49:                              ;   in Loop: Header=BB39_3 Depth=1
	s_or_b64 exec, exec, s[0:1]
	v_mad_u64_u32 v[10:11], s[0:1], s62, v4, 0
	v_add3_u32 v3, v11, v17, v16
	v_mul_lo_u32 v11, v9, s54
	v_mul_lo_u32 v18, v8, s55
	v_mad_u64_u32 v[16:17], s[0:1], v8, s54, 0
	v_add3_u32 v11, v17, v18, v11
	v_sub_co_u32_e32 v10, vcc, v10, v16
	v_subb_co_u32_e32 v3, vcc, v3, v11, vcc
	v_add_co_u32_e32 v10, vcc, v0, v10
	v_addc_co_u32_e32 v3, vcc, v1, v3, vcc
	v_mul_lo_u32 v3, v3, s6
	v_mul_lo_u32 v16, v10, s7
	v_mad_u64_u32 v[10:11], s[0:1], v10, s6, 0
	v_add3_u32 v11, v11, v16, v3
	v_mul_lo_u32 v3, v9, s4
	v_mul_lo_u32 v16, v8, s5
	v_mad_u64_u32 v[8:9], s[0:1], v8, s4, 0
	v_add3_u32 v9, v9, v16, v3
	v_lshlrev_b64 v[8:9], 2, v[8:9]
	v_mov_b32_e32 v3, s53
	v_add_co_u32_e32 v16, vcc, s52, v8
	v_addc_co_u32_e32 v3, vcc, v3, v9, vcc
	v_lshlrev_b64 v[8:9], 2, v[10:11]
	v_add_co_u32_e32 v8, vcc, v16, v8
	v_addc_co_u32_e32 v9, vcc, v3, v9, vcc
	v_lshlrev_b64 v[4:5], 2, v[4:5]
	global_store_dword v[8:9], v15, off
	v_or_b32_e32 v15, 1, v4
	v_mul_lo_u32 v16, s9, v15
	v_mul_lo_u32 v17, s8, v5
	v_mad_u64_u32 v[8:9], s[0:1], s8, v15, v[0:1]
	v_add3_u32 v9, v16, v9, v17
	v_or_b32_e32 v3, s55, v9
	v_cmp_ne_u64_e32 vcc, 0, v[2:3]
                                        ; implicit-def: $vgpr10_vgpr11
	s_and_saveexec_b64 s[0:1], vcc
	s_xor_b64 s[64:65], exec, s[0:1]
	s_cbranch_execz .LBB39_51
; %bb.50:                               ;   in Loop: Header=BB39_3 Depth=1
	s_ashr_i32 s66, s55, 31
	s_add_u32 s0, s54, s66
	s_mov_b32 s67, s66
	s_addc_u32 s1, s55, s66
	s_xor_b64 s[68:69], s[0:1], s[66:67]
	v_cvt_f32_u32_e32 v3, s68
	v_cvt_f32_u32_e32 v10, s69
	s_sub_u32 s0, 0, s68
	s_subb_u32 s1, 0, s69
	v_mac_f32_e32 v3, 0x4f800000, v10
	v_rcp_f32_e32 v3, v3
	v_mul_f32_e32 v3, 0x5f7ffffc, v3
	v_mul_f32_e32 v10, 0x2f800000, v3
	v_trunc_f32_e32 v10, v10
	v_mac_f32_e32 v3, 0xcf800000, v10
	v_cvt_u32_f32_e32 v10, v10
	v_cvt_u32_f32_e32 v3, v3
	v_mul_lo_u32 v11, s0, v10
	v_mul_hi_u32 v19, s0, v3
	v_mul_lo_u32 v18, s1, v3
	v_add_u32_e32 v11, v19, v11
	v_mul_lo_u32 v20, s0, v3
	v_add_u32_e32 v11, v11, v18
	v_mul_lo_u32 v19, v3, v11
	v_mul_hi_u32 v21, v3, v20
	v_mul_hi_u32 v18, v3, v11
	v_add_co_u32_e32 v19, vcc, v21, v19
	v_addc_co_u32_e32 v18, vcc, 0, v18, vcc
	v_mul_hi_u32 v27, v10, v20
	v_mul_lo_u32 v20, v10, v20
	v_add_co_u32_e32 v19, vcc, v19, v20
	v_mul_hi_u32 v21, v10, v11
	v_addc_co_u32_e32 v18, vcc, v18, v27, vcc
	v_addc_co_u32_e32 v19, vcc, 0, v21, vcc
	v_mul_lo_u32 v11, v10, v11
	v_add_co_u32_e32 v11, vcc, v18, v11
	v_addc_co_u32_e32 v18, vcc, 0, v19, vcc
	v_add_co_u32_e32 v3, vcc, v3, v11
	v_addc_co_u32_e32 v10, vcc, v10, v18, vcc
	v_mul_lo_u32 v11, s0, v10
	v_mul_hi_u32 v18, s0, v3
	v_add_u32_e32 v11, v18, v11
	v_mul_lo_u32 v18, s1, v3
	v_add_u32_e32 v11, v11, v18
	v_mul_lo_u32 v19, s0, v3
	v_mul_hi_u32 v20, v10, v19
	v_mul_lo_u32 v21, v10, v19
	v_mul_lo_u32 v28, v3, v11
	v_mul_hi_u32 v19, v3, v19
	v_mul_hi_u32 v27, v3, v11
	v_add_co_u32_e32 v19, vcc, v19, v28
	v_addc_co_u32_e32 v27, vcc, 0, v27, vcc
	v_add_co_u32_e32 v19, vcc, v19, v21
	v_mul_hi_u32 v18, v10, v11
	v_addc_co_u32_e32 v19, vcc, v27, v20, vcc
	v_addc_co_u32_e32 v18, vcc, 0, v18, vcc
	v_mul_lo_u32 v11, v10, v11
	v_add_co_u32_e32 v11, vcc, v19, v11
	v_addc_co_u32_e32 v18, vcc, 0, v18, vcc
	v_add_co_u32_e32 v3, vcc, v3, v11
	v_addc_co_u32_e32 v10, vcc, v10, v18, vcc
	v_ashrrev_i32_e32 v18, 31, v9
	v_add_co_u32_e32 v8, vcc, v8, v18
	v_addc_co_u32_e32 v9, vcc, v9, v18, vcc
	v_xor_b32_e32 v20, v8, v18
	v_xor_b32_e32 v19, v9, v18
	v_mad_u64_u32 v[8:9], s[0:1], v20, v10, 0
	v_mul_hi_u32 v11, v20, v3
	v_add_co_u32_e32 v21, vcc, v11, v8
	v_addc_co_u32_e32 v27, vcc, 0, v9, vcc
	v_mad_u64_u32 v[8:9], s[0:1], v19, v10, 0
	v_mad_u64_u32 v[10:11], s[0:1], v19, v3, 0
	v_add_co_u32_e32 v3, vcc, v21, v10
	v_addc_co_u32_e32 v3, vcc, v27, v11, vcc
	v_addc_co_u32_e32 v9, vcc, 0, v9, vcc
	v_add_co_u32_e32 v3, vcc, v3, v8
	v_addc_co_u32_e32 v10, vcc, 0, v9, vcc
	v_mul_lo_u32 v11, s69, v3
	v_mul_lo_u32 v21, s68, v10
	v_mad_u64_u32 v[8:9], s[0:1], s68, v3, 0
	v_add3_u32 v9, v9, v21, v11
	v_sub_u32_e32 v11, v19, v9
	v_mov_b32_e32 v21, s69
	v_sub_co_u32_e32 v8, vcc, v20, v8
	v_subb_co_u32_e64 v11, s[0:1], v11, v21, vcc
	v_subrev_co_u32_e64 v20, s[0:1], s68, v8
	v_subbrev_co_u32_e64 v11, s[0:1], 0, v11, s[0:1]
	v_cmp_le_u32_e64 s[0:1], s69, v11
	v_cndmask_b32_e64 v21, 0, -1, s[0:1]
	v_cmp_le_u32_e64 s[0:1], s68, v20
	v_cndmask_b32_e64 v20, 0, -1, s[0:1]
	v_cmp_eq_u32_e64 s[0:1], s69, v11
	v_cndmask_b32_e64 v11, v21, v20, s[0:1]
	v_add_co_u32_e64 v20, s[0:1], 2, v3
	v_subb_co_u32_e32 v9, vcc, v19, v9, vcc
	v_addc_co_u32_e64 v21, s[0:1], 0, v10, s[0:1]
	v_cmp_le_u32_e32 vcc, s69, v9
	v_add_co_u32_e64 v27, s[0:1], 1, v3
	v_cndmask_b32_e64 v19, 0, -1, vcc
	v_cmp_le_u32_e32 vcc, s68, v8
	v_addc_co_u32_e64 v28, s[0:1], 0, v10, s[0:1]
	v_cndmask_b32_e64 v8, 0, -1, vcc
	v_cmp_eq_u32_e32 vcc, s69, v9
	v_cmp_ne_u32_e64 s[0:1], 0, v11
	v_cndmask_b32_e32 v8, v19, v8, vcc
	v_cmp_ne_u32_e32 vcc, 0, v8
	v_cndmask_b32_e64 v9, v27, v20, s[0:1]
	v_cndmask_b32_e64 v11, v28, v21, s[0:1]
	v_cndmask_b32_e32 v3, v3, v9, vcc
	v_xor_b32_e32 v9, s66, v18
	v_cndmask_b32_e32 v8, v10, v11, vcc
	v_xor_b32_e32 v3, v3, v9
	v_xor_b32_e32 v8, v8, v9
	v_sub_co_u32_e32 v10, vcc, v3, v9
	v_subb_co_u32_e32 v11, vcc, v8, v9, vcc
                                        ; implicit-def: $vgpr8_vgpr9
.LBB39_51:                              ;   in Loop: Header=BB39_3 Depth=1
	s_andn2_saveexec_b64 s[0:1], s[64:65]
	s_cbranch_execz .LBB39_53
; %bb.52:                               ;   in Loop: Header=BB39_3 Depth=1
	v_rcp_iflag_f32_e32 v3, v6
	s_sub_i32 s64, 0, s54
	v_mov_b32_e32 v11, v2
	v_mul_f32_e32 v3, 0x4f7ffffe, v3
	v_cvt_u32_f32_e32 v3, v3
	v_mul_lo_u32 v9, s64, v3
	v_mul_hi_u32 v9, v3, v9
	v_add_u32_e32 v3, v3, v9
	v_mul_hi_u32 v3, v8, v3
	v_mul_lo_u32 v9, v3, s54
	v_sub_u32_e32 v8, v8, v9
	v_add_u32_e32 v10, 1, v3
	v_subrev_u32_e32 v9, s54, v8
	v_cmp_le_u32_e32 vcc, s54, v8
	v_cndmask_b32_e32 v8, v8, v9, vcc
	v_cndmask_b32_e32 v3, v3, v10, vcc
	v_add_u32_e32 v9, 1, v3
	v_cmp_le_u32_e32 vcc, s54, v8
	v_cndmask_b32_e32 v10, v3, v9, vcc
.LBB39_53:                              ;   in Loop: Header=BB39_3 Depth=1
	s_or_b64 exec, exec, s[0:1]
	v_mad_u64_u32 v[8:9], s[0:1], s8, v15, 0
	v_add3_u32 v3, v9, v17, v16
	v_mul_lo_u32 v9, v11, s54
	v_mul_lo_u32 v15, v10, s55
	v_mad_u64_u32 v[16:17], s[0:1], v10, s54, 0
	v_add3_u32 v9, v17, v15, v9
	v_sub_co_u32_e32 v8, vcc, v8, v16
	v_subb_co_u32_e32 v3, vcc, v3, v9, vcc
	v_add_co_u32_e32 v8, vcc, v0, v8
	v_addc_co_u32_e32 v3, vcc, v1, v3, vcc
	v_mul_lo_u32 v3, v3, s6
	v_mul_lo_u32 v15, v8, s7
	v_mad_u64_u32 v[8:9], s[0:1], v8, s6, 0
	v_add3_u32 v9, v9, v15, v3
	v_mul_lo_u32 v3, v11, s4
	v_mul_lo_u32 v15, v10, s5
	v_mad_u64_u32 v[10:11], s[0:1], v10, s4, 0
	v_add3_u32 v11, v11, v15, v3
	v_lshlrev_b64 v[10:11], 2, v[10:11]
	v_mov_b32_e32 v3, s53
	v_add_co_u32_e32 v10, vcc, s52, v10
	v_addc_co_u32_e32 v3, vcc, v3, v11, vcc
	v_lshlrev_b64 v[8:9], 2, v[8:9]
	v_add_co_u32_e32 v8, vcc, v10, v8
	v_addc_co_u32_e32 v9, vcc, v3, v9, vcc
	global_store_dword v[8:9], v14, off
	v_add_co_u32_e32 v14, vcc, 2, v4
	v_addc_co_u32_e32 v3, vcc, 0, v5, vcc
	v_mul_lo_u32 v15, s9, v14
	v_mul_lo_u32 v16, s8, v3
	v_mad_u64_u32 v[8:9], s[0:1], s8, v14, v[0:1]
	v_add3_u32 v9, v15, v9, v16
	v_or_b32_e32 v3, s55, v9
	v_cmp_ne_u64_e32 vcc, 0, v[2:3]
                                        ; implicit-def: $vgpr10_vgpr11
	s_and_saveexec_b64 s[0:1], vcc
	s_xor_b64 s[64:65], exec, s[0:1]
	s_cbranch_execz .LBB39_55
; %bb.54:                               ;   in Loop: Header=BB39_3 Depth=1
	s_ashr_i32 s66, s55, 31
	s_add_u32 s0, s54, s66
	s_mov_b32 s67, s66
	s_addc_u32 s1, s55, s66
	s_xor_b64 s[68:69], s[0:1], s[66:67]
	v_cvt_f32_u32_e32 v3, s68
	v_cvt_f32_u32_e32 v10, s69
	s_sub_u32 s0, 0, s68
	s_subb_u32 s1, 0, s69
	v_mac_f32_e32 v3, 0x4f800000, v10
	v_rcp_f32_e32 v3, v3
	v_mul_f32_e32 v3, 0x5f7ffffc, v3
	v_mul_f32_e32 v10, 0x2f800000, v3
	v_trunc_f32_e32 v10, v10
	v_mac_f32_e32 v3, 0xcf800000, v10
	v_cvt_u32_f32_e32 v10, v10
	v_cvt_u32_f32_e32 v3, v3
	v_mul_lo_u32 v11, s0, v10
	v_mul_hi_u32 v18, s0, v3
	v_mul_lo_u32 v17, s1, v3
	v_add_u32_e32 v11, v18, v11
	v_mul_lo_u32 v19, s0, v3
	v_add_u32_e32 v11, v11, v17
	v_mul_lo_u32 v18, v3, v11
	v_mul_hi_u32 v20, v3, v19
	v_mul_hi_u32 v17, v3, v11
	v_add_co_u32_e32 v18, vcc, v20, v18
	v_addc_co_u32_e32 v17, vcc, 0, v17, vcc
	v_mul_hi_u32 v21, v10, v19
	v_mul_lo_u32 v19, v10, v19
	v_add_co_u32_e32 v18, vcc, v18, v19
	v_mul_hi_u32 v20, v10, v11
	v_addc_co_u32_e32 v17, vcc, v17, v21, vcc
	v_addc_co_u32_e32 v18, vcc, 0, v20, vcc
	v_mul_lo_u32 v11, v10, v11
	v_add_co_u32_e32 v11, vcc, v17, v11
	v_addc_co_u32_e32 v17, vcc, 0, v18, vcc
	v_add_co_u32_e32 v3, vcc, v3, v11
	v_addc_co_u32_e32 v10, vcc, v10, v17, vcc
	v_mul_lo_u32 v11, s0, v10
	v_mul_hi_u32 v17, s0, v3
	v_add_u32_e32 v11, v17, v11
	v_mul_lo_u32 v17, s1, v3
	v_add_u32_e32 v11, v11, v17
	v_mul_lo_u32 v18, s0, v3
	v_mul_hi_u32 v19, v10, v18
	v_mul_lo_u32 v20, v10, v18
	v_mul_lo_u32 v27, v3, v11
	v_mul_hi_u32 v18, v3, v18
	v_mul_hi_u32 v21, v3, v11
	v_add_co_u32_e32 v18, vcc, v18, v27
	v_addc_co_u32_e32 v21, vcc, 0, v21, vcc
	v_add_co_u32_e32 v18, vcc, v18, v20
	v_mul_hi_u32 v17, v10, v11
	v_addc_co_u32_e32 v18, vcc, v21, v19, vcc
	v_addc_co_u32_e32 v17, vcc, 0, v17, vcc
	v_mul_lo_u32 v11, v10, v11
	v_add_co_u32_e32 v11, vcc, v18, v11
	v_addc_co_u32_e32 v17, vcc, 0, v17, vcc
	v_add_co_u32_e32 v3, vcc, v3, v11
	v_addc_co_u32_e32 v10, vcc, v10, v17, vcc
	v_ashrrev_i32_e32 v17, 31, v9
	v_add_co_u32_e32 v8, vcc, v8, v17
	v_addc_co_u32_e32 v9, vcc, v9, v17, vcc
	v_xor_b32_e32 v19, v8, v17
	v_xor_b32_e32 v18, v9, v17
	v_mad_u64_u32 v[8:9], s[0:1], v19, v10, 0
	v_mul_hi_u32 v11, v19, v3
	v_add_co_u32_e32 v20, vcc, v11, v8
	v_addc_co_u32_e32 v21, vcc, 0, v9, vcc
	v_mad_u64_u32 v[8:9], s[0:1], v18, v10, 0
	v_mad_u64_u32 v[10:11], s[0:1], v18, v3, 0
	v_add_co_u32_e32 v3, vcc, v20, v10
	v_addc_co_u32_e32 v3, vcc, v21, v11, vcc
	v_addc_co_u32_e32 v9, vcc, 0, v9, vcc
	v_add_co_u32_e32 v3, vcc, v3, v8
	v_addc_co_u32_e32 v10, vcc, 0, v9, vcc
	v_mul_lo_u32 v11, s69, v3
	v_mul_lo_u32 v20, s68, v10
	v_mad_u64_u32 v[8:9], s[0:1], s68, v3, 0
	v_add3_u32 v9, v9, v20, v11
	v_sub_u32_e32 v11, v18, v9
	v_mov_b32_e32 v20, s69
	v_sub_co_u32_e32 v8, vcc, v19, v8
	v_subb_co_u32_e64 v11, s[0:1], v11, v20, vcc
	v_subrev_co_u32_e64 v19, s[0:1], s68, v8
	v_subbrev_co_u32_e64 v11, s[0:1], 0, v11, s[0:1]
	v_cmp_le_u32_e64 s[0:1], s69, v11
	v_cndmask_b32_e64 v20, 0, -1, s[0:1]
	v_cmp_le_u32_e64 s[0:1], s68, v19
	v_cndmask_b32_e64 v19, 0, -1, s[0:1]
	v_cmp_eq_u32_e64 s[0:1], s69, v11
	v_cndmask_b32_e64 v11, v20, v19, s[0:1]
	v_add_co_u32_e64 v19, s[0:1], 2, v3
	v_subb_co_u32_e32 v9, vcc, v18, v9, vcc
	v_addc_co_u32_e64 v20, s[0:1], 0, v10, s[0:1]
	v_cmp_le_u32_e32 vcc, s69, v9
	v_add_co_u32_e64 v21, s[0:1], 1, v3
	v_cndmask_b32_e64 v18, 0, -1, vcc
	v_cmp_le_u32_e32 vcc, s68, v8
	v_addc_co_u32_e64 v27, s[0:1], 0, v10, s[0:1]
	v_cndmask_b32_e64 v8, 0, -1, vcc
	v_cmp_eq_u32_e32 vcc, s69, v9
	v_cmp_ne_u32_e64 s[0:1], 0, v11
	v_cndmask_b32_e32 v8, v18, v8, vcc
	v_cmp_ne_u32_e32 vcc, 0, v8
	v_cndmask_b32_e64 v9, v21, v19, s[0:1]
	v_cndmask_b32_e64 v11, v27, v20, s[0:1]
	v_cndmask_b32_e32 v3, v3, v9, vcc
	v_xor_b32_e32 v9, s66, v17
	v_cndmask_b32_e32 v8, v10, v11, vcc
	v_xor_b32_e32 v3, v3, v9
	v_xor_b32_e32 v8, v8, v9
	v_sub_co_u32_e32 v10, vcc, v3, v9
	v_subb_co_u32_e32 v11, vcc, v8, v9, vcc
                                        ; implicit-def: $vgpr8_vgpr9
.LBB39_55:                              ;   in Loop: Header=BB39_3 Depth=1
	s_andn2_saveexec_b64 s[0:1], s[64:65]
	s_cbranch_execz .LBB39_57
; %bb.56:                               ;   in Loop: Header=BB39_3 Depth=1
	v_rcp_iflag_f32_e32 v3, v6
	s_sub_i32 s64, 0, s54
	v_mov_b32_e32 v11, v2
	v_mul_f32_e32 v3, 0x4f7ffffe, v3
	v_cvt_u32_f32_e32 v3, v3
	v_mul_lo_u32 v9, s64, v3
	v_mul_hi_u32 v9, v3, v9
	v_add_u32_e32 v3, v3, v9
	v_mul_hi_u32 v3, v8, v3
	v_mul_lo_u32 v9, v3, s54
	v_sub_u32_e32 v8, v8, v9
	v_add_u32_e32 v10, 1, v3
	v_subrev_u32_e32 v9, s54, v8
	v_cmp_le_u32_e32 vcc, s54, v8
	v_cndmask_b32_e32 v8, v8, v9, vcc
	v_cndmask_b32_e32 v3, v3, v10, vcc
	v_add_u32_e32 v9, 1, v3
	v_cmp_le_u32_e32 vcc, s54, v8
	v_cndmask_b32_e32 v10, v3, v9, vcc
.LBB39_57:                              ;   in Loop: Header=BB39_3 Depth=1
	s_or_b64 exec, exec, s[0:1]
	v_mad_u64_u32 v[8:9], s[0:1], s8, v14, 0
	v_add3_u32 v3, v9, v16, v15
	v_mul_lo_u32 v9, v11, s54
	v_mul_lo_u32 v16, v10, s55
	v_mad_u64_u32 v[14:15], s[0:1], v10, s54, 0
	v_add3_u32 v9, v15, v16, v9
	v_sub_co_u32_e32 v8, vcc, v8, v14
	v_subb_co_u32_e32 v3, vcc, v3, v9, vcc
	v_add_co_u32_e32 v8, vcc, v0, v8
	v_addc_co_u32_e32 v3, vcc, v1, v3, vcc
	v_mul_lo_u32 v3, v3, s6
	v_mul_lo_u32 v14, v8, s7
	v_mad_u64_u32 v[8:9], s[0:1], v8, s6, 0
	v_add3_u32 v9, v9, v14, v3
	v_mul_lo_u32 v3, v11, s4
	v_mul_lo_u32 v14, v10, s5
	v_mad_u64_u32 v[10:11], s[0:1], v10, s4, 0
	v_add3_u32 v11, v11, v14, v3
	v_lshlrev_b64 v[10:11], 2, v[10:11]
	v_mov_b32_e32 v3, s53
	v_add_co_u32_e32 v10, vcc, s52, v10
	v_addc_co_u32_e32 v3, vcc, v3, v11, vcc
	v_lshlrev_b64 v[8:9], 2, v[8:9]
	v_add_co_u32_e32 v8, vcc, v10, v8
	v_addc_co_u32_e32 v9, vcc, v3, v9, vcc
	global_store_dword v[8:9], v13, off
	v_add_co_u32_e32 v13, vcc, 3, v4
	v_addc_co_u32_e32 v3, vcc, 0, v5, vcc
	v_mul_lo_u32 v14, s9, v13
	v_mul_lo_u32 v15, s8, v3
	v_mad_u64_u32 v[8:9], s[0:1], s8, v13, v[0:1]
	v_add3_u32 v9, v14, v9, v15
	v_or_b32_e32 v3, s55, v9
	v_cmp_ne_u64_e32 vcc, 0, v[2:3]
                                        ; implicit-def: $vgpr10_vgpr11
	s_and_saveexec_b64 s[0:1], vcc
	s_xor_b64 s[64:65], exec, s[0:1]
	s_cbranch_execz .LBB39_59
; %bb.58:                               ;   in Loop: Header=BB39_3 Depth=1
	s_ashr_i32 s66, s55, 31
	s_add_u32 s0, s54, s66
	s_mov_b32 s67, s66
	s_addc_u32 s1, s55, s66
	s_xor_b64 s[68:69], s[0:1], s[66:67]
	v_cvt_f32_u32_e32 v3, s68
	v_cvt_f32_u32_e32 v10, s69
	s_sub_u32 s0, 0, s68
	s_subb_u32 s1, 0, s69
	v_mac_f32_e32 v3, 0x4f800000, v10
	v_rcp_f32_e32 v3, v3
	v_mul_f32_e32 v3, 0x5f7ffffc, v3
	v_mul_f32_e32 v10, 0x2f800000, v3
	v_trunc_f32_e32 v10, v10
	v_mac_f32_e32 v3, 0xcf800000, v10
	v_cvt_u32_f32_e32 v10, v10
	v_cvt_u32_f32_e32 v3, v3
	v_mul_lo_u32 v11, s0, v10
	v_mul_hi_u32 v17, s0, v3
	v_mul_lo_u32 v16, s1, v3
	v_add_u32_e32 v11, v17, v11
	v_mul_lo_u32 v18, s0, v3
	v_add_u32_e32 v11, v11, v16
	v_mul_lo_u32 v17, v3, v11
	v_mul_hi_u32 v19, v3, v18
	v_mul_hi_u32 v16, v3, v11
	v_add_co_u32_e32 v17, vcc, v19, v17
	v_addc_co_u32_e32 v16, vcc, 0, v16, vcc
	v_mul_hi_u32 v20, v10, v18
	v_mul_lo_u32 v18, v10, v18
	v_add_co_u32_e32 v17, vcc, v17, v18
	v_mul_hi_u32 v19, v10, v11
	v_addc_co_u32_e32 v16, vcc, v16, v20, vcc
	v_addc_co_u32_e32 v17, vcc, 0, v19, vcc
	v_mul_lo_u32 v11, v10, v11
	v_add_co_u32_e32 v11, vcc, v16, v11
	v_addc_co_u32_e32 v16, vcc, 0, v17, vcc
	v_add_co_u32_e32 v3, vcc, v3, v11
	v_addc_co_u32_e32 v10, vcc, v10, v16, vcc
	v_mul_lo_u32 v11, s0, v10
	v_mul_hi_u32 v16, s0, v3
	v_add_u32_e32 v11, v16, v11
	v_mul_lo_u32 v16, s1, v3
	v_add_u32_e32 v11, v11, v16
	v_mul_lo_u32 v17, s0, v3
	v_mul_hi_u32 v18, v10, v17
	v_mul_lo_u32 v19, v10, v17
	v_mul_lo_u32 v21, v3, v11
	v_mul_hi_u32 v17, v3, v17
	v_mul_hi_u32 v20, v3, v11
	v_add_co_u32_e32 v17, vcc, v17, v21
	v_addc_co_u32_e32 v20, vcc, 0, v20, vcc
	v_add_co_u32_e32 v17, vcc, v17, v19
	v_mul_hi_u32 v16, v10, v11
	v_addc_co_u32_e32 v17, vcc, v20, v18, vcc
	v_addc_co_u32_e32 v16, vcc, 0, v16, vcc
	v_mul_lo_u32 v11, v10, v11
	v_add_co_u32_e32 v11, vcc, v17, v11
	v_addc_co_u32_e32 v16, vcc, 0, v16, vcc
	v_add_co_u32_e32 v3, vcc, v3, v11
	v_addc_co_u32_e32 v10, vcc, v10, v16, vcc
	v_ashrrev_i32_e32 v16, 31, v9
	v_add_co_u32_e32 v8, vcc, v8, v16
	v_addc_co_u32_e32 v9, vcc, v9, v16, vcc
	v_xor_b32_e32 v18, v8, v16
	v_xor_b32_e32 v17, v9, v16
	v_mad_u64_u32 v[8:9], s[0:1], v18, v10, 0
	v_mul_hi_u32 v11, v18, v3
	v_add_co_u32_e32 v19, vcc, v11, v8
	v_addc_co_u32_e32 v20, vcc, 0, v9, vcc
	v_mad_u64_u32 v[8:9], s[0:1], v17, v10, 0
	v_mad_u64_u32 v[10:11], s[0:1], v17, v3, 0
	v_add_co_u32_e32 v3, vcc, v19, v10
	v_addc_co_u32_e32 v3, vcc, v20, v11, vcc
	v_addc_co_u32_e32 v9, vcc, 0, v9, vcc
	v_add_co_u32_e32 v3, vcc, v3, v8
	v_addc_co_u32_e32 v10, vcc, 0, v9, vcc
	v_mul_lo_u32 v11, s69, v3
	v_mul_lo_u32 v19, s68, v10
	v_mad_u64_u32 v[8:9], s[0:1], s68, v3, 0
	v_add3_u32 v9, v9, v19, v11
	v_sub_u32_e32 v11, v17, v9
	v_mov_b32_e32 v19, s69
	v_sub_co_u32_e32 v8, vcc, v18, v8
	v_subb_co_u32_e64 v11, s[0:1], v11, v19, vcc
	v_subrev_co_u32_e64 v18, s[0:1], s68, v8
	v_subbrev_co_u32_e64 v11, s[0:1], 0, v11, s[0:1]
	v_cmp_le_u32_e64 s[0:1], s69, v11
	v_cndmask_b32_e64 v19, 0, -1, s[0:1]
	v_cmp_le_u32_e64 s[0:1], s68, v18
	v_cndmask_b32_e64 v18, 0, -1, s[0:1]
	v_cmp_eq_u32_e64 s[0:1], s69, v11
	v_cndmask_b32_e64 v11, v19, v18, s[0:1]
	v_add_co_u32_e64 v18, s[0:1], 2, v3
	v_subb_co_u32_e32 v9, vcc, v17, v9, vcc
	v_addc_co_u32_e64 v19, s[0:1], 0, v10, s[0:1]
	v_cmp_le_u32_e32 vcc, s69, v9
	v_add_co_u32_e64 v20, s[0:1], 1, v3
	v_cndmask_b32_e64 v17, 0, -1, vcc
	v_cmp_le_u32_e32 vcc, s68, v8
	v_addc_co_u32_e64 v21, s[0:1], 0, v10, s[0:1]
	v_cndmask_b32_e64 v8, 0, -1, vcc
	v_cmp_eq_u32_e32 vcc, s69, v9
	v_cmp_ne_u32_e64 s[0:1], 0, v11
	v_cndmask_b32_e32 v8, v17, v8, vcc
	v_cmp_ne_u32_e32 vcc, 0, v8
	v_cndmask_b32_e64 v9, v20, v18, s[0:1]
	v_cndmask_b32_e64 v11, v21, v19, s[0:1]
	v_cndmask_b32_e32 v3, v3, v9, vcc
	v_xor_b32_e32 v9, s66, v16
	v_cndmask_b32_e32 v8, v10, v11, vcc
	v_xor_b32_e32 v3, v3, v9
	v_xor_b32_e32 v8, v8, v9
	v_sub_co_u32_e32 v10, vcc, v3, v9
	v_subb_co_u32_e32 v11, vcc, v8, v9, vcc
                                        ; implicit-def: $vgpr8_vgpr9
.LBB39_59:                              ;   in Loop: Header=BB39_3 Depth=1
	s_andn2_saveexec_b64 s[0:1], s[64:65]
	s_cbranch_execz .LBB39_61
; %bb.60:                               ;   in Loop: Header=BB39_3 Depth=1
	v_rcp_iflag_f32_e32 v3, v6
	s_sub_i32 s64, 0, s54
	v_mov_b32_e32 v11, v2
	v_mul_f32_e32 v3, 0x4f7ffffe, v3
	v_cvt_u32_f32_e32 v3, v3
	v_mul_lo_u32 v9, s64, v3
	v_mul_hi_u32 v9, v3, v9
	v_add_u32_e32 v3, v3, v9
	v_mul_hi_u32 v3, v8, v3
	v_mul_lo_u32 v9, v3, s54
	v_sub_u32_e32 v8, v8, v9
	v_add_u32_e32 v10, 1, v3
	v_subrev_u32_e32 v9, s54, v8
	v_cmp_le_u32_e32 vcc, s54, v8
	v_cndmask_b32_e32 v8, v8, v9, vcc
	v_cndmask_b32_e32 v3, v3, v10, vcc
	v_add_u32_e32 v9, 1, v3
	v_cmp_le_u32_e32 vcc, s54, v8
	v_cndmask_b32_e32 v10, v3, v9, vcc
.LBB39_61:                              ;   in Loop: Header=BB39_3 Depth=1
	s_or_b64 exec, exec, s[0:1]
	v_mad_u64_u32 v[8:9], s[0:1], s8, v13, 0
	v_add3_u32 v3, v9, v15, v14
	v_mul_lo_u32 v9, v11, s54
	v_mul_lo_u32 v13, v10, s55
	v_mad_u64_u32 v[14:15], s[0:1], v10, s54, 0
	v_add3_u32 v9, v15, v13, v9
	v_sub_co_u32_e32 v8, vcc, v8, v14
	v_subb_co_u32_e32 v3, vcc, v3, v9, vcc
	v_add_co_u32_e32 v8, vcc, v0, v8
	v_addc_co_u32_e32 v3, vcc, v1, v3, vcc
	v_mul_lo_u32 v3, v3, s6
	v_mul_lo_u32 v13, v8, s7
	v_mad_u64_u32 v[8:9], s[0:1], v8, s6, 0
	v_add3_u32 v9, v9, v13, v3
	v_mul_lo_u32 v3, v11, s4
	v_mul_lo_u32 v13, v10, s5
	v_mad_u64_u32 v[10:11], s[0:1], v10, s4, 0
	v_add3_u32 v11, v11, v13, v3
	v_lshlrev_b64 v[10:11], 2, v[10:11]
	v_mov_b32_e32 v3, s53
	v_add_co_u32_e32 v10, vcc, s52, v10
	v_addc_co_u32_e32 v3, vcc, v3, v11, vcc
	v_lshlrev_b64 v[8:9], 2, v[8:9]
	v_add_co_u32_e32 v8, vcc, v10, v8
	v_addc_co_u32_e32 v9, vcc, v3, v9, vcc
	v_add_co_u32_e32 v10, vcc, 4, v4
	v_addc_co_u32_e32 v3, vcc, 0, v5, vcc
	global_store_dword v[8:9], v12, off
	v_mul_lo_u32 v11, s9, v10
	v_mul_lo_u32 v12, s8, v3
	v_mad_u64_u32 v[4:5], s[0:1], s8, v10, v[0:1]
	v_add3_u32 v5, v11, v5, v12
	v_or_b32_e32 v3, s55, v5
	v_cmp_ne_u64_e32 vcc, 0, v[2:3]
                                        ; implicit-def: $vgpr8_vgpr9
	s_and_saveexec_b64 s[0:1], vcc
	s_xor_b64 s[64:65], exec, s[0:1]
	s_cbranch_execz .LBB39_63
; %bb.62:                               ;   in Loop: Header=BB39_3 Depth=1
	s_ashr_i32 s66, s55, 31
	s_add_u32 s0, s54, s66
	s_mov_b32 s67, s66
	s_addc_u32 s1, s55, s66
	s_xor_b64 s[68:69], s[0:1], s[66:67]
	v_cvt_f32_u32_e32 v3, s68
	v_cvt_f32_u32_e32 v6, s69
	s_sub_u32 s0, 0, s68
	s_subb_u32 s1, 0, s69
	v_mac_f32_e32 v3, 0x4f800000, v6
	v_rcp_f32_e32 v3, v3
	v_mul_f32_e32 v3, 0x5f7ffffc, v3
	v_mul_f32_e32 v6, 0x2f800000, v3
	v_trunc_f32_e32 v6, v6
	v_mac_f32_e32 v3, 0xcf800000, v6
	v_cvt_u32_f32_e32 v6, v6
	v_cvt_u32_f32_e32 v3, v3
	v_mul_lo_u32 v8, s0, v6
	v_mul_hi_u32 v13, s0, v3
	v_mul_lo_u32 v9, s1, v3
	v_add_u32_e32 v8, v13, v8
	v_mul_lo_u32 v14, s0, v3
	v_add_u32_e32 v8, v8, v9
	v_mul_lo_u32 v13, v3, v8
	v_mul_hi_u32 v15, v3, v14
	v_mul_hi_u32 v9, v3, v8
	v_add_co_u32_e32 v13, vcc, v15, v13
	v_addc_co_u32_e32 v9, vcc, 0, v9, vcc
	v_mul_hi_u32 v16, v6, v14
	v_mul_lo_u32 v14, v6, v14
	v_add_co_u32_e32 v13, vcc, v13, v14
	v_mul_hi_u32 v15, v6, v8
	v_addc_co_u32_e32 v9, vcc, v9, v16, vcc
	v_addc_co_u32_e32 v13, vcc, 0, v15, vcc
	v_mul_lo_u32 v8, v6, v8
	v_add_co_u32_e32 v8, vcc, v9, v8
	v_addc_co_u32_e32 v9, vcc, 0, v13, vcc
	v_add_co_u32_e32 v3, vcc, v3, v8
	v_addc_co_u32_e32 v6, vcc, v6, v9, vcc
	v_mul_lo_u32 v8, s0, v6
	v_mul_hi_u32 v9, s0, v3
	v_add_u32_e32 v8, v9, v8
	v_mul_lo_u32 v9, s1, v3
	v_add_u32_e32 v8, v8, v9
	v_mul_lo_u32 v13, s0, v3
	v_mul_hi_u32 v14, v6, v13
	v_mul_lo_u32 v15, v6, v13
	v_mul_lo_u32 v17, v3, v8
	v_mul_hi_u32 v13, v3, v13
	v_mul_hi_u32 v16, v3, v8
	v_add_co_u32_e32 v13, vcc, v13, v17
	v_addc_co_u32_e32 v16, vcc, 0, v16, vcc
	v_add_co_u32_e32 v13, vcc, v13, v15
	v_mul_hi_u32 v9, v6, v8
	v_addc_co_u32_e32 v13, vcc, v16, v14, vcc
	v_addc_co_u32_e32 v9, vcc, 0, v9, vcc
	v_mul_lo_u32 v8, v6, v8
	v_add_co_u32_e32 v8, vcc, v13, v8
	v_addc_co_u32_e32 v9, vcc, 0, v9, vcc
	v_add_co_u32_e32 v3, vcc, v3, v8
	v_addc_co_u32_e32 v6, vcc, v6, v9, vcc
	v_ashrrev_i32_e32 v13, 31, v5
	v_add_co_u32_e32 v4, vcc, v4, v13
	v_addc_co_u32_e32 v5, vcc, v5, v13, vcc
	v_xor_b32_e32 v15, v4, v13
	v_xor_b32_e32 v14, v5, v13
	v_mad_u64_u32 v[4:5], s[0:1], v15, v6, 0
	v_mul_hi_u32 v8, v15, v3
	v_add_co_u32_e32 v16, vcc, v8, v4
	v_addc_co_u32_e32 v17, vcc, 0, v5, vcc
	v_mad_u64_u32 v[8:9], s[0:1], v14, v3, 0
	v_add_co_u32_e32 v3, vcc, v16, v8
	v_mad_u64_u32 v[4:5], s[0:1], v14, v6, 0
	v_addc_co_u32_e32 v3, vcc, v17, v9, vcc
	v_addc_co_u32_e32 v5, vcc, 0, v5, vcc
	v_add_co_u32_e32 v3, vcc, v3, v4
	v_addc_co_u32_e32 v6, vcc, 0, v5, vcc
	v_mul_lo_u32 v8, s69, v3
	v_mul_lo_u32 v9, s68, v6
	v_mad_u64_u32 v[4:5], s[0:1], s68, v3, 0
	v_add3_u32 v5, v5, v9, v8
	v_sub_u32_e32 v8, v14, v5
	v_mov_b32_e32 v9, s69
	v_sub_co_u32_e32 v4, vcc, v15, v4
	v_subb_co_u32_e64 v8, s[0:1], v8, v9, vcc
	v_subrev_co_u32_e64 v9, s[0:1], s68, v4
	v_subbrev_co_u32_e64 v8, s[0:1], 0, v8, s[0:1]
	v_cmp_le_u32_e64 s[0:1], s69, v8
	v_cndmask_b32_e64 v15, 0, -1, s[0:1]
	v_cmp_le_u32_e64 s[0:1], s68, v9
	v_cndmask_b32_e64 v9, 0, -1, s[0:1]
	v_cmp_eq_u32_e64 s[0:1], s69, v8
	v_cndmask_b32_e64 v8, v15, v9, s[0:1]
	v_add_co_u32_e64 v9, s[0:1], 2, v3
	v_subb_co_u32_e32 v5, vcc, v14, v5, vcc
	v_addc_co_u32_e64 v15, s[0:1], 0, v6, s[0:1]
	v_cmp_le_u32_e32 vcc, s69, v5
	v_add_co_u32_e64 v16, s[0:1], 1, v3
	v_cndmask_b32_e64 v14, 0, -1, vcc
	v_cmp_le_u32_e32 vcc, s68, v4
	v_addc_co_u32_e64 v17, s[0:1], 0, v6, s[0:1]
	v_cndmask_b32_e64 v4, 0, -1, vcc
	v_cmp_eq_u32_e32 vcc, s69, v5
	v_cmp_ne_u32_e64 s[0:1], 0, v8
	v_cndmask_b32_e32 v4, v14, v4, vcc
	v_cmp_ne_u32_e32 vcc, 0, v4
	v_cndmask_b32_e64 v5, v16, v9, s[0:1]
	v_cndmask_b32_e64 v8, v17, v15, s[0:1]
	v_cndmask_b32_e32 v3, v3, v5, vcc
	v_xor_b32_e32 v5, s66, v13
	v_cndmask_b32_e32 v4, v6, v8, vcc
	v_xor_b32_e32 v3, v3, v5
	v_xor_b32_e32 v4, v4, v5
	v_sub_co_u32_e32 v8, vcc, v3, v5
	v_subb_co_u32_e32 v9, vcc, v4, v5, vcc
                                        ; implicit-def: $vgpr6
                                        ; implicit-def: $vgpr4_vgpr5
.LBB39_63:                              ;   in Loop: Header=BB39_3 Depth=1
	s_andn2_saveexec_b64 s[0:1], s[64:65]
	s_cbranch_execz .LBB39_2
; %bb.64:                               ;   in Loop: Header=BB39_3 Depth=1
	v_rcp_iflag_f32_e32 v3, v6
	s_sub_i32 s64, 0, s54
	v_mov_b32_e32 v9, v2
	v_mul_f32_e32 v3, 0x4f7ffffe, v3
	v_cvt_u32_f32_e32 v3, v3
	v_mul_lo_u32 v5, s64, v3
	v_mul_hi_u32 v5, v3, v5
	v_add_u32_e32 v3, v3, v5
	v_mul_hi_u32 v3, v4, v3
	v_mul_lo_u32 v5, v3, s54
	v_sub_u32_e32 v4, v4, v5
	v_add_u32_e32 v6, 1, v3
	v_subrev_u32_e32 v5, s54, v4
	v_cmp_le_u32_e32 vcc, s54, v4
	v_cndmask_b32_e32 v4, v4, v5, vcc
	v_cndmask_b32_e32 v3, v3, v6, vcc
	v_add_u32_e32 v5, 1, v3
	v_cmp_le_u32_e32 vcc, s54, v4
	v_cndmask_b32_e32 v8, v3, v5, vcc
	s_branch .LBB39_2
.LBB39_65:
	s_endpgm
	.section	.rodata,"a",@progbits
	.p2align	6, 0x0
	.amdhsa_kernel _ZN2at6native12_GLOBAL__N_16kernel16gru_cell_forwardIfflLi2EEEvNS_4cuda6detail10TensorInfoIT_T1_EES9_S9_S9_S9_S9_S9_S8_S8_
		.amdhsa_group_segment_fixed_size 0
		.amdhsa_private_segment_fixed_size 0
		.amdhsa_kernarg_size 3184
		.amdhsa_user_sgpr_count 6
		.amdhsa_user_sgpr_private_segment_buffer 1
		.amdhsa_user_sgpr_dispatch_ptr 0
		.amdhsa_user_sgpr_queue_ptr 0
		.amdhsa_user_sgpr_kernarg_segment_ptr 1
		.amdhsa_user_sgpr_dispatch_id 0
		.amdhsa_user_sgpr_flat_scratch_init 0
		.amdhsa_user_sgpr_kernarg_preload_length 0
		.amdhsa_user_sgpr_kernarg_preload_offset 0
		.amdhsa_user_sgpr_private_segment_size 0
		.amdhsa_uses_dynamic_stack 0
		.amdhsa_system_sgpr_private_segment_wavefront_offset 0
		.amdhsa_system_sgpr_workgroup_id_x 1
		.amdhsa_system_sgpr_workgroup_id_y 0
		.amdhsa_system_sgpr_workgroup_id_z 0
		.amdhsa_system_sgpr_workgroup_info 0
		.amdhsa_system_vgpr_workitem_id 0
		.amdhsa_next_free_vgpr 39
		.amdhsa_next_free_sgpr 85
		.amdhsa_accum_offset 40
		.amdhsa_reserve_vcc 1
		.amdhsa_reserve_flat_scratch 0
		.amdhsa_float_round_mode_32 0
		.amdhsa_float_round_mode_16_64 0
		.amdhsa_float_denorm_mode_32 3
		.amdhsa_float_denorm_mode_16_64 3
		.amdhsa_dx10_clamp 1
		.amdhsa_ieee_mode 1
		.amdhsa_fp16_overflow 0
		.amdhsa_tg_split 0
		.amdhsa_exception_fp_ieee_invalid_op 0
		.amdhsa_exception_fp_denorm_src 0
		.amdhsa_exception_fp_ieee_div_zero 0
		.amdhsa_exception_fp_ieee_overflow 0
		.amdhsa_exception_fp_ieee_underflow 0
		.amdhsa_exception_fp_ieee_inexact 0
		.amdhsa_exception_int_div_zero 0
	.end_amdhsa_kernel
	.section	.text._ZN2at6native12_GLOBAL__N_16kernel16gru_cell_forwardIfflLi2EEEvNS_4cuda6detail10TensorInfoIT_T1_EES9_S9_S9_S9_S9_S9_S8_S8_,"axG",@progbits,_ZN2at6native12_GLOBAL__N_16kernel16gru_cell_forwardIfflLi2EEEvNS_4cuda6detail10TensorInfoIT_T1_EES9_S9_S9_S9_S9_S9_S8_S8_,comdat
.Lfunc_end39:
	.size	_ZN2at6native12_GLOBAL__N_16kernel16gru_cell_forwardIfflLi2EEEvNS_4cuda6detail10TensorInfoIT_T1_EES9_S9_S9_S9_S9_S9_S8_S8_, .Lfunc_end39-_ZN2at6native12_GLOBAL__N_16kernel16gru_cell_forwardIfflLi2EEEvNS_4cuda6detail10TensorInfoIT_T1_EES9_S9_S9_S9_S9_S9_S8_S8_
                                        ; -- End function
	.section	.AMDGPU.csdata,"",@progbits
; Kernel info:
; codeLenInByte = 15052
; NumSgprs: 89
; NumVgprs: 39
; NumAgprs: 0
; TotalNumVgprs: 39
; ScratchSize: 0
; MemoryBound: 0
; FloatMode: 240
; IeeeMode: 1
; LDSByteSize: 0 bytes/workgroup (compile time only)
; SGPRBlocks: 11
; VGPRBlocks: 4
; NumSGPRsForWavesPerEU: 89
; NumVGPRsForWavesPerEU: 39
; AccumOffset: 40
; Occupancy: 8
; WaveLimiterHint : 1
; COMPUTE_PGM_RSRC2:SCRATCH_EN: 0
; COMPUTE_PGM_RSRC2:USER_SGPR: 6
; COMPUTE_PGM_RSRC2:TRAP_HANDLER: 0
; COMPUTE_PGM_RSRC2:TGID_X_EN: 1
; COMPUTE_PGM_RSRC2:TGID_Y_EN: 0
; COMPUTE_PGM_RSRC2:TGID_Z_EN: 0
; COMPUTE_PGM_RSRC2:TIDIG_COMP_CNT: 0
; COMPUTE_PGM_RSRC3_GFX90A:ACCUM_OFFSET: 9
; COMPUTE_PGM_RSRC3_GFX90A:TG_SPLIT: 0
	.section	.text._ZN2at6native12_GLOBAL__N_16kernel16gru_cell_forwardIN3c104HalfEfiLi1EEEvNS_4cuda6detail10TensorInfoIT_T1_EESB_SB_SB_SB_SB_SB_SA_SA_,"axG",@progbits,_ZN2at6native12_GLOBAL__N_16kernel16gru_cell_forwardIN3c104HalfEfiLi1EEEvNS_4cuda6detail10TensorInfoIT_T1_EESB_SB_SB_SB_SB_SB_SA_SA_,comdat
	.globl	_ZN2at6native12_GLOBAL__N_16kernel16gru_cell_forwardIN3c104HalfEfiLi1EEEvNS_4cuda6detail10TensorInfoIT_T1_EESB_SB_SB_SB_SB_SB_SA_SA_ ; -- Begin function _ZN2at6native12_GLOBAL__N_16kernel16gru_cell_forwardIN3c104HalfEfiLi1EEEvNS_4cuda6detail10TensorInfoIT_T1_EESB_SB_SB_SB_SB_SB_SA_SA_
	.p2align	8
	.type	_ZN2at6native12_GLOBAL__N_16kernel16gru_cell_forwardIN3c104HalfEfiLi1EEEvNS_4cuda6detail10TensorInfoIT_T1_EESB_SB_SB_SB_SB_SB_SA_SA_,@function
_ZN2at6native12_GLOBAL__N_16kernel16gru_cell_forwardIN3c104HalfEfiLi1EEEvNS_4cuda6detail10TensorInfoIT_T1_EESB_SB_SB_SB_SB_SB_SA_SA_: ; @_ZN2at6native12_GLOBAL__N_16kernel16gru_cell_forwardIN3c104HalfEfiLi1EEEvNS_4cuda6detail10TensorInfoIT_T1_EESB_SB_SB_SB_SB_SB_SA_SA_
; %bb.0:
	s_load_dword s7, s[4:5], 0x5fc
	s_load_dwordx2 s[2:3], s[4:5], 0x5e8
	s_add_u32 s0, s4, 0x5f0
	s_addc_u32 s1, s5, 0
	s_waitcnt lgkmcnt(0)
	s_and_b32 s20, s7, 0xffff
	s_mul_i32 s6, s6, s20
	v_add_u32_e32 v0, s6, v0
	v_cmp_gt_i32_e32 vcc, s3, v0
	s_and_saveexec_b64 s[6:7], vcc
	s_cbranch_execz .LBB40_9
; %bb.1:
	s_load_dwordx2 s[6:7], s[4:5], 0x1b0
	s_load_dwordx2 s[8:9], s[4:5], 0x0
	s_load_dword s22, s[4:5], 0x6c
	s_load_dwordx2 s[10:11], s[4:5], 0xd8
	s_load_dword s23, s[4:5], 0x144
	s_load_dword s24, s[4:5], 0x21c
	s_load_dwordx2 s[12:13], s[4:5], 0x288
	s_load_dword s25, s[4:5], 0x2f4
	s_waitcnt lgkmcnt(0)
	s_cmp_lg_u64 s[6:7], 0
	s_cselect_b64 s[36:37], -1, 0
	s_abs_i32 s26, s2
	v_cvt_f32_u32_e32 v1, s26
	s_load_dwordx2 s[14:15], s[4:5], 0x360
	s_load_dword s21, s[4:5], 0x3cc
	s_load_dwordx2 s[16:17], s[4:5], 0x438
	s_load_dword s35, s[4:5], 0x4a4
	s_load_dword s28, s[0:1], 0x0
	s_load_dwordx2 s[18:19], s[4:5], 0x510
	s_load_dword s27, s[4:5], 0x57c
	s_sub_i32 s0, 0, s26
	v_rcp_iflag_f32_e32 v1, v1
	v_cndmask_b32_e64 v3, 0, 1, s[36:37]
	s_waitcnt lgkmcnt(0)
	s_mul_i32 s28, s28, s20
	s_mov_b64 s[4:5], 0
	v_mul_f32_e32 v1, 0x4f7ffffe, v1
	v_cvt_u32_f32_e32 v1, v1
	s_ashr_i32 s29, s2, 31
	s_lshl_b32 s30, s2, 1
	s_lshl_b32 s31, s2, 2
	v_mul_lo_u32 v2, s0, v1
	v_mul_hi_u32 v2, v1, v2
	v_add_u32_e32 v1, v1, v2
	s_sub_i32 s33, 0, s2
	v_mul_lo_u32 v2, v0, s21
	s_mul_i32 s34, s28, s21
	v_mul_lo_u32 v4, v0, s35
	s_mul_i32 s35, s28, s35
	v_mov_b32_e32 v6, s9
	v_mov_b32_e32 v7, s11
	;; [unrolled: 1-line block ×3, first 2 shown]
	v_cmp_ne_u32_e64 s[0:1], 1, v3
	s_mov_b32 s9, 0xbfb8aa3b
	s_mov_b32 s11, 0x42ce8ed0
	;; [unrolled: 1-line block ×7, first 2 shown]
	v_mov_b32_e32 v9, 0xbd5c1c4e
	v_mov_b32_e32 v10, 0x3e088382
	;; [unrolled: 1-line block ×3, first 2 shown]
	s_brev_b32 s40, -2
	v_mov_b32_e32 v12, 0x7f800000
	s_branch .LBB40_3
.LBB40_2:                               ;   in Loop: Header=BB40_3 Depth=1
	s_or_b64 exec, exec, s[20:21]
	v_cvt_f32_f16_e32 v15, v15
	v_cvt_f32_f16_e32 v16, v16
	;; [unrolled: 1-line block ×4, first 2 shown]
	v_mad_u64_u32 v[24:25], s[20:21], s31, v5, v[0:1]
	v_add_f32_e32 v15, v15, v16
	v_add_f32_e32 v15, v15, v18
	;; [unrolled: 1-line block ×3, first 2 shown]
	v_mul_f32_e32 v16, 0xbfb8aa3b, v15
	v_fma_f32 v18, v15, s9, -v16
	v_rndne_f32_e32 v21, v16
	v_fmac_f32_e32 v18, 0xb2a5705f, v15
	v_sub_f32_e32 v16, v16, v21
	v_add_f32_e32 v16, v16, v18
	v_cvt_i32_f32_e32 v18, v21
	v_exp_f32_e32 v16, v16
	v_cmp_nlt_f32_e32 vcc, s11, v15
	v_lshlrev_b32_e32 v14, 2, v14
	v_lshlrev_b32_e32 v13, 2, v13
	v_ldexp_f32 v16, v16, v18
	v_cndmask_b32_e32 v16, 0, v16, vcc
	v_cmp_ngt_f32_e32 vcc, s15, v15
	v_cndmask_b32_e32 v15, v12, v16, vcc
	v_add_f32_e32 v15, 1.0, v15
	v_div_scale_f32 v16, s[20:21], v15, v15, 1.0
	v_rcp_f32_e32 v18, v16
	v_sub_u32_e32 v13, v14, v13
	v_or_b32_e32 v14, 1, v13
	v_add_u32_e32 v2, s34, v2
	v_fma_f32 v5, -v16, v18, 1.0
	v_fmac_f32_e32 v18, v5, v18
	v_div_scale_f32 v5, vcc, 1.0, v15, 1.0
	v_mul_f32_e32 v21, v5, v18
	v_fma_f32 v23, -v16, v21, v5
	v_fmac_f32_e32 v21, v23, v18
	v_fma_f32 v5, -v16, v21, v5
	v_div_fmas_f32 v5, v5, v18, v21
	v_div_fixup_f32 v15, v5, v15, 1.0
	v_ashrrev_i32_e32 v5, 31, v4
	v_cvt_f32_f16_e32 v16, v3
	v_lshlrev_b64 v[26:27], 1, v[4:5]
	v_mov_b32_e32 v5, s17
	v_add_co_u32_e32 v26, vcc, s16, v26
	v_addc_co_u32_e32 v27, vcc, v5, v27, vcc
	v_bfi_b32 v5, s40, v22, v20
	v_sub_f32_e32 v16, v16, v5
	v_fma_mixlo_f16 v16, v15, v16, v5
	v_mul_lo_u32 v18, v24, s27
	global_store_short v[26:27], v16, off
	v_cvt_f16_f32_e32 v16, v19
	v_ashrrev_i32_e32 v19, 31, v18
	v_lshlrev_b64 v[18:19], 1, v[18:19]
	v_mov_b32_e32 v20, s19
	v_add_co_u32_e32 v18, vcc, s18, v18
	v_addc_co_u32_e32 v19, vcc, v20, v19, vcc
	global_store_short v[18:19], v16, off
	v_cvt_f16_f32_e32 v16, v15
	v_mad_u64_u32 v[14:15], s[20:21], s2, v14, v[0:1]
	v_mul_lo_u32 v14, v14, s27
	v_ashrrev_i32_e32 v15, 31, v14
	v_lshlrev_b64 v[14:15], 1, v[14:15]
	v_add_co_u32_e32 v14, vcc, s18, v14
	v_addc_co_u32_e32 v15, vcc, v20, v15, vcc
	global_store_short v[14:15], v16, off
	v_or_b32_e32 v14, 2, v13
	v_mad_u64_u32 v[14:15], s[20:21], s2, v14, v[0:1]
	v_mul_lo_u32 v14, v14, s27
	v_cvt_f16_f32_e32 v5, v5
	v_ashrrev_i32_e32 v15, 31, v14
	v_lshlrev_b64 v[14:15], 1, v[14:15]
	v_add_co_u32_e32 v14, vcc, s18, v14
	v_addc_co_u32_e32 v15, vcc, v20, v15, vcc
	global_store_short v[14:15], v5, off
	v_or_b32_e32 v5, 3, v13
	v_mad_u64_u32 v[14:15], s[20:21], s2, v5, v[0:1]
	v_mul_lo_u32 v14, v14, s27
	v_ashrrev_i32_e32 v15, 31, v14
	v_lshlrev_b64 v[14:15], 1, v[14:15]
	v_add_co_u32_e32 v14, vcc, s18, v14
	v_addc_co_u32_e32 v15, vcc, v20, v15, vcc
	v_add_u32_e32 v5, 4, v13
	global_store_short v[14:15], v3, off
	v_mad_u64_u32 v[14:15], s[20:21], s2, v5, v[0:1]
	v_mul_lo_u32 v14, v14, s27
	v_ashrrev_i32_e32 v15, 31, v14
	v_lshlrev_b64 v[14:15], 1, v[14:15]
	v_cvt_f16_f32_e32 v3, v17
	v_add_co_u32_e32 v14, vcc, s18, v14
	v_addc_co_u32_e32 v15, vcc, v20, v15, vcc
	v_add_u32_e32 v0, s28, v0
	v_cmp_le_i32_e32 vcc, s3, v0
	s_or_b64 s[4:5], vcc, s[4:5]
	v_add_u32_e32 v4, s35, v4
	global_store_short v[14:15], v3, off
	s_andn2_b64 exec, exec, s[4:5]
	s_cbranch_execz .LBB40_9
.LBB40_3:                               ; =>This Inner Loop Header: Depth=1
	v_ashrrev_i32_e32 v3, 31, v0
	v_xor_b32_e32 v13, s29, v3
	v_sub_u32_e32 v3, 0, v0
	v_max_i32_e32 v3, v0, v3
	v_mul_hi_u32 v5, v3, v1
	v_mul_lo_u32 v14, v5, s26
	v_sub_u32_e32 v3, v3, v14
	v_add_u32_e32 v14, 1, v5
	v_cmp_le_u32_e32 vcc, s26, v3
	v_cndmask_b32_e32 v5, v5, v14, vcc
	v_subrev_u32_e32 v14, s26, v3
	v_cndmask_b32_e32 v3, v3, v14, vcc
	v_add_u32_e32 v14, 1, v5
	v_cmp_le_u32_e32 vcc, s26, v3
	v_cndmask_b32_e32 v3, v5, v14, vcc
	v_xor_b32_e32 v14, v3, v13
	v_sub_u32_e32 v5, v14, v13
	v_lshlrev_b32_e32 v3, 1, v14
	v_lshlrev_b32_e32 v15, 1, v13
	v_mad_u64_u32 v[16:17], s[20:21], s30, v5, v[0:1]
	v_sub_u32_e32 v3, v3, v15
	v_mul_lo_u32 v18, v16, s22
	v_or_b32_e32 v15, 1, v3
	v_ashrrev_i32_e32 v19, 31, v18
	v_mad_u64_u32 v[22:23], s[20:21], s2, v15, v[0:1]
	v_lshlrev_b64 v[18:19], 1, v[18:19]
	v_mul_lo_u32 v20, v22, s22
	v_add_co_u32_e32 v18, vcc, s8, v18
	v_ashrrev_i32_e32 v21, 31, v20
	v_add_u32_e32 v3, 2, v3
	v_addc_co_u32_e32 v19, vcc, v6, v19, vcc
	v_lshlrev_b64 v[20:21], 1, v[20:21]
	v_mad_u64_u32 v[26:27], s[20:21], s2, v3, v[0:1]
	v_add_co_u32_e32 v24, vcc, s8, v20
	v_mul_lo_u32 v20, v26, s22
	v_addc_co_u32_e32 v25, vcc, v6, v21, vcc
	v_ashrrev_i32_e32 v21, 31, v20
	v_lshlrev_b64 v[20:21], 1, v[20:21]
	v_add_co_u32_e32 v28, vcc, s8, v20
	v_addc_co_u32_e32 v29, vcc, v6, v21, vcc
	global_load_ushort v20, v[18:19], off
	global_load_ushort v15, v[24:25], off
	;; [unrolled: 1-line block ×3, first 2 shown]
	v_mul_lo_u32 v18, v16, s23
	v_ashrrev_i32_e32 v19, 31, v18
	v_lshlrev_b64 v[18:19], 1, v[18:19]
	v_add_co_u32_e32 v24, vcc, s10, v18
	v_mul_lo_u32 v18, v22, s23
	v_addc_co_u32_e32 v25, vcc, v7, v19, vcc
	v_ashrrev_i32_e32 v19, 31, v18
	v_lshlrev_b64 v[18:19], 1, v[18:19]
	v_add_co_u32_e32 v28, vcc, s10, v18
	v_mul_lo_u32 v18, v26, s23
	v_addc_co_u32_e32 v29, vcc, v7, v19, vcc
	v_ashrrev_i32_e32 v19, 31, v18
	v_lshlrev_b64 v[18:19], 1, v[18:19]
	v_add_co_u32_e32 v26, vcc, s10, v18
	v_ashrrev_i32_e32 v3, 31, v2
	v_addc_co_u32_e32 v27, vcc, v7, v19, vcc
	global_load_ushort v22, v[24:25], off
	global_load_ushort v16, v[28:29], off
	;; [unrolled: 1-line block ×3, first 2 shown]
	v_lshlrev_b64 v[24:25], 1, v[2:3]
	v_add_co_u32_e32 v24, vcc, s14, v24
	v_addc_co_u32_e32 v25, vcc, v8, v25, vcc
	global_load_ushort v3, v[24:25], off
	s_and_b64 vcc, exec, s[0:1]
	v_mov_b32_e32 v24, 0
	v_mov_b32_e32 v21, 0
	;; [unrolled: 1-line block ×6, first 2 shown]
	s_cbranch_vccnz .LBB40_5
; %bb.4:                                ;   in Loop: Header=BB40_3 Depth=1
	v_mad_u64_u32 v[24:25], s[20:21], s33, v5, v[0:1]
	v_sub_u32_e32 v21, v13, v14
	v_mul_lo_u32 v26, v24, s24
	v_mul_lo_u32 v23, s2, v21
	v_ashrrev_i32_e32 v27, 31, v26
	v_add3_u32 v34, v23, s2, v0
	v_lshlrev_b64 v[26:27], 1, v[26:27]
	v_mul_lo_u32 v28, v34, s24
	v_add_u32_e32 v21, 2, v21
	v_mov_b32_e32 v18, s7
	v_add_co_u32_e32 v26, vcc, s6, v26
	v_ashrrev_i32_e32 v29, 31, v28
	v_mad_u64_u32 v[30:31], s[20:21], s2, v21, v[0:1]
	v_addc_co_u32_e32 v27, vcc, v18, v27, vcc
	v_lshlrev_b64 v[28:29], 1, v[28:29]
	v_mul_lo_u32 v32, v30, s24
	v_add_co_u32_e32 v28, vcc, s6, v28
	v_ashrrev_i32_e32 v33, 31, v32
	v_addc_co_u32_e32 v29, vcc, v18, v29, vcc
	v_lshlrev_b64 v[32:33], 1, v[32:33]
	v_add_co_u32_e32 v32, vcc, s6, v32
	v_addc_co_u32_e32 v33, vcc, v18, v33, vcc
	global_load_ushort v25, v[26:27], off
	global_load_ushort v18, v[28:29], off
	;; [unrolled: 1-line block ×3, first 2 shown]
	v_mul_lo_u32 v26, v24, s25
	v_ashrrev_i32_e32 v27, 31, v26
	v_lshlrev_b64 v[26:27], 1, v[26:27]
	v_mov_b32_e32 v21, s13
	v_add_co_u32_e32 v28, vcc, s12, v26
	v_mul_lo_u32 v26, v34, s25
	v_addc_co_u32_e32 v29, vcc, v21, v27, vcc
	v_ashrrev_i32_e32 v27, 31, v26
	v_lshlrev_b64 v[26:27], 1, v[26:27]
	v_add_co_u32_e32 v32, vcc, s12, v26
	v_mul_lo_u32 v26, v30, s25
	v_addc_co_u32_e32 v33, vcc, v21, v27, vcc
	v_ashrrev_i32_e32 v27, 31, v26
	v_lshlrev_b64 v[26:27], 1, v[26:27]
	v_add_co_u32_e32 v30, vcc, s12, v26
	v_addc_co_u32_e32 v31, vcc, v21, v27, vcc
	global_load_ushort v26, v[28:29], off
	global_load_ushort v21, v[32:33], off
	;; [unrolled: 1-line block ×3, first 2 shown]
.LBB40_5:                               ;   in Loop: Header=BB40_3 Depth=1
	s_waitcnt vmcnt(6)
	v_cvt_f32_f16_e32 v20, v20
	s_waitcnt vmcnt(3)
	v_cvt_f32_f16_e32 v22, v22
	v_cvt_f32_f16_e32 v25, v25
	s_waitcnt vmcnt(2)
	v_cvt_f32_f16_e32 v26, v26
	v_cvt_f32_f16_e32 v17, v17
	v_add_f32_e32 v20, v20, v22
	v_add_f32_e32 v20, v20, v25
	;; [unrolled: 1-line block ×3, first 2 shown]
	v_mul_f32_e32 v22, 0xbfb8aa3b, v20
	v_fma_f32 v25, v20, s9, -v22
	v_rndne_f32_e32 v26, v22
	v_fmac_f32_e32 v25, 0xb2a5705f, v20
	v_sub_f32_e32 v22, v22, v26
	v_add_f32_e32 v22, v22, v25
	v_cvt_i32_f32_e32 v25, v26
	v_exp_f32_e32 v22, v22
	v_cmp_nlt_f32_e32 vcc, s11, v20
	v_cvt_f32_f16_e32 v23, v23
	s_waitcnt vmcnt(0)
	v_cvt_f32_f16_e32 v24, v24
	v_ldexp_f32 v22, v22, v25
	v_cndmask_b32_e32 v22, 0, v22, vcc
	v_cmp_ngt_f32_e32 vcc, s15, v20
	v_cndmask_b32_e32 v20, v12, v22, vcc
	v_add_f32_e32 v20, 1.0, v20
	v_div_scale_f32 v22, s[20:21], v20, v20, 1.0
	v_rcp_f32_e32 v25, v22
	v_fma_f32 v26, -v22, v25, 1.0
	v_fmac_f32_e32 v25, v26, v25
	v_div_scale_f32 v26, vcc, 1.0, v20, 1.0
	v_mul_f32_e32 v27, v26, v25
	v_fma_f32 v28, -v22, v27, v26
	v_fmac_f32_e32 v27, v28, v25
	v_fma_f32 v22, -v22, v27, v26
	v_cvt_f32_f16_e32 v26, v19
	v_div_fmas_f32 v19, v22, v25, v27
	v_div_fixup_f32 v19, v19, v20, 1.0
	v_add_f32_e32 v20, v17, v23
	v_add_f32_e32 v17, v26, v24
	v_fmac_f32_e32 v20, v17, v19
	v_cmp_nlt_f32_e64 s[20:21], |v20|, s36
                                        ; implicit-def: $vgpr22
	s_and_saveexec_b64 s[42:43], s[20:21]
	s_xor_b64 s[20:21], exec, s[42:43]
	s_cbranch_execz .LBB40_7
; %bb.6:                                ;   in Loop: Header=BB40_3 Depth=1
	v_add_f32_e64 v22, |v20|, |v20|
	v_mul_f32_e32 v23, 0x3fb8aa3b, v22
	v_rndne_f32_e32 v24, v23
	v_sub_f32_e32 v25, v23, v24
	v_fma_f32 v23, v22, s37, -v23
	v_fmac_f32_e32 v23, 0x32a5705f, v22
	v_add_f32_e32 v23, v25, v23
	v_cvt_i32_f32_e32 v24, v24
	v_exp_f32_e32 v23, v23
	v_cmp_ngt_f32_e32 vcc, s38, v22
	v_ldexp_f32 v23, v23, v24
	v_cndmask_b32_e32 v23, 0, v23, vcc
	v_cmp_nlt_f32_e32 vcc, s39, v22
	v_cndmask_b32_e32 v22, v12, v23, vcc
	v_add_f32_e32 v22, 1.0, v22
	v_rcp_f32_e32 v22, v22
	v_fma_f32 v22, v22, -2.0, 1.0
.LBB40_7:                               ;   in Loop: Header=BB40_3 Depth=1
	s_andn2_saveexec_b64 s[20:21], s[20:21]
	s_cbranch_execz .LBB40_2
; %bb.8:                                ;   in Loop: Header=BB40_3 Depth=1
	v_mul_f32_e32 v22, v20, v20
	v_mov_b32_e32 v23, 0x3ca908c9
	v_fmac_f32_e32 v23, 0xbbbac73d, v22
	v_fma_f32 v23, v22, v23, v9
	v_fma_f32 v23, v22, v23, v10
	;; [unrolled: 1-line block ×3, first 2 shown]
	v_mul_f32_e64 v23, |v20|, v23
	v_fma_f32 v22, v22, v23, |v20|
	s_branch .LBB40_2
.LBB40_9:
	s_endpgm
	.section	.rodata,"a",@progbits
	.p2align	6, 0x0
	.amdhsa_kernel _ZN2at6native12_GLOBAL__N_16kernel16gru_cell_forwardIN3c104HalfEfiLi1EEEvNS_4cuda6detail10TensorInfoIT_T1_EESB_SB_SB_SB_SB_SB_SA_SA_
		.amdhsa_group_segment_fixed_size 0
		.amdhsa_private_segment_fixed_size 0
		.amdhsa_kernarg_size 1776
		.amdhsa_user_sgpr_count 6
		.amdhsa_user_sgpr_private_segment_buffer 1
		.amdhsa_user_sgpr_dispatch_ptr 0
		.amdhsa_user_sgpr_queue_ptr 0
		.amdhsa_user_sgpr_kernarg_segment_ptr 1
		.amdhsa_user_sgpr_dispatch_id 0
		.amdhsa_user_sgpr_flat_scratch_init 0
		.amdhsa_user_sgpr_kernarg_preload_length 0
		.amdhsa_user_sgpr_kernarg_preload_offset 0
		.amdhsa_user_sgpr_private_segment_size 0
		.amdhsa_uses_dynamic_stack 0
		.amdhsa_system_sgpr_private_segment_wavefront_offset 0
		.amdhsa_system_sgpr_workgroup_id_x 1
		.amdhsa_system_sgpr_workgroup_id_y 0
		.amdhsa_system_sgpr_workgroup_id_z 0
		.amdhsa_system_sgpr_workgroup_info 0
		.amdhsa_system_vgpr_workitem_id 0
		.amdhsa_next_free_vgpr 35
		.amdhsa_next_free_sgpr 44
		.amdhsa_accum_offset 36
		.amdhsa_reserve_vcc 1
		.amdhsa_reserve_flat_scratch 0
		.amdhsa_float_round_mode_32 0
		.amdhsa_float_round_mode_16_64 0
		.amdhsa_float_denorm_mode_32 3
		.amdhsa_float_denorm_mode_16_64 3
		.amdhsa_dx10_clamp 1
		.amdhsa_ieee_mode 1
		.amdhsa_fp16_overflow 0
		.amdhsa_tg_split 0
		.amdhsa_exception_fp_ieee_invalid_op 0
		.amdhsa_exception_fp_denorm_src 0
		.amdhsa_exception_fp_ieee_div_zero 0
		.amdhsa_exception_fp_ieee_overflow 0
		.amdhsa_exception_fp_ieee_underflow 0
		.amdhsa_exception_fp_ieee_inexact 0
		.amdhsa_exception_int_div_zero 0
	.end_amdhsa_kernel
	.section	.text._ZN2at6native12_GLOBAL__N_16kernel16gru_cell_forwardIN3c104HalfEfiLi1EEEvNS_4cuda6detail10TensorInfoIT_T1_EESB_SB_SB_SB_SB_SB_SA_SA_,"axG",@progbits,_ZN2at6native12_GLOBAL__N_16kernel16gru_cell_forwardIN3c104HalfEfiLi1EEEvNS_4cuda6detail10TensorInfoIT_T1_EESB_SB_SB_SB_SB_SB_SA_SA_,comdat
.Lfunc_end40:
	.size	_ZN2at6native12_GLOBAL__N_16kernel16gru_cell_forwardIN3c104HalfEfiLi1EEEvNS_4cuda6detail10TensorInfoIT_T1_EESB_SB_SB_SB_SB_SB_SA_SA_, .Lfunc_end40-_ZN2at6native12_GLOBAL__N_16kernel16gru_cell_forwardIN3c104HalfEfiLi1EEEvNS_4cuda6detail10TensorInfoIT_T1_EESB_SB_SB_SB_SB_SB_SA_SA_
                                        ; -- End function
	.section	.AMDGPU.csdata,"",@progbits
; Kernel info:
; codeLenInByte = 2008
; NumSgprs: 48
; NumVgprs: 35
; NumAgprs: 0
; TotalNumVgprs: 35
; ScratchSize: 0
; MemoryBound: 0
; FloatMode: 240
; IeeeMode: 1
; LDSByteSize: 0 bytes/workgroup (compile time only)
; SGPRBlocks: 5
; VGPRBlocks: 4
; NumSGPRsForWavesPerEU: 48
; NumVGPRsForWavesPerEU: 35
; AccumOffset: 36
; Occupancy: 8
; WaveLimiterHint : 1
; COMPUTE_PGM_RSRC2:SCRATCH_EN: 0
; COMPUTE_PGM_RSRC2:USER_SGPR: 6
; COMPUTE_PGM_RSRC2:TRAP_HANDLER: 0
; COMPUTE_PGM_RSRC2:TGID_X_EN: 1
; COMPUTE_PGM_RSRC2:TGID_Y_EN: 0
; COMPUTE_PGM_RSRC2:TGID_Z_EN: 0
; COMPUTE_PGM_RSRC2:TIDIG_COMP_CNT: 0
; COMPUTE_PGM_RSRC3_GFX90A:ACCUM_OFFSET: 8
; COMPUTE_PGM_RSRC3_GFX90A:TG_SPLIT: 0
	.section	.text._ZN2at6native12_GLOBAL__N_16kernel16gru_cell_forwardIN3c104HalfEfiLi2EEEvNS_4cuda6detail10TensorInfoIT_T1_EESB_SB_SB_SB_SB_SB_SA_SA_,"axG",@progbits,_ZN2at6native12_GLOBAL__N_16kernel16gru_cell_forwardIN3c104HalfEfiLi2EEEvNS_4cuda6detail10TensorInfoIT_T1_EESB_SB_SB_SB_SB_SB_SA_SA_,comdat
	.globl	_ZN2at6native12_GLOBAL__N_16kernel16gru_cell_forwardIN3c104HalfEfiLi2EEEvNS_4cuda6detail10TensorInfoIT_T1_EESB_SB_SB_SB_SB_SB_SA_SA_ ; -- Begin function _ZN2at6native12_GLOBAL__N_16kernel16gru_cell_forwardIN3c104HalfEfiLi2EEEvNS_4cuda6detail10TensorInfoIT_T1_EESB_SB_SB_SB_SB_SB_SA_SA_
	.p2align	8
	.type	_ZN2at6native12_GLOBAL__N_16kernel16gru_cell_forwardIN3c104HalfEfiLi2EEEvNS_4cuda6detail10TensorInfoIT_T1_EESB_SB_SB_SB_SB_SB_SA_SA_,@function
_ZN2at6native12_GLOBAL__N_16kernel16gru_cell_forwardIN3c104HalfEfiLi2EEEvNS_4cuda6detail10TensorInfoIT_T1_EESB_SB_SB_SB_SB_SB_SA_SA_: ; @_ZN2at6native12_GLOBAL__N_16kernel16gru_cell_forwardIN3c104HalfEfiLi2EEEvNS_4cuda6detail10TensorInfoIT_T1_EESB_SB_SB_SB_SB_SB_SA_SA_
; %bb.0:
	s_load_dword s0, s[4:5], 0x5fc
	s_load_dwordx2 s[2:3], s[4:5], 0x5e8
	s_add_u32 s26, s4, 0x5f0
	s_addc_u32 s27, s5, 0
	s_waitcnt lgkmcnt(0)
	s_and_b32 s30, s0, 0xffff
	s_mul_i32 s6, s6, s30
	v_add_u32_e32 v0, s6, v0
	v_cmp_gt_i32_e32 vcc, s3, v0
	s_and_saveexec_b64 s[0:1], vcc
	s_cbranch_execz .LBB41_9
; %bb.1:
	s_load_dwordx2 s[6:7], s[4:5], 0x0
	s_load_dword s33, s[4:5], 0xc
	s_load_dwordx2 s[8:9], s[4:5], 0x6c
	s_load_dwordx2 s[10:11], s[4:5], 0xd8
	s_load_dword s34, s[4:5], 0xe4
	s_load_dwordx2 s[12:13], s[4:5], 0x144
	;; [unrolled: 3-line block ×3, first 2 shown]
	s_load_dword s36, s[4:5], 0x2f4
	s_load_dwordx2 s[18:19], s[4:5], 0x360
	s_load_dword s31, s[4:5], 0x36c
	s_waitcnt lgkmcnt(0)
	s_cmp_lg_u64 s[14:15], 0
	s_cselect_b64 s[0:1], -1, 0
	s_abs_i32 s37, s2
	v_cvt_f32_u32_e32 v1, s37
	s_abs_i32 s40, s33
	v_cvt_f32_u32_e32 v2, s40
	s_load_dwordx2 s[20:21], s[4:5], 0x3cc
	s_load_dwordx2 s[22:23], s[4:5], 0x438
	s_load_dword s55, s[4:5], 0x444
	s_load_dwordx2 s[24:25], s[4:5], 0x4a4
	s_load_dword s39, s[26:27], 0x0
	v_rcp_iflag_f32_e32 v1, v1
	s_abs_i32 s42, s34
	v_rcp_iflag_f32_e32 v2, v2
	s_abs_i32 s44, s31
	v_mul_f32_e32 v1, 0x4f7ffffe, v1
	v_cvt_u32_f32_e32 v1, v1
	v_mul_f32_e32 v2, 0x4f7ffffe, v2
	v_cvt_u32_f32_e32 v2, v2
	s_waitcnt lgkmcnt(0)
	s_mul_i32 s39, s39, s30
	s_sub_i32 s30, 0, s37
	v_mul_lo_u32 v3, s30, v1
	v_mul_hi_u32 v3, v1, v3
	s_sub_i32 s30, 0, s40
	v_add_u32_e32 v1, v1, v3
	v_cvt_f32_u32_e32 v3, s42
	v_mul_lo_u32 v4, s30, v2
	v_mul_hi_u32 v4, v2, v4
	v_add_u32_e32 v2, v2, v4
	v_cvt_f32_u32_e32 v4, s44
	v_rcp_iflag_f32_e32 v3, v3
	s_load_dwordx2 s[26:27], s[4:5], 0x510
	s_load_dword s38, s[4:5], 0x51c
	s_load_dwordx2 s[28:29], s[4:5], 0x57c
	s_sub_i32 s30, 0, s42
	v_rcp_iflag_f32_e32 v4, v4
	v_mul_f32_e32 v3, 0x4f7ffffe, v3
	v_cvt_u32_f32_e32 v3, v3
	s_abs_i32 s47, s55
	v_mul_f32_e32 v4, 0x4f7ffffe, v4
	v_cvt_u32_f32_e32 v4, v4
	v_mul_lo_u32 v5, s30, v3
	v_mul_hi_u32 v5, v3, v5
	s_sub_i32 s30, 0, s44
	v_add_u32_e32 v3, v3, v5
	v_cvt_f32_u32_e32 v5, s47
	v_mul_lo_u32 v6, s30, v4
	v_mul_hi_u32 v6, v4, v6
	s_waitcnt lgkmcnt(0)
	s_abs_i32 s48, s38
	v_add_u32_e32 v4, v4, v6
	v_cvt_f32_u32_e32 v6, s48
	v_rcp_iflag_f32_e32 v5, v5
	s_sub_i32 s30, 0, s47
	v_cndmask_b32_e64 v10, 0, 1, s[0:1]
	v_rcp_iflag_f32_e32 v6, v6
	v_mul_f32_e32 v5, 0x4f7ffffe, v5
	v_cvt_u32_f32_e32 v5, v5
	s_mov_b64 s[4:5], 0
	v_mul_f32_e32 v6, 0x4f7ffffe, v6
	v_cvt_u32_f32_e32 v6, v6
	v_mul_lo_u32 v7, s30, v5
	v_mul_hi_u32 v7, v5, v7
	s_sub_i32 s30, 0, s48
	v_add_u32_e32 v5, v5, v7
	v_mul_lo_u32 v7, s30, v6
	v_mul_hi_u32 v7, v6, v7
	s_ashr_i32 s41, s2, 31
	s_ashr_i32 s43, s33, 31
	;; [unrolled: 1-line block ×6, first 2 shown]
	v_add_u32_e32 v6, v6, v7
	s_lshl_b32 s51, s2, 1
	s_lshl_b32 s52, s2, 2
	s_sub_i32 s53, 0, s2
	s_sub_i32 s54, 0, s31
	;; [unrolled: 1-line block ×3, first 2 shown]
	v_mov_b32_e32 v7, s7
	v_mov_b32_e32 v8, s11
	;; [unrolled: 1-line block ×3, first 2 shown]
	v_cmp_ne_u32_e64 s[0:1], 1, v10
	s_mov_b32 s7, 0xbfb8aa3b
	s_mov_b32 s11, 0x42ce8ed0
	;; [unrolled: 1-line block ×7, first 2 shown]
	v_mov_b32_e32 v10, 0xbd5c1c4e
	v_mov_b32_e32 v11, 0x3e088382
	;; [unrolled: 1-line block ×3, first 2 shown]
	s_brev_b32 s60, -2
	v_mov_b32_e32 v13, 0x7f800000
	s_branch .LBB41_3
.LBB41_2:                               ;   in Loop: Header=BB41_3 Depth=1
	s_or_b64 exec, exec, s[30:31]
	v_cvt_f32_f16_e32 v20, v20
	v_cvt_f32_f16_e32 v22, v22
	;; [unrolled: 1-line block ×4, first 2 shown]
	v_xor_b32_e32 v16, s49, v16
	v_add_f32_e32 v20, v20, v22
	v_add_f32_e32 v20, v20, v25
	;; [unrolled: 1-line block ×3, first 2 shown]
	v_mul_f32_e32 v22, 0xbfb8aa3b, v20
	v_fma_f32 v25, v20, s7, -v22
	v_rndne_f32_e32 v27, v22
	v_fmac_f32_e32 v25, 0xb2a5705f, v20
	v_sub_f32_e32 v22, v22, v27
	v_add_f32_e32 v22, v22, v25
	v_cvt_i32_f32_e32 v25, v27
	v_exp_f32_e32 v22, v22
	v_cmp_nlt_f32_e32 vcc, s11, v20
	v_mul_lo_u32 v18, s52, v18
	v_add_u32_e32 v27, v0, v18
	v_ldexp_f32 v22, v22, v25
	v_cndmask_b32_e32 v22, 0, v22, vcc
	v_cmp_ngt_f32_e32 vcc, s19, v20
	v_cndmask_b32_e32 v20, v13, v22, vcc
	v_add_f32_e32 v20, 1.0, v20
	v_div_scale_f32 v22, s[30:31], v20, v20, 1.0
	v_rcp_f32_e32 v25, v22
	v_cvt_f16_f32_e32 v23, v23
	v_lshlrev_b32_e32 v15, 2, v15
	v_lshlrev_b32_e32 v14, 2, v14
	v_fma_f32 v28, -v22, v25, 1.0
	v_fmac_f32_e32 v25, v28, v25
	v_div_scale_f32 v28, vcc, 1.0, v20, 1.0
	v_mul_f32_e32 v29, v28, v25
	v_fma_f32 v30, -v22, v29, v28
	v_fmac_f32_e32 v29, v30, v25
	v_fma_f32 v22, -v22, v29, v28
	v_div_fmas_f32 v22, v22, v25, v29
	v_div_fixup_f32 v20, v22, v20, 1.0
	v_mul_hi_u32 v22, v17, v5
	v_mul_lo_u32 v25, v22, s47
	v_sub_u32_e32 v17, v17, v25
	v_add_u32_e32 v25, 1, v22
	v_cmp_le_u32_e32 vcc, s47, v17
	v_cndmask_b32_e32 v22, v22, v25, vcc
	v_subrev_u32_e32 v25, s47, v17
	v_cndmask_b32_e32 v17, v17, v25, vcc
	v_add_u32_e32 v25, 1, v22
	v_cmp_le_u32_e32 vcc, s47, v17
	v_cndmask_b32_e32 v17, v22, v25, vcc
	v_xor_b32_e32 v17, v17, v16
	v_sub_u32_e32 v22, v17, v16
	v_mad_u64_u32 v[16:17], s[30:31], s55, v22, v[0:1]
	v_mul_lo_u32 v16, v16, s25
	v_mad_u64_u32 v[16:17], s[30:31], v22, s24, v[16:17]
	v_ashrrev_i32_e32 v17, 31, v16
	v_cvt_f32_f16_e32 v25, v19
	v_lshlrev_b64 v[16:17], 1, v[16:17]
	v_mov_b32_e32 v22, s23
	v_add_co_u32_e32 v16, vcc, s22, v16
	v_addc_co_u32_e32 v17, vcc, v22, v17, vcc
	v_bfi_b32 v22, s60, v26, v24
	v_sub_f32_e32 v24, v25, v22
	v_fma_mixlo_f16 v24, v20, v24, v22
	global_store_short v[16:17], v24, off
	v_ashrrev_i32_e32 v16, 31, v27
	v_add3_u32 v24, v16, v18, v0
	v_xor_b32_e32 v17, s50, v16
	v_xor_b32_e32 v16, v24, v16
	v_mul_hi_u32 v24, v16, v6
	v_mul_lo_u32 v25, v24, s48
	v_sub_u32_e32 v16, v16, v25
	v_add_u32_e32 v25, 1, v24
	v_cmp_le_u32_e32 vcc, s48, v16
	v_cndmask_b32_e32 v24, v24, v25, vcc
	v_subrev_u32_e32 v25, s48, v16
	v_cndmask_b32_e32 v16, v16, v25, vcc
	v_add_u32_e32 v25, 1, v24
	v_cmp_le_u32_e32 vcc, s48, v16
	v_cndmask_b32_e32 v16, v24, v25, vcc
	v_xor_b32_e32 v16, v16, v17
	v_sub_u32_e32 v17, v16, v17
	v_mul_lo_u32 v16, v17, s38
	v_sub_u32_e32 v16, v18, v16
	v_add_u32_e32 v16, v0, v16
	v_mul_lo_u32 v16, v16, s29
	v_mad_u64_u32 v[16:17], s[30:31], v17, s28, v[16:17]
	v_ashrrev_i32_e32 v17, 31, v16
	v_lshlrev_b64 v[16:17], 1, v[16:17]
	v_mov_b32_e32 v18, s27
	v_add_co_u32_e32 v16, vcc, s26, v16
	v_addc_co_u32_e32 v17, vcc, v18, v17, vcc
	global_store_short v[16:17], v23, off
	v_sub_u32_e32 v17, v15, v14
	v_or_b32_e32 v14, 1, v17
	v_mul_lo_u32 v14, s2, v14
	v_add_u32_e32 v15, v0, v14
	v_ashrrev_i32_e32 v15, 31, v15
	v_add3_u32 v23, v15, v14, v0
	v_cvt_f16_f32_e32 v16, v20
	v_xor_b32_e32 v20, s50, v15
	v_xor_b32_e32 v15, v23, v15
	v_mul_hi_u32 v23, v15, v6
	v_mul_lo_u32 v24, v23, s48
	v_sub_u32_e32 v15, v15, v24
	v_add_u32_e32 v24, 1, v23
	v_cmp_le_u32_e32 vcc, s48, v15
	v_cndmask_b32_e32 v23, v23, v24, vcc
	v_subrev_u32_e32 v24, s48, v15
	v_cndmask_b32_e32 v15, v15, v24, vcc
	v_add_u32_e32 v24, 1, v23
	v_cmp_le_u32_e32 vcc, s48, v15
	v_cndmask_b32_e32 v15, v23, v24, vcc
	v_xor_b32_e32 v15, v15, v20
	v_sub_u32_e32 v15, v15, v20
	v_mul_lo_u32 v20, v15, s38
	v_sub_u32_e32 v14, v14, v20
	v_add_u32_e32 v14, v0, v14
	v_mul_lo_u32 v14, v14, s29
	v_mad_u64_u32 v[14:15], s[30:31], v15, s28, v[14:15]
	v_ashrrev_i32_e32 v15, 31, v14
	v_lshlrev_b64 v[14:15], 1, v[14:15]
	v_add_co_u32_e32 v14, vcc, s26, v14
	v_addc_co_u32_e32 v15, vcc, v18, v15, vcc
	global_store_short v[14:15], v16, off
	v_or_b32_e32 v14, 2, v17
	v_mul_lo_u32 v14, s2, v14
	v_add_u32_e32 v15, v0, v14
	v_ashrrev_i32_e32 v15, 31, v15
	v_cvt_f16_f32_e32 v16, v22
	v_add3_u32 v22, v15, v14, v0
	v_xor_b32_e32 v20, s50, v15
	v_xor_b32_e32 v15, v22, v15
	v_mul_hi_u32 v22, v15, v6
	v_mul_lo_u32 v23, v22, s48
	v_sub_u32_e32 v15, v15, v23
	v_add_u32_e32 v23, 1, v22
	v_cmp_le_u32_e32 vcc, s48, v15
	v_cndmask_b32_e32 v22, v22, v23, vcc
	v_subrev_u32_e32 v23, s48, v15
	v_cndmask_b32_e32 v15, v15, v23, vcc
	v_add_u32_e32 v23, 1, v22
	v_cmp_le_u32_e32 vcc, s48, v15
	v_cndmask_b32_e32 v15, v22, v23, vcc
	v_xor_b32_e32 v15, v15, v20
	v_sub_u32_e32 v15, v15, v20
	v_mul_lo_u32 v20, v15, s38
	v_sub_u32_e32 v14, v14, v20
	v_add_u32_e32 v14, v0, v14
	v_mul_lo_u32 v14, v14, s29
	v_mad_u64_u32 v[14:15], s[30:31], v15, s28, v[14:15]
	v_ashrrev_i32_e32 v15, 31, v14
	v_lshlrev_b64 v[14:15], 1, v[14:15]
	v_add_co_u32_e32 v14, vcc, s26, v14
	v_addc_co_u32_e32 v15, vcc, v18, v15, vcc
	global_store_short v[14:15], v16, off
	v_or_b32_e32 v14, 3, v17
	v_mul_lo_u32 v14, s2, v14
	v_add_u32_e32 v15, v0, v14
	v_ashrrev_i32_e32 v15, 31, v15
	v_add3_u32 v20, v15, v14, v0
	v_xor_b32_e32 v16, s50, v15
	v_xor_b32_e32 v15, v20, v15
	v_mul_hi_u32 v20, v15, v6
	v_mul_lo_u32 v22, v20, s48
	v_sub_u32_e32 v15, v15, v22
	v_add_u32_e32 v22, 1, v20
	v_cmp_le_u32_e32 vcc, s48, v15
	v_cndmask_b32_e32 v20, v20, v22, vcc
	v_subrev_u32_e32 v22, s48, v15
	v_cndmask_b32_e32 v15, v15, v22, vcc
	v_add_u32_e32 v22, 1, v20
	v_cmp_le_u32_e32 vcc, s48, v15
	v_cndmask_b32_e32 v15, v20, v22, vcc
	v_xor_b32_e32 v15, v15, v16
	v_sub_u32_e32 v15, v15, v16
	v_mul_lo_u32 v16, v15, s38
	v_sub_u32_e32 v14, v14, v16
	v_add_u32_e32 v14, v0, v14
	v_mul_lo_u32 v14, v14, s29
	v_mad_u64_u32 v[14:15], s[30:31], v15, s28, v[14:15]
	v_ashrrev_i32_e32 v15, 31, v14
	v_lshlrev_b64 v[14:15], 1, v[14:15]
	v_add_co_u32_e32 v14, vcc, s26, v14
	v_addc_co_u32_e32 v15, vcc, v18, v15, vcc
	global_store_short v[14:15], v19, off
	v_add_u32_e32 v14, 4, v17
	v_mul_lo_u32 v14, s2, v14
	v_add_u32_e32 v15, v0, v14
	v_ashrrev_i32_e32 v15, 31, v15
	v_add3_u32 v19, v15, v14, v0
	v_xor_b32_e32 v17, s50, v15
	v_xor_b32_e32 v15, v19, v15
	v_mul_hi_u32 v19, v15, v6
	v_mul_lo_u32 v20, v19, s48
	v_sub_u32_e32 v15, v15, v20
	v_add_u32_e32 v20, 1, v19
	v_cmp_le_u32_e32 vcc, s48, v15
	v_cndmask_b32_e32 v19, v19, v20, vcc
	v_subrev_u32_e32 v20, s48, v15
	v_cndmask_b32_e32 v15, v15, v20, vcc
	v_add_u32_e32 v20, 1, v19
	v_cmp_le_u32_e32 vcc, s48, v15
	v_cndmask_b32_e32 v15, v19, v20, vcc
	v_xor_b32_e32 v15, v15, v17
	v_sub_u32_e32 v15, v15, v17
	v_mul_lo_u32 v17, v15, s38
	v_sub_u32_e32 v14, v14, v17
	v_add_u32_e32 v14, v0, v14
	v_mul_lo_u32 v14, v14, s29
	v_mad_u64_u32 v[14:15], s[30:31], v15, s28, v[14:15]
	v_ashrrev_i32_e32 v15, 31, v14
	v_lshlrev_b64 v[14:15], 1, v[14:15]
	v_cvt_f16_f32_e32 v16, v21
	v_add_co_u32_e32 v14, vcc, s26, v14
	v_addc_co_u32_e32 v15, vcc, v18, v15, vcc
	v_add_u32_e32 v0, s39, v0
	v_cmp_le_i32_e32 vcc, s3, v0
	s_or_b64 s[4:5], vcc, s[4:5]
	global_store_short v[14:15], v16, off
	s_andn2_b64 exec, exec, s[4:5]
	s_cbranch_execz .LBB41_9
.LBB41_3:                               ; =>This Inner Loop Header: Depth=1
	v_sub_u32_e32 v15, 0, v0
	v_max_i32_e32 v17, v0, v15
	v_mul_hi_u32 v15, v17, v1
	v_mul_lo_u32 v18, v15, s37
	v_sub_u32_e32 v18, v17, v18
	v_add_u32_e32 v19, 1, v15
	v_cmp_le_u32_e32 vcc, s37, v18
	v_cndmask_b32_e32 v15, v15, v19, vcc
	v_subrev_u32_e32 v19, s37, v18
	v_cndmask_b32_e32 v18, v18, v19, vcc
	v_ashrrev_i32_e32 v16, 31, v0
	v_add_u32_e32 v19, 1, v15
	v_cmp_le_u32_e32 vcc, s37, v18
	v_xor_b32_e32 v14, s41, v16
	v_cndmask_b32_e32 v15, v15, v19, vcc
	v_xor_b32_e32 v15, v15, v14
	v_sub_u32_e32 v18, v15, v14
	v_mul_lo_u32 v19, s51, v18
	v_add_u32_e32 v20, v0, v19
	v_ashrrev_i32_e32 v28, 31, v20
	v_add3_u32 v21, v28, v19, v0
	v_xor_b32_e32 v29, v21, v28
	v_mul_hi_u32 v21, v29, v2
	v_mul_lo_u32 v22, v21, s40
	v_sub_u32_e32 v22, v29, v22
	v_add_u32_e32 v23, 1, v21
	v_cmp_le_u32_e32 vcc, s40, v22
	v_cndmask_b32_e32 v21, v21, v23, vcc
	v_subrev_u32_e32 v23, s40, v22
	v_cndmask_b32_e32 v22, v22, v23, vcc
	v_add_u32_e32 v23, 1, v21
	v_cmp_le_u32_e32 vcc, s40, v22
	v_xor_b32_e32 v20, s43, v28
	v_cndmask_b32_e32 v21, v21, v23, vcc
	v_xor_b32_e32 v21, v21, v20
	v_lshlrev_b32_e32 v22, 1, v15
	v_lshlrev_b32_e32 v23, 1, v14
	v_sub_u32_e32 v21, v21, v20
	v_sub_u32_e32 v26, v22, v23
	v_mul_lo_u32 v20, v21, s33
	v_or_b32_e32 v22, 1, v26
	v_sub_u32_e32 v20, v19, v20
	v_mul_lo_u32 v30, s2, v22
	v_add_u32_e32 v20, v0, v20
	v_add_u32_e32 v22, v0, v30
	v_mul_lo_u32 v20, v20, s9
	v_ashrrev_i32_e32 v31, 31, v22
	v_mad_u64_u32 v[20:21], s[30:31], v21, s8, v[20:21]
	v_add3_u32 v23, v31, v30, v0
	v_ashrrev_i32_e32 v21, 31, v20
	v_xor_b32_e32 v32, v23, v31
	v_lshlrev_b64 v[20:21], 1, v[20:21]
	v_mul_hi_u32 v23, v32, v2
	v_add_co_u32_e32 v20, vcc, s6, v20
	v_mul_lo_u32 v24, v23, s40
	v_addc_co_u32_e32 v21, vcc, v7, v21, vcc
	v_sub_u32_e32 v24, v32, v24
	v_add_u32_e32 v25, 1, v23
	v_cmp_le_u32_e32 vcc, s40, v24
	v_cndmask_b32_e32 v23, v23, v25, vcc
	v_subrev_u32_e32 v25, s40, v24
	v_cndmask_b32_e32 v24, v24, v25, vcc
	v_add_u32_e32 v25, 1, v23
	v_cmp_le_u32_e32 vcc, s40, v24
	v_xor_b32_e32 v22, s43, v31
	v_cndmask_b32_e32 v23, v23, v25, vcc
	v_xor_b32_e32 v23, v23, v22
	v_sub_u32_e32 v23, v23, v22
	v_mul_lo_u32 v22, v23, s33
	v_sub_u32_e32 v22, v30, v22
	v_add_u32_e32 v22, v0, v22
	v_mul_lo_u32 v22, v22, s9
	v_mad_u64_u32 v[22:23], s[30:31], v23, s8, v[22:23]
	v_ashrrev_i32_e32 v23, 31, v22
	v_lshlrev_b64 v[22:23], 1, v[22:23]
	v_add_co_u32_e32 v24, vcc, s6, v22
	v_add_u32_e32 v22, 2, v26
	v_mul_lo_u32 v33, s2, v22
	v_add_u32_e32 v22, v0, v33
	v_ashrrev_i32_e32 v34, 31, v22
	v_addc_co_u32_e32 v25, vcc, v7, v23, vcc
	v_add3_u32 v23, v34, v33, v0
	v_xor_b32_e32 v35, v23, v34
	v_mul_hi_u32 v23, v35, v2
	v_mul_lo_u32 v26, v23, s40
	v_sub_u32_e32 v26, v35, v26
	v_add_u32_e32 v27, 1, v23
	v_cmp_le_u32_e32 vcc, s40, v26
	v_cndmask_b32_e32 v23, v23, v27, vcc
	v_subrev_u32_e32 v27, s40, v26
	v_cndmask_b32_e32 v26, v26, v27, vcc
	v_add_u32_e32 v27, 1, v23
	v_cmp_le_u32_e32 vcc, s40, v26
	v_xor_b32_e32 v22, s43, v34
	v_cndmask_b32_e32 v23, v23, v27, vcc
	v_xor_b32_e32 v23, v23, v22
	v_sub_u32_e32 v23, v23, v22
	v_mul_lo_u32 v22, v23, s33
	v_sub_u32_e32 v22, v33, v22
	v_add_u32_e32 v22, v0, v22
	v_mul_lo_u32 v22, v22, s9
	v_mad_u64_u32 v[22:23], s[30:31], v23, s8, v[22:23]
	v_ashrrev_i32_e32 v23, 31, v22
	v_lshlrev_b64 v[22:23], 1, v[22:23]
	v_add_co_u32_e32 v26, vcc, s6, v22
	v_addc_co_u32_e32 v27, vcc, v7, v23, vcc
	global_load_ushort v23, v[20:21], off
	s_nop 0
	global_load_ushort v20, v[24:25], off
	global_load_ushort v21, v[26:27], off
	v_mul_hi_u32 v24, v29, v3
	v_mul_lo_u32 v25, v24, s42
	v_sub_u32_e32 v25, v29, v25
	v_add_u32_e32 v26, 1, v24
	v_cmp_le_u32_e32 vcc, s42, v25
	v_cndmask_b32_e32 v24, v24, v26, vcc
	v_subrev_u32_e32 v26, s42, v25
	v_cndmask_b32_e32 v25, v25, v26, vcc
	v_add_u32_e32 v26, 1, v24
	v_cmp_le_u32_e32 vcc, s42, v25
	v_xor_b32_e32 v22, s45, v28
	v_cndmask_b32_e32 v24, v24, v26, vcc
	v_xor_b32_e32 v24, v24, v22
	v_sub_u32_e32 v24, v24, v22
	v_mul_lo_u32 v22, v24, s34
	v_sub_u32_e32 v19, v19, v22
	v_add_u32_e32 v19, v0, v19
	v_mul_lo_u32 v22, v19, s13
	v_xor_b32_e32 v19, s45, v31
	s_waitcnt vmcnt(2)
	v_mad_u64_u32 v[24:25], s[30:31], v24, s12, v[22:23]
	v_ashrrev_i32_e32 v25, 31, v24
	v_lshlrev_b64 v[24:25], 1, v[24:25]
	v_mul_hi_u32 v22, v32, v3
	v_add_co_u32_e32 v24, vcc, s10, v24
	v_mul_lo_u32 v26, v22, s42
	v_addc_co_u32_e32 v25, vcc, v8, v25, vcc
	v_sub_u32_e32 v26, v32, v26
	v_add_u32_e32 v27, 1, v22
	v_cmp_le_u32_e32 vcc, s42, v26
	v_cndmask_b32_e32 v22, v22, v27, vcc
	v_subrev_u32_e32 v27, s42, v26
	v_cndmask_b32_e32 v26, v26, v27, vcc
	v_add_u32_e32 v27, 1, v22
	v_cmp_le_u32_e32 vcc, s42, v26
	v_cndmask_b32_e32 v22, v22, v27, vcc
	v_xor_b32_e32 v22, v22, v19
	v_sub_u32_e32 v19, v22, v19
	v_mul_lo_u32 v22, v19, s34
	v_sub_u32_e32 v22, v30, v22
	v_add_u32_e32 v22, v0, v22
	v_mul_lo_u32 v22, v22, s13
	v_mad_u64_u32 v[26:27], s[30:31], v19, s12, v[22:23]
	v_ashrrev_i32_e32 v27, 31, v26
	v_lshlrev_b64 v[26:27], 1, v[26:27]
	v_mul_hi_u32 v22, v35, v3
	v_add_co_u32_e32 v28, vcc, s10, v26
	v_mul_lo_u32 v26, v22, s42
	v_addc_co_u32_e32 v29, vcc, v8, v27, vcc
	v_sub_u32_e32 v26, v35, v26
	v_add_u32_e32 v27, 1, v22
	v_cmp_le_u32_e32 vcc, s42, v26
	v_cndmask_b32_e32 v22, v22, v27, vcc
	v_subrev_u32_e32 v27, s42, v26
	v_cndmask_b32_e32 v26, v26, v27, vcc
	v_add_u32_e32 v27, 1, v22
	v_cmp_le_u32_e32 vcc, s42, v26
	v_xor_b32_e32 v19, s45, v34
	v_cndmask_b32_e32 v22, v22, v27, vcc
	v_xor_b32_e32 v22, v22, v19
	v_sub_u32_e32 v19, v22, v19
	v_mul_lo_u32 v22, v19, s34
	v_sub_u32_e32 v22, v33, v22
	v_add_u32_e32 v22, v0, v22
	v_mul_lo_u32 v22, v22, s13
	v_mad_u64_u32 v[26:27], s[30:31], v19, s12, v[22:23]
	v_ashrrev_i32_e32 v27, 31, v26
	v_lshlrev_b64 v[26:27], 1, v[26:27]
	v_add_co_u32_e32 v30, vcc, s10, v26
	v_addc_co_u32_e32 v31, vcc, v8, v27, vcc
	global_load_ushort v26, v[24:25], off
	global_load_ushort v22, v[28:29], off
	s_nop 0
	global_load_ushort v24, v[30:31], off
	v_mul_hi_u32 v25, v17, v4
	v_mul_lo_u32 v27, v25, s44
	v_sub_u32_e32 v27, v17, v27
	v_add_u32_e32 v28, 1, v25
	v_cmp_le_u32_e32 vcc, s44, v27
	v_cndmask_b32_e32 v25, v25, v28, vcc
	v_subrev_u32_e32 v28, s44, v27
	v_cndmask_b32_e32 v27, v27, v28, vcc
	v_add_u32_e32 v28, 1, v25
	v_cmp_le_u32_e32 vcc, s44, v27
	v_xor_b32_e32 v19, s46, v16
	v_cndmask_b32_e32 v25, v25, v28, vcc
	v_xor_b32_e32 v25, v25, v19
	v_sub_u32_e32 v19, v25, v19
	v_mad_u64_u32 v[28:29], s[30:31], s54, v19, v[0:1]
	v_mul_lo_u32 v28, v28, s21
	v_mad_u64_u32 v[28:29], s[30:31], v19, s20, v[28:29]
	v_ashrrev_i32_e32 v29, 31, v28
	v_lshlrev_b64 v[28:29], 1, v[28:29]
	v_add_co_u32_e32 v28, vcc, s18, v28
	v_addc_co_u32_e32 v29, vcc, v9, v29, vcc
	global_load_ushort v19, v[28:29], off
	s_and_b64 vcc, exec, s[0:1]
	v_mov_b32_e32 v29, 0
	v_mov_b32_e32 v27, 0
	;; [unrolled: 1-line block ×6, first 2 shown]
	s_cbranch_vccnz .LBB41_5
; %bb.4:                                ;   in Loop: Header=BB41_3 Depth=1
	v_mad_u64_u32 v[32:33], s[30:31], s53, v18, v[0:1]
	v_sub_u32_e32 v27, v14, v15
	v_mul_lo_u32 v28, v32, s35
	v_mul_lo_u32 v30, s2, v27
	v_ashrrev_i32_e32 v29, 31, v28
	v_add3_u32 v40, v30, s2, v0
	v_lshlrev_b64 v[28:29], 1, v[28:29]
	v_mul_lo_u32 v30, v40, s35
	v_mov_b32_e32 v25, s15
	v_add_co_u32_e32 v28, vcc, s14, v28
	v_ashrrev_i32_e32 v31, 31, v30
	v_add_u32_e32 v27, 2, v27
	v_addc_co_u32_e32 v29, vcc, v25, v29, vcc
	v_lshlrev_b64 v[30:31], 1, v[30:31]
	v_mad_u64_u32 v[36:37], s[30:31], s2, v27, v[0:1]
	v_add_co_u32_e32 v34, vcc, s14, v30
	v_mul_lo_u32 v30, v36, s35
	v_addc_co_u32_e32 v35, vcc, v25, v31, vcc
	v_ashrrev_i32_e32 v31, 31, v30
	v_lshlrev_b64 v[30:31], 1, v[30:31]
	v_mul_lo_u32 v32, v32, s36
	v_add_co_u32_e32 v38, vcc, s14, v30
	v_ashrrev_i32_e32 v33, 31, v32
	v_addc_co_u32_e32 v39, vcc, v25, v31, vcc
	global_load_ushort v30, v[28:29], off
	global_load_ushort v25, v[34:35], off
	s_nop 0
	global_load_ushort v28, v[38:39], off
	v_lshlrev_b64 v[32:33], 1, v[32:33]
	v_mul_lo_u32 v34, v40, s36
	v_mov_b32_e32 v27, s17
	v_add_co_u32_e32 v32, vcc, s16, v32
	v_ashrrev_i32_e32 v35, 31, v34
	v_addc_co_u32_e32 v33, vcc, v27, v33, vcc
	v_lshlrev_b64 v[34:35], 1, v[34:35]
	v_mul_lo_u32 v36, v36, s36
	v_add_co_u32_e32 v34, vcc, s16, v34
	v_ashrrev_i32_e32 v37, 31, v36
	v_addc_co_u32_e32 v35, vcc, v27, v35, vcc
	v_lshlrev_b64 v[36:37], 1, v[36:37]
	v_add_co_u32_e32 v36, vcc, s16, v36
	v_addc_co_u32_e32 v37, vcc, v27, v37, vcc
	global_load_ushort v31, v[32:33], off
	global_load_ushort v27, v[34:35], off
	;; [unrolled: 1-line block ×3, first 2 shown]
.LBB41_5:                               ;   in Loop: Header=BB41_3 Depth=1
	v_cvt_f32_f16_e32 v23, v23
	s_waitcnt vmcnt(3)
	v_cvt_f32_f16_e32 v26, v26
	v_cvt_f32_f16_e32 v30, v30
	s_waitcnt vmcnt(2)
	v_cvt_f32_f16_e32 v31, v31
	v_cvt_f32_f16_e32 v21, v21
	v_add_f32_e32 v23, v23, v26
	v_add_f32_e32 v23, v23, v30
	;; [unrolled: 1-line block ×3, first 2 shown]
	v_mul_f32_e32 v26, 0xbfb8aa3b, v23
	v_fma_f32 v30, v23, s7, -v26
	v_rndne_f32_e32 v31, v26
	v_fmac_f32_e32 v30, 0xb2a5705f, v23
	v_sub_f32_e32 v26, v26, v31
	v_add_f32_e32 v26, v26, v30
	v_cvt_i32_f32_e32 v30, v31
	v_exp_f32_e32 v26, v26
	v_cmp_nlt_f32_e32 vcc, s11, v23
	v_cvt_f32_f16_e32 v28, v28
	s_waitcnt vmcnt(0)
	v_cvt_f32_f16_e32 v29, v29
	v_ldexp_f32 v26, v26, v30
	v_cndmask_b32_e32 v26, 0, v26, vcc
	v_cmp_ngt_f32_e32 vcc, s19, v23
	v_cndmask_b32_e32 v23, v13, v26, vcc
	v_add_f32_e32 v23, 1.0, v23
	v_div_scale_f32 v26, s[30:31], v23, v23, 1.0
	v_rcp_f32_e32 v30, v26
	v_fma_f32 v31, -v26, v30, 1.0
	v_fmac_f32_e32 v30, v31, v30
	v_div_scale_f32 v31, vcc, 1.0, v23, 1.0
	v_mul_f32_e32 v32, v31, v30
	v_fma_f32 v33, -v26, v32, v31
	v_fmac_f32_e32 v32, v33, v30
	v_fma_f32 v26, -v26, v32, v31
	v_cvt_f32_f16_e32 v31, v24
	v_div_fmas_f32 v24, v26, v30, v32
	v_div_fixup_f32 v23, v24, v23, 1.0
	v_add_f32_e32 v24, v21, v28
	v_add_f32_e32 v21, v31, v29
	v_fmac_f32_e32 v24, v21, v23
	v_cmp_nlt_f32_e64 s[30:31], |v24|, s56
                                        ; implicit-def: $vgpr26
	s_and_saveexec_b64 s[62:63], s[30:31]
	s_xor_b64 s[30:31], exec, s[62:63]
	s_cbranch_execz .LBB41_7
; %bb.6:                                ;   in Loop: Header=BB41_3 Depth=1
	v_add_f32_e64 v26, |v24|, |v24|
	v_mul_f32_e32 v28, 0x3fb8aa3b, v26
	v_rndne_f32_e32 v29, v28
	v_sub_f32_e32 v30, v28, v29
	v_fma_f32 v28, v26, s57, -v28
	v_fmac_f32_e32 v28, 0x32a5705f, v26
	v_add_f32_e32 v28, v30, v28
	v_cvt_i32_f32_e32 v29, v29
	v_exp_f32_e32 v28, v28
	v_cmp_ngt_f32_e32 vcc, s58, v26
	v_ldexp_f32 v28, v28, v29
	v_cndmask_b32_e32 v28, 0, v28, vcc
	v_cmp_nlt_f32_e32 vcc, s59, v26
	v_cndmask_b32_e32 v26, v13, v28, vcc
	v_add_f32_e32 v26, 1.0, v26
	v_rcp_f32_e32 v26, v26
	v_fma_f32 v26, v26, -2.0, 1.0
.LBB41_7:                               ;   in Loop: Header=BB41_3 Depth=1
	s_andn2_saveexec_b64 s[30:31], s[30:31]
	s_cbranch_execz .LBB41_2
; %bb.8:                                ;   in Loop: Header=BB41_3 Depth=1
	v_mul_f32_e32 v26, v24, v24
	v_mov_b32_e32 v28, 0x3ca908c9
	v_fmac_f32_e32 v28, 0xbbbac73d, v26
	v_fma_f32 v28, v26, v28, v10
	v_fma_f32 v28, v26, v28, v11
	;; [unrolled: 1-line block ×3, first 2 shown]
	v_mul_f32_e64 v28, |v24|, v28
	v_fma_f32 v26, v26, v28, |v24|
	s_branch .LBB41_2
.LBB41_9:
	s_endpgm
	.section	.rodata,"a",@progbits
	.p2align	6, 0x0
	.amdhsa_kernel _ZN2at6native12_GLOBAL__N_16kernel16gru_cell_forwardIN3c104HalfEfiLi2EEEvNS_4cuda6detail10TensorInfoIT_T1_EESB_SB_SB_SB_SB_SB_SA_SA_
		.amdhsa_group_segment_fixed_size 0
		.amdhsa_private_segment_fixed_size 0
		.amdhsa_kernarg_size 1776
		.amdhsa_user_sgpr_count 6
		.amdhsa_user_sgpr_private_segment_buffer 1
		.amdhsa_user_sgpr_dispatch_ptr 0
		.amdhsa_user_sgpr_queue_ptr 0
		.amdhsa_user_sgpr_kernarg_segment_ptr 1
		.amdhsa_user_sgpr_dispatch_id 0
		.amdhsa_user_sgpr_flat_scratch_init 0
		.amdhsa_user_sgpr_kernarg_preload_length 0
		.amdhsa_user_sgpr_kernarg_preload_offset 0
		.amdhsa_user_sgpr_private_segment_size 0
		.amdhsa_uses_dynamic_stack 0
		.amdhsa_system_sgpr_private_segment_wavefront_offset 0
		.amdhsa_system_sgpr_workgroup_id_x 1
		.amdhsa_system_sgpr_workgroup_id_y 0
		.amdhsa_system_sgpr_workgroup_id_z 0
		.amdhsa_system_sgpr_workgroup_info 0
		.amdhsa_system_vgpr_workitem_id 0
		.amdhsa_next_free_vgpr 41
		.amdhsa_next_free_sgpr 64
		.amdhsa_accum_offset 44
		.amdhsa_reserve_vcc 1
		.amdhsa_reserve_flat_scratch 0
		.amdhsa_float_round_mode_32 0
		.amdhsa_float_round_mode_16_64 0
		.amdhsa_float_denorm_mode_32 3
		.amdhsa_float_denorm_mode_16_64 3
		.amdhsa_dx10_clamp 1
		.amdhsa_ieee_mode 1
		.amdhsa_fp16_overflow 0
		.amdhsa_tg_split 0
		.amdhsa_exception_fp_ieee_invalid_op 0
		.amdhsa_exception_fp_denorm_src 0
		.amdhsa_exception_fp_ieee_div_zero 0
		.amdhsa_exception_fp_ieee_overflow 0
		.amdhsa_exception_fp_ieee_underflow 0
		.amdhsa_exception_fp_ieee_inexact 0
		.amdhsa_exception_int_div_zero 0
	.end_amdhsa_kernel
	.section	.text._ZN2at6native12_GLOBAL__N_16kernel16gru_cell_forwardIN3c104HalfEfiLi2EEEvNS_4cuda6detail10TensorInfoIT_T1_EESB_SB_SB_SB_SB_SB_SA_SA_,"axG",@progbits,_ZN2at6native12_GLOBAL__N_16kernel16gru_cell_forwardIN3c104HalfEfiLi2EEEvNS_4cuda6detail10TensorInfoIT_T1_EESB_SB_SB_SB_SB_SB_SA_SA_,comdat
.Lfunc_end41:
	.size	_ZN2at6native12_GLOBAL__N_16kernel16gru_cell_forwardIN3c104HalfEfiLi2EEEvNS_4cuda6detail10TensorInfoIT_T1_EESB_SB_SB_SB_SB_SB_SA_SA_, .Lfunc_end41-_ZN2at6native12_GLOBAL__N_16kernel16gru_cell_forwardIN3c104HalfEfiLi2EEEvNS_4cuda6detail10TensorInfoIT_T1_EESB_SB_SB_SB_SB_SB_SA_SA_
                                        ; -- End function
	.section	.AMDGPU.csdata,"",@progbits
; Kernel info:
; codeLenInByte = 3604
; NumSgprs: 68
; NumVgprs: 41
; NumAgprs: 0
; TotalNumVgprs: 41
; ScratchSize: 0
; MemoryBound: 0
; FloatMode: 240
; IeeeMode: 1
; LDSByteSize: 0 bytes/workgroup (compile time only)
; SGPRBlocks: 8
; VGPRBlocks: 5
; NumSGPRsForWavesPerEU: 68
; NumVGPRsForWavesPerEU: 41
; AccumOffset: 44
; Occupancy: 8
; WaveLimiterHint : 1
; COMPUTE_PGM_RSRC2:SCRATCH_EN: 0
; COMPUTE_PGM_RSRC2:USER_SGPR: 6
; COMPUTE_PGM_RSRC2:TRAP_HANDLER: 0
; COMPUTE_PGM_RSRC2:TGID_X_EN: 1
; COMPUTE_PGM_RSRC2:TGID_Y_EN: 0
; COMPUTE_PGM_RSRC2:TGID_Z_EN: 0
; COMPUTE_PGM_RSRC2:TIDIG_COMP_CNT: 0
; COMPUTE_PGM_RSRC3_GFX90A:ACCUM_OFFSET: 10
; COMPUTE_PGM_RSRC3_GFX90A:TG_SPLIT: 0
	.section	.text._ZN2at6native12_GLOBAL__N_16kernel16gru_cell_forwardIN3c104HalfEflLi1EEEvNS_4cuda6detail10TensorInfoIT_T1_EESB_SB_SB_SB_SB_SB_SA_SA_,"axG",@progbits,_ZN2at6native12_GLOBAL__N_16kernel16gru_cell_forwardIN3c104HalfEflLi1EEEvNS_4cuda6detail10TensorInfoIT_T1_EESB_SB_SB_SB_SB_SB_SA_SA_,comdat
	.globl	_ZN2at6native12_GLOBAL__N_16kernel16gru_cell_forwardIN3c104HalfEflLi1EEEvNS_4cuda6detail10TensorInfoIT_T1_EESB_SB_SB_SB_SB_SB_SA_SA_ ; -- Begin function _ZN2at6native12_GLOBAL__N_16kernel16gru_cell_forwardIN3c104HalfEflLi1EEEvNS_4cuda6detail10TensorInfoIT_T1_EESB_SB_SB_SB_SB_SB_SA_SA_
	.p2align	8
	.type	_ZN2at6native12_GLOBAL__N_16kernel16gru_cell_forwardIN3c104HalfEflLi1EEEvNS_4cuda6detail10TensorInfoIT_T1_EESB_SB_SB_SB_SB_SB_SA_SA_,@function
_ZN2at6native12_GLOBAL__N_16kernel16gru_cell_forwardIN3c104HalfEflLi1EEEvNS_4cuda6detail10TensorInfoIT_T1_EESB_SB_SB_SB_SB_SB_SA_SA_: ; @_ZN2at6native12_GLOBAL__N_16kernel16gru_cell_forwardIN3c104HalfEflLi1EEEvNS_4cuda6detail10TensorInfoIT_T1_EESB_SB_SB_SB_SB_SB_SA_SA_
; %bb.0:
	s_load_dword s2, s[4:5], 0xb7c
	s_load_dwordx4 s[8:11], s[4:5], 0xb60
	s_add_u32 s0, s4, 0xb70
	s_addc_u32 s1, s5, 0
	v_mov_b32_e32 v2, 0
	s_waitcnt lgkmcnt(0)
	s_and_b32 s30, s2, 0xffff
	s_mul_i32 s6, s6, s30
	v_add_u32_e32 v0, s6, v0
	v_mov_b32_e32 v1, v2
	v_cmp_gt_i64_e32 vcc, s[10:11], v[0:1]
	s_and_saveexec_b64 s[2:3], vcc
	s_cbranch_execz .LBB42_13
; %bb.1:
	s_load_dwordx2 s[2:3], s[4:5], 0x0
	s_load_dwordx2 s[6:7], s[4:5], 0xd0
	;; [unrolled: 1-line block ×12, first 2 shown]
	s_load_dword s31, s[0:1], 0x0
	s_load_dwordx2 s[24:25], s[4:5], 0x9c0
	s_load_dwordx2 s[26:27], s[4:5], 0xa90
	s_waitcnt lgkmcnt(0)
	s_cmp_lg_u64 s[16:17], 0
	v_mul_lo_u32 v3, 0, s38
	v_mul_lo_u32 v6, v0, s39
	v_mad_u64_u32 v[4:5], s[0:1], v0, s38, 0
	s_cselect_b64 s[28:29], -1, 0
	s_mul_i32 s33, s31, s30
	s_lshl_b64 s[30:31], s[8:9], 1
	s_lshl_b64 s[34:35], s[8:9], 2
	v_add3_u32 v5, v5, v6, v3
	s_sub_u32 s47, 0, s8
	v_lshlrev_b64 v[4:5], 1, v[4:5]
	s_mul_i32 s0, s33, s39
	s_mul_hi_u32 s1, s33, s38
	s_subb_u32 s48, 0, s9
	v_mov_b32_e32 v3, s37
	v_add_co_u32_e32 v4, vcc, s36, v4
	s_add_i32 s1, s1, s0
	s_mul_i32 s0, s33, s38
	v_addc_co_u32_e32 v5, vcc, v3, v5, vcc
	s_lshl_b64 s[36:37], s[0:1], 1
	v_mul_lo_u32 v3, 0, s42
	v_mul_lo_u32 v8, v0, s43
	v_mad_u64_u32 v[6:7], s[0:1], v0, s42, 0
	v_add3_u32 v7, v7, v8, v3
	v_lshlrev_b64 v[6:7], 1, v[6:7]
	s_mul_i32 s0, s33, s43
	s_mul_hi_u32 s1, s33, s42
	v_mov_b32_e32 v3, s41
	v_add_co_u32_e32 v6, vcc, s40, v6
	s_add_i32 s1, s1, s0
	s_mul_i32 s0, s33, s42
	s_mov_b64 s[4:5], 0
	s_mov_b32 s46, 0
	v_addc_co_u32_e32 v7, vcc, v3, v7, vcc
	s_lshl_b64 s[38:39], s[0:1], 1
	s_mov_b32 s49, 0xbfb8aa3b
	s_mov_b32 s50, 0x42ce8ed0
	;; [unrolled: 1-line block ×7, first 2 shown]
	v_mov_b32_e32 v10, 0xbd5c1c4e
	v_mov_b32_e32 v11, 0x3e088382
	;; [unrolled: 1-line block ×3, first 2 shown]
	s_brev_b32 s56, -2
	v_mov_b32_e32 v13, 0x7f800000
	s_branch .LBB42_3
.LBB42_2:                               ;   in Loop: Header=BB42_3 Depth=1
	s_or_b64 exec, exec, s[0:1]
	v_cvt_f32_f16_e32 v14, v14
	v_cvt_f32_f16_e32 v15, v15
	;; [unrolled: 1-line block ×4, first 2 shown]
	v_mul_lo_u32 v23, s34, v9
	v_add_f32_e32 v14, v14, v15
	v_add_f32_e32 v14, v14, v17
	;; [unrolled: 1-line block ×3, first 2 shown]
	v_mul_f32_e32 v14, 0xbfb8aa3b, v17
	v_fma_f32 v15, v17, s49, -v14
	v_rndne_f32_e32 v20, v14
	v_fmac_f32_e32 v15, 0xb2a5705f, v17
	v_sub_f32_e32 v14, v14, v20
	v_add_f32_e32 v14, v14, v15
	v_exp_f32_e32 v22, v14
	v_cvt_i32_f32_e32 v20, v20
	v_cmp_nlt_f32_e32 vcc, s50, v17
	v_mad_u64_u32 v[14:15], s[0:1], s34, v8, v[0:1]
	v_ldexp_f32 v20, v22, v20
	v_cndmask_b32_e32 v20, 0, v20, vcc
	v_cmp_ngt_f32_e32 vcc, s51, v17
	v_cndmask_b32_e32 v17, v13, v20, vcc
	v_add_f32_e32 v17, 1.0, v17
	v_div_scale_f32 v20, s[0:1], v17, v17, 1.0
	v_rcp_f32_e32 v22, v20
	v_mul_lo_u32 v24, s35, v8
	v_add3_u32 v15, v24, v15, v23
	v_bfi_b32 v19, s56, v21, v19
	v_fma_f32 v23, -v20, v22, 1.0
	v_fmac_f32_e32 v22, v23, v22
	v_div_scale_f32 v23, vcc, 1.0, v17, 1.0
	v_mul_f32_e32 v24, v23, v22
	v_fma_f32 v25, -v20, v24, v23
	v_fmac_f32_e32 v24, v25, v22
	v_fma_f32 v20, -v20, v24, v23
	v_cvt_f32_f16_e32 v23, v3
	v_div_fmas_f32 v20, v20, v22, v24
	v_div_fixup_f32 v17, v20, v17, 1.0
	v_mul_lo_u32 v21, v15, s26
	v_sub_f32_e32 v20, v23, v19
	v_fma_mixlo_f16 v20, v17, v20, v19
	global_store_short v[6:7], v20, off
	v_mul_lo_u32 v20, v14, s27
	v_mad_u64_u32 v[14:15], s[0:1], v14, s26, 0
	v_cvt_f16_f32_e32 v18, v18
	v_add3_u32 v15, v15, v20, v21
	v_lshlrev_b64 v[14:15], 1, v[14:15]
	v_mov_b32_e32 v20, s25
	v_add_co_u32_e32 v14, vcc, s24, v14
	v_addc_co_u32_e32 v15, vcc, v20, v15, vcc
	v_lshlrev_b64 v[8:9], 2, v[8:9]
	global_store_short v[14:15], v18, off
	v_or_b32_e32 v14, 1, v8
	v_mul_lo_u32 v18, s8, v9
	v_mul_lo_u32 v21, s9, v14
	v_mad_u64_u32 v[14:15], s[0:1], s8, v14, v[0:1]
	v_add3_u32 v15, v21, v15, v18
	v_mul_lo_u32 v21, v15, s26
	v_mul_lo_u32 v22, v14, s27
	v_mad_u64_u32 v[14:15], s[0:1], v14, s26, 0
	v_cvt_f16_f32_e32 v17, v17
	v_add3_u32 v15, v15, v22, v21
	v_lshlrev_b64 v[14:15], 1, v[14:15]
	v_add_co_u32_e32 v14, vcc, s24, v14
	v_addc_co_u32_e32 v15, vcc, v20, v15, vcc
	global_store_short v[14:15], v17, off
	v_or_b32_e32 v14, 2, v8
	v_cvt_f16_f32_e32 v17, v19
	v_mul_lo_u32 v19, s9, v14
	v_mad_u64_u32 v[14:15], s[0:1], s8, v14, v[0:1]
	v_add3_u32 v15, v19, v15, v18
	v_mul_lo_u32 v19, v15, s26
	v_mul_lo_u32 v21, v14, s27
	v_mad_u64_u32 v[14:15], s[0:1], v14, s26, 0
	v_add3_u32 v15, v15, v21, v19
	v_lshlrev_b64 v[14:15], 1, v[14:15]
	v_add_co_u32_e32 v14, vcc, s24, v14
	v_addc_co_u32_e32 v15, vcc, v20, v15, vcc
	global_store_short v[14:15], v17, off
	v_or_b32_e32 v14, 3, v8
	v_mul_lo_u32 v17, s9, v14
	v_mad_u64_u32 v[14:15], s[0:1], s8, v14, v[0:1]
	v_add3_u32 v15, v17, v15, v18
	v_mul_lo_u32 v17, v15, s26
	v_mul_lo_u32 v18, v14, s27
	v_mad_u64_u32 v[14:15], s[0:1], v14, s26, 0
	v_add3_u32 v15, v15, v18, v17
	v_lshlrev_b64 v[14:15], 1, v[14:15]
	v_add_co_u32_e32 v14, vcc, s24, v14
	v_addc_co_u32_e32 v15, vcc, v20, v15, vcc
	v_add_co_u32_e32 v8, vcc, 4, v8
	v_addc_co_u32_e32 v9, vcc, 0, v9, vcc
	global_store_short v[14:15], v3, off
	v_mul_lo_u32 v14, s8, v9
	v_mul_lo_u32 v15, s9, v8
	v_mad_u64_u32 v[8:9], s[0:1], s8, v8, v[0:1]
	v_add3_u32 v9, v15, v9, v14
	v_mul_lo_u32 v14, v9, s26
	v_mul_lo_u32 v15, v8, s27
	v_mad_u64_u32 v[8:9], s[0:1], v8, s26, 0
	v_cvt_f16_f32_e32 v3, v16
	v_add3_u32 v9, v9, v15, v14
	v_lshlrev_b64 v[8:9], 1, v[8:9]
	v_add_co_u32_e32 v8, vcc, s24, v8
	v_addc_co_u32_e32 v9, vcc, v20, v9, vcc
	global_store_short v[8:9], v3, off
	v_mov_b32_e32 v3, s46
	v_add_co_u32_e32 v0, vcc, s33, v0
	v_addc_co_u32_e32 v1, vcc, v1, v3, vcc
	v_mov_b32_e32 v3, s37
	v_add_co_u32_e32 v4, vcc, s36, v4
	v_addc_co_u32_e32 v5, vcc, v5, v3, vcc
	v_cmp_le_i64_e32 vcc, s[10:11], v[0:1]
	v_mov_b32_e32 v3, s39
	s_or_b64 s[4:5], vcc, s[4:5]
	v_add_co_u32_e32 v6, vcc, s38, v6
	v_addc_co_u32_e32 v7, vcc, v7, v3, vcc
	s_andn2_b64 exec, exec, s[4:5]
	s_cbranch_execz .LBB42_13
.LBB42_3:                               ; =>This Inner Loop Header: Depth=1
	v_or_b32_e32 v3, s9, v1
	v_cmp_ne_u64_e32 vcc, 0, v[2:3]
                                        ; implicit-def: $vgpr8_vgpr9
	s_and_saveexec_b64 s[0:1], vcc
	s_xor_b64 s[40:41], exec, s[0:1]
	s_cbranch_execz .LBB42_5
; %bb.4:                                ;   in Loop: Header=BB42_3 Depth=1
	s_ashr_i32 s42, s9, 31
	s_add_u32 s0, s8, s42
	s_mov_b32 s43, s42
	s_addc_u32 s1, s9, s42
	s_xor_b64 s[44:45], s[0:1], s[42:43]
	v_cvt_f32_u32_e32 v3, s44
	v_cvt_f32_u32_e32 v8, s45
	s_sub_u32 s0, 0, s44
	s_subb_u32 s1, 0, s45
	v_mac_f32_e32 v3, 0x4f800000, v8
	v_rcp_f32_e32 v3, v3
	v_mul_f32_e32 v3, 0x5f7ffffc, v3
	v_mul_f32_e32 v8, 0x2f800000, v3
	v_trunc_f32_e32 v8, v8
	v_mac_f32_e32 v3, 0xcf800000, v8
	v_cvt_u32_f32_e32 v8, v8
	v_cvt_u32_f32_e32 v3, v3
	v_mul_lo_u32 v9, s0, v8
	v_mul_hi_u32 v15, s0, v3
	v_mul_lo_u32 v14, s1, v3
	v_add_u32_e32 v9, v15, v9
	v_mul_lo_u32 v16, s0, v3
	v_add_u32_e32 v9, v9, v14
	v_mul_lo_u32 v15, v3, v9
	v_mul_hi_u32 v17, v3, v16
	v_mul_hi_u32 v14, v3, v9
	v_add_co_u32_e32 v15, vcc, v17, v15
	v_addc_co_u32_e32 v14, vcc, 0, v14, vcc
	v_mul_hi_u32 v18, v8, v16
	v_mul_lo_u32 v16, v8, v16
	v_add_co_u32_e32 v15, vcc, v15, v16
	v_mul_hi_u32 v17, v8, v9
	v_addc_co_u32_e32 v14, vcc, v14, v18, vcc
	v_addc_co_u32_e32 v15, vcc, 0, v17, vcc
	v_mul_lo_u32 v9, v8, v9
	v_add_co_u32_e32 v9, vcc, v14, v9
	v_addc_co_u32_e32 v14, vcc, 0, v15, vcc
	v_add_co_u32_e32 v3, vcc, v3, v9
	v_addc_co_u32_e32 v8, vcc, v8, v14, vcc
	v_mul_lo_u32 v9, s0, v8
	v_mul_hi_u32 v14, s0, v3
	v_add_u32_e32 v9, v14, v9
	v_mul_lo_u32 v14, s1, v3
	v_add_u32_e32 v9, v9, v14
	v_mul_lo_u32 v15, s0, v3
	v_mul_hi_u32 v16, v8, v15
	v_mul_lo_u32 v17, v8, v15
	v_mul_lo_u32 v19, v3, v9
	v_mul_hi_u32 v15, v3, v15
	v_mul_hi_u32 v18, v3, v9
	v_add_co_u32_e32 v15, vcc, v15, v19
	v_addc_co_u32_e32 v18, vcc, 0, v18, vcc
	v_add_co_u32_e32 v15, vcc, v15, v17
	v_mul_hi_u32 v14, v8, v9
	v_addc_co_u32_e32 v15, vcc, v18, v16, vcc
	v_addc_co_u32_e32 v14, vcc, 0, v14, vcc
	v_mul_lo_u32 v9, v8, v9
	v_add_co_u32_e32 v9, vcc, v15, v9
	v_addc_co_u32_e32 v14, vcc, 0, v14, vcc
	v_add_co_u32_e32 v3, vcc, v3, v9
	v_addc_co_u32_e32 v14, vcc, v8, v14, vcc
	v_ashrrev_i32_e32 v16, 31, v1
	v_add_co_u32_e32 v8, vcc, v0, v16
	v_addc_co_u32_e32 v9, vcc, v1, v16, vcc
	v_xor_b32_e32 v18, v8, v16
	v_xor_b32_e32 v17, v9, v16
	v_mad_u64_u32 v[8:9], s[0:1], v18, v14, 0
	v_mul_hi_u32 v15, v18, v3
	v_add_co_u32_e32 v19, vcc, v15, v8
	v_addc_co_u32_e32 v20, vcc, 0, v9, vcc
	v_mad_u64_u32 v[8:9], s[0:1], v17, v14, 0
	v_mad_u64_u32 v[14:15], s[0:1], v17, v3, 0
	v_add_co_u32_e32 v3, vcc, v19, v14
	v_addc_co_u32_e32 v3, vcc, v20, v15, vcc
	v_addc_co_u32_e32 v9, vcc, 0, v9, vcc
	v_add_co_u32_e32 v3, vcc, v3, v8
	v_addc_co_u32_e32 v14, vcc, 0, v9, vcc
	v_mul_lo_u32 v15, s45, v3
	v_mul_lo_u32 v19, s44, v14
	v_mad_u64_u32 v[8:9], s[0:1], s44, v3, 0
	v_add3_u32 v9, v9, v19, v15
	v_sub_u32_e32 v15, v17, v9
	v_mov_b32_e32 v19, s45
	v_sub_co_u32_e32 v8, vcc, v18, v8
	v_subb_co_u32_e64 v15, s[0:1], v15, v19, vcc
	v_subrev_co_u32_e64 v18, s[0:1], s44, v8
	v_subbrev_co_u32_e64 v15, s[0:1], 0, v15, s[0:1]
	v_cmp_le_u32_e64 s[0:1], s45, v15
	v_cndmask_b32_e64 v19, 0, -1, s[0:1]
	v_cmp_le_u32_e64 s[0:1], s44, v18
	v_cndmask_b32_e64 v18, 0, -1, s[0:1]
	v_cmp_eq_u32_e64 s[0:1], s45, v15
	v_cndmask_b32_e64 v15, v19, v18, s[0:1]
	v_add_co_u32_e64 v18, s[0:1], 2, v3
	v_subb_co_u32_e32 v9, vcc, v17, v9, vcc
	v_addc_co_u32_e64 v19, s[0:1], 0, v14, s[0:1]
	v_cmp_le_u32_e32 vcc, s45, v9
	v_add_co_u32_e64 v20, s[0:1], 1, v3
	v_cndmask_b32_e64 v17, 0, -1, vcc
	v_cmp_le_u32_e32 vcc, s44, v8
	v_addc_co_u32_e64 v21, s[0:1], 0, v14, s[0:1]
	v_cndmask_b32_e64 v8, 0, -1, vcc
	v_cmp_eq_u32_e32 vcc, s45, v9
	v_cmp_ne_u32_e64 s[0:1], 0, v15
	v_cndmask_b32_e32 v8, v17, v8, vcc
	v_cmp_ne_u32_e32 vcc, 0, v8
	v_cndmask_b32_e64 v9, v20, v18, s[0:1]
	v_cndmask_b32_e64 v15, v21, v19, s[0:1]
	v_cndmask_b32_e32 v3, v3, v9, vcc
	v_xor_b32_e32 v9, s42, v16
	v_cndmask_b32_e32 v8, v14, v15, vcc
	v_xor_b32_e32 v3, v3, v9
	v_xor_b32_e32 v14, v8, v9
	v_sub_co_u32_e32 v8, vcc, v3, v9
	v_subb_co_u32_e32 v9, vcc, v14, v9, vcc
.LBB42_5:                               ;   in Loop: Header=BB42_3 Depth=1
	s_andn2_saveexec_b64 s[0:1], s[40:41]
	s_cbranch_execz .LBB42_7
; %bb.6:                                ;   in Loop: Header=BB42_3 Depth=1
	v_cvt_f32_u32_e32 v3, s8
	s_sub_i32 s40, 0, s8
	v_rcp_iflag_f32_e32 v3, v3
	v_mul_f32_e32 v3, 0x4f7ffffe, v3
	v_cvt_u32_f32_e32 v3, v3
	v_mul_lo_u32 v8, s40, v3
	v_mul_hi_u32 v8, v3, v8
	v_add_u32_e32 v3, v3, v8
	v_mul_hi_u32 v3, v0, v3
	v_mul_lo_u32 v8, v3, s8
	v_sub_u32_e32 v8, v0, v8
	v_add_u32_e32 v9, 1, v3
	v_subrev_u32_e32 v14, s8, v8
	v_cmp_le_u32_e32 vcc, s8, v8
	v_cndmask_b32_e32 v8, v8, v14, vcc
	v_cndmask_b32_e32 v3, v3, v9, vcc
	v_add_u32_e32 v9, 1, v3
	v_cmp_le_u32_e32 vcc, s8, v8
	v_cndmask_b32_e32 v8, v3, v9, vcc
	v_mov_b32_e32 v9, v2
.LBB42_7:                               ;   in Loop: Header=BB42_3 Depth=1
	s_or_b64 exec, exec, s[0:1]
	v_mad_u64_u32 v[20:21], s[0:1], s30, v8, v[0:1]
	v_mul_lo_u32 v3, s30, v9
	v_mul_lo_u32 v14, s31, v8
	v_add3_u32 v3, v14, v21, v3
	v_mul_lo_u32 v16, v20, s7
	v_mul_lo_u32 v17, v3, s6
	v_mad_u64_u32 v[14:15], s[0:1], v20, s6, 0
	v_add3_u32 v15, v15, v16, v17
	v_lshlrev_b64 v[16:17], 1, v[8:9]
	v_or_b32_e32 v18, 1, v16
	v_mul_lo_u32 v19, s8, v17
	v_mul_lo_u32 v24, s9, v18
	v_mad_u64_u32 v[22:23], s[0:1], s8, v18, v[0:1]
	v_add3_u32 v23, v24, v23, v19
	v_lshlrev_b64 v[14:15], 1, v[14:15]
	v_mul_lo_u32 v24, v23, s6
	v_mul_lo_u32 v25, v22, s7
	v_mad_u64_u32 v[18:19], s[0:1], v22, s6, 0
	v_mov_b32_e32 v21, s3
	v_add_co_u32_e32 v14, vcc, s2, v14
	v_add3_u32 v19, v19, v25, v24
	v_addc_co_u32_e32 v15, vcc, v21, v15, vcc
	v_lshlrev_b64 v[18:19], 1, v[18:19]
	v_add_co_u32_e32 v24, vcc, s2, v18
	v_addc_co_u32_e32 v25, vcc, v21, v19, vcc
	v_add_co_u32_e32 v16, vcc, 2, v16
	v_addc_co_u32_e32 v17, vcc, 0, v17, vcc
	v_mul_lo_u32 v17, s8, v17
	v_mul_lo_u32 v18, s9, v16
	v_mad_u64_u32 v[26:27], s[0:1], s8, v16, v[0:1]
	v_add3_u32 v19, v18, v27, v17
	v_mul_lo_u32 v18, v19, s6
	v_mul_lo_u32 v27, v26, s7
	v_mad_u64_u32 v[16:17], s[0:1], v26, s6, 0
	v_add3_u32 v17, v17, v27, v18
	v_lshlrev_b64 v[16:17], 1, v[16:17]
	v_add_co_u32_e32 v16, vcc, s2, v16
	v_addc_co_u32_e32 v17, vcc, v21, v17, vcc
	global_load_ushort v18, v[14:15], off
	s_nop 0
	global_load_ushort v14, v[24:25], off
	s_nop 0
	global_load_ushort v16, v[16:17], off
	v_mul_lo_u32 v15, v20, s15
	v_mul_lo_u32 v3, v3, s14
	v_mad_u64_u32 v[20:21], s[0:1], v20, s14, 0
	v_add3_u32 v21, v21, v15, v3
	v_lshlrev_b64 v[20:21], 1, v[20:21]
	v_mul_lo_u32 v15, v23, s14
	v_mul_lo_u32 v17, v22, s15
	v_mad_u64_u32 v[22:23], s[0:1], v22, s14, 0
	v_mov_b32_e32 v3, s13
	v_add_co_u32_e32 v20, vcc, s12, v20
	v_add3_u32 v23, v23, v17, v15
	v_addc_co_u32_e32 v21, vcc, v3, v21, vcc
	v_lshlrev_b64 v[22:23], 1, v[22:23]
	v_mul_lo_u32 v15, v19, s14
	v_mul_lo_u32 v17, v26, s15
	v_mad_u64_u32 v[24:25], s[0:1], v26, s14, 0
	v_add_co_u32_e32 v22, vcc, s12, v22
	v_add3_u32 v25, v25, v17, v15
	v_addc_co_u32_e32 v23, vcc, v3, v23, vcc
	v_lshlrev_b64 v[24:25], 1, v[24:25]
	v_add_co_u32_e32 v24, vcc, s12, v24
	v_addc_co_u32_e32 v25, vcc, v3, v25, vcc
	global_load_ushort v21, v[20:21], off
	s_nop 0
	global_load_ushort v15, v[22:23], off
	global_load_ushort v19, v[24:25], off
	global_load_ushort v3, v[4:5], off
	s_andn2_b64 vcc, exec, s[28:29]
	v_mov_b32_e32 v23, 0
	v_mov_b32_e32 v20, 0
	;; [unrolled: 1-line block ×6, first 2 shown]
	s_cbranch_vccnz .LBB42_9
; %bb.8:                                ;   in Loop: Header=BB42_3 Depth=1
	v_mad_u64_u32 v[26:27], s[0:1], s47, v8, v[0:1]
	v_mul_lo_u32 v17, s47, v9
	v_mul_lo_u32 v20, s48, v8
	v_add3_u32 v20, v20, v27, v17
	v_mul_lo_u32 v17, v26, s19
	v_mul_lo_u32 v24, v20, s18
	v_mad_u64_u32 v[22:23], s[0:1], v26, s18, 0
	v_add3_u32 v23, v23, v17, v24
	v_lshlrev_b64 v[22:23], 1, v[22:23]
	v_mov_b32_e32 v17, s17
	v_add_co_u32_e32 v22, vcc, s16, v22
	v_addc_co_u32_e32 v23, vcc, v17, v23, vcc
	v_sub_co_u32_e32 v24, vcc, 1, v8
	v_subb_co_u32_e32 v25, vcc, 0, v9, vcc
	v_mul_lo_u32 v25, s8, v25
	v_mul_lo_u32 v27, s9, v24
	v_mad_u64_u32 v[28:29], s[0:1], s8, v24, v[0:1]
	v_add3_u32 v29, v27, v29, v25
	v_mul_lo_u32 v27, v29, s18
	v_mul_lo_u32 v30, v28, s19
	v_mad_u64_u32 v[24:25], s[0:1], v28, s18, 0
	v_add3_u32 v25, v25, v30, v27
	v_lshlrev_b64 v[24:25], 1, v[24:25]
	v_add_co_u32_e32 v30, vcc, s16, v24
	v_addc_co_u32_e32 v31, vcc, v17, v25, vcc
	v_sub_co_u32_e32 v24, vcc, 2, v8
	v_subb_co_u32_e32 v25, vcc, 0, v9, vcc
	v_mul_lo_u32 v25, s8, v25
	v_mul_lo_u32 v27, s9, v24
	v_mad_u64_u32 v[32:33], s[0:1], s8, v24, v[0:1]
	v_add3_u32 v33, v27, v33, v25
	v_mul_lo_u32 v27, v33, s18
	v_mul_lo_u32 v34, v32, s19
	v_mad_u64_u32 v[24:25], s[0:1], v32, s18, 0
	v_add3_u32 v25, v25, v34, v27
	v_lshlrev_b64 v[24:25], 1, v[24:25]
	v_add_co_u32_e32 v34, vcc, s16, v24
	v_addc_co_u32_e32 v35, vcc, v17, v25, vcc
	global_load_ushort v24, v[22:23], off
	global_load_ushort v17, v[30:31], off
	s_nop 0
	global_load_ushort v22, v[34:35], off
	v_mul_lo_u32 v23, v26, s23
	v_mul_lo_u32 v20, v20, s22
	v_mad_u64_u32 v[26:27], s[0:1], v26, s22, 0
	v_add3_u32 v27, v27, v23, v20
	v_lshlrev_b64 v[26:27], 1, v[26:27]
	v_mul_lo_u32 v23, v29, s22
	v_mul_lo_u32 v25, v28, s23
	v_mad_u64_u32 v[28:29], s[0:1], v28, s22, 0
	v_mov_b32_e32 v20, s21
	v_add_co_u32_e32 v26, vcc, s20, v26
	v_add3_u32 v29, v29, v25, v23
	v_addc_co_u32_e32 v27, vcc, v20, v27, vcc
	v_lshlrev_b64 v[28:29], 1, v[28:29]
	v_mul_lo_u32 v23, v33, s22
	v_mul_lo_u32 v25, v32, s23
	v_mad_u64_u32 v[30:31], s[0:1], v32, s22, 0
	v_add_co_u32_e32 v28, vcc, s20, v28
	v_add3_u32 v31, v31, v25, v23
	v_addc_co_u32_e32 v29, vcc, v20, v29, vcc
	v_lshlrev_b64 v[30:31], 1, v[30:31]
	v_add_co_u32_e32 v30, vcc, s20, v30
	v_addc_co_u32_e32 v31, vcc, v20, v31, vcc
	global_load_ushort v25, v[26:27], off
	global_load_ushort v20, v[28:29], off
	;; [unrolled: 1-line block ×3, first 2 shown]
.LBB42_9:                               ;   in Loop: Header=BB42_3 Depth=1
	s_waitcnt vmcnt(6)
	v_cvt_f32_f16_e32 v18, v18
	s_waitcnt vmcnt(3)
	v_cvt_f32_f16_e32 v21, v21
	v_cvt_f32_f16_e32 v24, v24
	s_waitcnt vmcnt(2)
	v_cvt_f32_f16_e32 v25, v25
	v_cvt_f32_f16_e32 v16, v16
	v_add_f32_e32 v18, v18, v21
	v_add_f32_e32 v18, v18, v24
	;; [unrolled: 1-line block ×3, first 2 shown]
	v_mul_f32_e32 v21, 0xbfb8aa3b, v18
	v_fma_f32 v24, v18, s49, -v21
	v_rndne_f32_e32 v25, v21
	v_fmac_f32_e32 v24, 0xb2a5705f, v18
	v_sub_f32_e32 v21, v21, v25
	v_add_f32_e32 v21, v21, v24
	v_cvt_i32_f32_e32 v24, v25
	v_exp_f32_e32 v21, v21
	v_cmp_nlt_f32_e32 vcc, s50, v18
	v_cvt_f32_f16_e32 v22, v22
	s_waitcnt vmcnt(0)
	v_cvt_f32_f16_e32 v23, v23
	v_ldexp_f32 v21, v21, v24
	v_cndmask_b32_e32 v21, 0, v21, vcc
	v_cmp_ngt_f32_e32 vcc, s51, v18
	v_cndmask_b32_e32 v18, v13, v21, vcc
	v_add_f32_e32 v18, 1.0, v18
	v_div_scale_f32 v21, s[0:1], v18, v18, 1.0
	v_rcp_f32_e32 v24, v21
	v_fma_f32 v25, -v21, v24, 1.0
	v_fmac_f32_e32 v24, v25, v24
	v_div_scale_f32 v25, vcc, 1.0, v18, 1.0
	v_mul_f32_e32 v26, v25, v24
	v_fma_f32 v27, -v21, v26, v25
	v_fmac_f32_e32 v26, v27, v24
	v_fma_f32 v21, -v21, v26, v25
	v_cvt_f32_f16_e32 v25, v19
	v_div_fmas_f32 v19, v21, v24, v26
	v_div_fixup_f32 v18, v19, v18, 1.0
	v_add_f32_e32 v19, v16, v22
	v_add_f32_e32 v16, v25, v23
	v_fmac_f32_e32 v19, v16, v18
	v_cmp_nlt_f32_e64 s[0:1], |v19|, s52
                                        ; implicit-def: $vgpr21
	s_and_saveexec_b64 s[40:41], s[0:1]
	s_xor_b64 s[0:1], exec, s[40:41]
	s_cbranch_execz .LBB42_11
; %bb.10:                               ;   in Loop: Header=BB42_3 Depth=1
	v_add_f32_e64 v21, |v19|, |v19|
	v_mul_f32_e32 v22, 0x3fb8aa3b, v21
	v_rndne_f32_e32 v23, v22
	v_sub_f32_e32 v24, v22, v23
	v_fma_f32 v22, v21, s53, -v22
	v_fmac_f32_e32 v22, 0x32a5705f, v21
	v_add_f32_e32 v22, v24, v22
	v_cvt_i32_f32_e32 v23, v23
	v_exp_f32_e32 v22, v22
	v_cmp_ngt_f32_e32 vcc, s54, v21
	v_ldexp_f32 v22, v22, v23
	v_cndmask_b32_e32 v22, 0, v22, vcc
	v_cmp_nlt_f32_e32 vcc, s55, v21
	v_cndmask_b32_e32 v21, v13, v22, vcc
	v_add_f32_e32 v21, 1.0, v21
	v_rcp_f32_e32 v21, v21
	v_fma_f32 v21, v21, -2.0, 1.0
.LBB42_11:                              ;   in Loop: Header=BB42_3 Depth=1
	s_andn2_saveexec_b64 s[0:1], s[0:1]
	s_cbranch_execz .LBB42_2
; %bb.12:                               ;   in Loop: Header=BB42_3 Depth=1
	v_mul_f32_e32 v21, v19, v19
	v_mov_b32_e32 v22, 0x3ca908c9
	v_fmac_f32_e32 v22, 0xbbbac73d, v21
	v_fma_f32 v22, v21, v22, v10
	v_fma_f32 v22, v21, v22, v11
	;; [unrolled: 1-line block ×3, first 2 shown]
	v_mul_f32_e64 v22, |v19|, v22
	v_fma_f32 v21, v21, v22, |v19|
	s_branch .LBB42_2
.LBB42_13:
	s_endpgm
	.section	.rodata,"a",@progbits
	.p2align	6, 0x0
	.amdhsa_kernel _ZN2at6native12_GLOBAL__N_16kernel16gru_cell_forwardIN3c104HalfEflLi1EEEvNS_4cuda6detail10TensorInfoIT_T1_EESB_SB_SB_SB_SB_SB_SA_SA_
		.amdhsa_group_segment_fixed_size 0
		.amdhsa_private_segment_fixed_size 0
		.amdhsa_kernarg_size 3184
		.amdhsa_user_sgpr_count 6
		.amdhsa_user_sgpr_private_segment_buffer 1
		.amdhsa_user_sgpr_dispatch_ptr 0
		.amdhsa_user_sgpr_queue_ptr 0
		.amdhsa_user_sgpr_kernarg_segment_ptr 1
		.amdhsa_user_sgpr_dispatch_id 0
		.amdhsa_user_sgpr_flat_scratch_init 0
		.amdhsa_user_sgpr_kernarg_preload_length 0
		.amdhsa_user_sgpr_kernarg_preload_offset 0
		.amdhsa_user_sgpr_private_segment_size 0
		.amdhsa_uses_dynamic_stack 0
		.amdhsa_system_sgpr_private_segment_wavefront_offset 0
		.amdhsa_system_sgpr_workgroup_id_x 1
		.amdhsa_system_sgpr_workgroup_id_y 0
		.amdhsa_system_sgpr_workgroup_id_z 0
		.amdhsa_system_sgpr_workgroup_info 0
		.amdhsa_system_vgpr_workitem_id 0
		.amdhsa_next_free_vgpr 36
		.amdhsa_next_free_sgpr 57
		.amdhsa_accum_offset 36
		.amdhsa_reserve_vcc 1
		.amdhsa_reserve_flat_scratch 0
		.amdhsa_float_round_mode_32 0
		.amdhsa_float_round_mode_16_64 0
		.amdhsa_float_denorm_mode_32 3
		.amdhsa_float_denorm_mode_16_64 3
		.amdhsa_dx10_clamp 1
		.amdhsa_ieee_mode 1
		.amdhsa_fp16_overflow 0
		.amdhsa_tg_split 0
		.amdhsa_exception_fp_ieee_invalid_op 0
		.amdhsa_exception_fp_denorm_src 0
		.amdhsa_exception_fp_ieee_div_zero 0
		.amdhsa_exception_fp_ieee_overflow 0
		.amdhsa_exception_fp_ieee_underflow 0
		.amdhsa_exception_fp_ieee_inexact 0
		.amdhsa_exception_int_div_zero 0
	.end_amdhsa_kernel
	.section	.text._ZN2at6native12_GLOBAL__N_16kernel16gru_cell_forwardIN3c104HalfEflLi1EEEvNS_4cuda6detail10TensorInfoIT_T1_EESB_SB_SB_SB_SB_SB_SA_SA_,"axG",@progbits,_ZN2at6native12_GLOBAL__N_16kernel16gru_cell_forwardIN3c104HalfEflLi1EEEvNS_4cuda6detail10TensorInfoIT_T1_EESB_SB_SB_SB_SB_SB_SA_SA_,comdat
.Lfunc_end42:
	.size	_ZN2at6native12_GLOBAL__N_16kernel16gru_cell_forwardIN3c104HalfEflLi1EEEvNS_4cuda6detail10TensorInfoIT_T1_EESB_SB_SB_SB_SB_SB_SA_SA_, .Lfunc_end42-_ZN2at6native12_GLOBAL__N_16kernel16gru_cell_forwardIN3c104HalfEflLi1EEEvNS_4cuda6detail10TensorInfoIT_T1_EESB_SB_SB_SB_SB_SB_SA_SA_
                                        ; -- End function
	.section	.AMDGPU.csdata,"",@progbits
; Kernel info:
; codeLenInByte = 3376
; NumSgprs: 61
; NumVgprs: 36
; NumAgprs: 0
; TotalNumVgprs: 36
; ScratchSize: 0
; MemoryBound: 0
; FloatMode: 240
; IeeeMode: 1
; LDSByteSize: 0 bytes/workgroup (compile time only)
; SGPRBlocks: 7
; VGPRBlocks: 4
; NumSGPRsForWavesPerEU: 61
; NumVGPRsForWavesPerEU: 36
; AccumOffset: 36
; Occupancy: 8
; WaveLimiterHint : 1
; COMPUTE_PGM_RSRC2:SCRATCH_EN: 0
; COMPUTE_PGM_RSRC2:USER_SGPR: 6
; COMPUTE_PGM_RSRC2:TRAP_HANDLER: 0
; COMPUTE_PGM_RSRC2:TGID_X_EN: 1
; COMPUTE_PGM_RSRC2:TGID_Y_EN: 0
; COMPUTE_PGM_RSRC2:TGID_Z_EN: 0
; COMPUTE_PGM_RSRC2:TIDIG_COMP_CNT: 0
; COMPUTE_PGM_RSRC3_GFX90A:ACCUM_OFFSET: 8
; COMPUTE_PGM_RSRC3_GFX90A:TG_SPLIT: 0
	.section	.text._ZN2at6native12_GLOBAL__N_16kernel16gru_cell_forwardIN3c104HalfEflLi2EEEvNS_4cuda6detail10TensorInfoIT_T1_EESB_SB_SB_SB_SB_SB_SA_SA_,"axG",@progbits,_ZN2at6native12_GLOBAL__N_16kernel16gru_cell_forwardIN3c104HalfEflLi2EEEvNS_4cuda6detail10TensorInfoIT_T1_EESB_SB_SB_SB_SB_SB_SA_SA_,comdat
	.globl	_ZN2at6native12_GLOBAL__N_16kernel16gru_cell_forwardIN3c104HalfEflLi2EEEvNS_4cuda6detail10TensorInfoIT_T1_EESB_SB_SB_SB_SB_SB_SA_SA_ ; -- Begin function _ZN2at6native12_GLOBAL__N_16kernel16gru_cell_forwardIN3c104HalfEflLi2EEEvNS_4cuda6detail10TensorInfoIT_T1_EESB_SB_SB_SB_SB_SB_SA_SA_
	.p2align	8
	.type	_ZN2at6native12_GLOBAL__N_16kernel16gru_cell_forwardIN3c104HalfEflLi2EEEvNS_4cuda6detail10TensorInfoIT_T1_EESB_SB_SB_SB_SB_SB_SA_SA_,@function
_ZN2at6native12_GLOBAL__N_16kernel16gru_cell_forwardIN3c104HalfEflLi2EEEvNS_4cuda6detail10TensorInfoIT_T1_EESB_SB_SB_SB_SB_SB_SA_SA_: ; @_ZN2at6native12_GLOBAL__N_16kernel16gru_cell_forwardIN3c104HalfEflLi2EEEvNS_4cuda6detail10TensorInfoIT_T1_EESB_SB_SB_SB_SB_SB_SA_SA_
; %bb.0:
	s_load_dword s2, s[4:5], 0xb7c
	s_load_dwordx4 s[8:11], s[4:5], 0xb60
	s_add_u32 s0, s4, 0xb70
	s_addc_u32 s1, s5, 0
	v_mov_b32_e32 v2, 0
	s_waitcnt lgkmcnt(0)
	s_and_b32 s33, s2, 0xffff
	s_mul_i32 s6, s6, s33
	v_add_u32_e32 v0, s6, v0
	v_mov_b32_e32 v1, v2
	v_cmp_gt_i64_e32 vcc, s[10:11], v[0:1]
	s_and_saveexec_b64 s[2:3], vcc
	s_cbranch_execz .LBB43_65
; %bb.1:
	v_cvt_f32_u32_e32 v3, s8
	s_load_dwordx2 s[2:3], s[4:5], 0x0
	s_load_dwordx2 s[28:29], s[4:5], 0x10
	s_load_dwordx4 s[12:15], s[4:5], 0xd0
	s_load_dwordx2 s[30:31], s[4:5], 0x1a0
	s_load_dwordx2 s[34:35], s[4:5], 0x1b0
	s_load_dwordx4 s[16:19], s[4:5], 0x270
	s_load_dwordx2 s[36:37], s[4:5], 0x340
	s_load_dwordx2 s[38:39], s[4:5], 0x410
	;; [unrolled: 1-line block ×6, first 2 shown]
	s_load_dwordx4 s[20:23], s[4:5], 0x750
	s_load_dwordx2 s[48:49], s[4:5], 0x820
	s_load_dwordx2 s[50:51], s[4:5], 0x830
	s_load_dwordx4 s[24:27], s[4:5], 0x8f0
	s_load_dwordx2 s[52:53], s[4:5], 0x9c0
	s_load_dwordx2 s[54:55], s[4:5], 0x9d0
	s_nop 0
	s_load_dword s0, s[0:1], 0x0
	s_nop 0
	s_load_dwordx4 s[4:7], s[4:5], 0xa90
	s_waitcnt lgkmcnt(0)
	s_cmp_lg_u64 s[36:37], 0
	s_cselect_b64 s[58:59], -1, 0
	v_rcp_iflag_f32_e32 v3, v3
	s_lshl_b64 s[60:61], s[8:9], 1
	s_lshl_b64 s[62:63], s[8:9], 2
	s_sub_u32 s71, 0, s8
	s_subb_u32 s72, 0, s9
	v_mul_f32_e32 v3, 0x4f7ffffe, v3
	s_sub_u32 s73, 0, s46
	v_cvt_u32_f32_e32 v22, v3
	s_subb_u32 s74, 0, s47
	s_sub_u32 s75, 0, s50
	s_mov_b64 s[56:57], 0
	s_mul_i32 s33, s0, s33
	s_mov_b32 s70, 0
	s_subb_u32 s76, 0, s51
	s_mov_b32 s77, 0xbfb8aa3b
	s_mov_b32 s78, 0x42ce8ed0
	;; [unrolled: 1-line block ×7, first 2 shown]
	v_mov_b32_e32 v20, 0xbd5c1c4e
	v_mov_b32_e32 v21, 0x3e088382
	;; [unrolled: 1-line block ×3, first 2 shown]
	s_brev_b32 s84, -2
	v_mov_b32_e32 v24, 0x7f800000
	s_branch .LBB43_3
.LBB43_2:                               ;   in Loop: Header=BB43_3 Depth=1
	s_or_b64 exec, exec, s[0:1]
	v_mad_u64_u32 v[4:5], s[0:1], s8, v8, 0
	v_add3_u32 v3, v5, v10, v9
	v_cvt_f16_f32_e32 v10, v11
	v_mul_lo_u32 v5, v7, s54
	v_mul_lo_u32 v11, v6, s55
	v_mad_u64_u32 v[8:9], s[0:1], v6, s54, 0
	v_add3_u32 v5, v9, v11, v5
	v_sub_co_u32_e32 v4, vcc, v4, v8
	v_subb_co_u32_e32 v3, vcc, v3, v5, vcc
	v_add_co_u32_e32 v4, vcc, v0, v4
	v_addc_co_u32_e32 v3, vcc, v1, v3, vcc
	v_mul_lo_u32 v3, v3, s6
	v_mul_lo_u32 v8, v4, s7
	v_mad_u64_u32 v[4:5], s[0:1], v4, s6, 0
	v_add3_u32 v5, v5, v8, v3
	v_mul_lo_u32 v3, v7, s4
	v_mul_lo_u32 v8, v6, s5
	v_mad_u64_u32 v[6:7], s[0:1], v6, s4, 0
	v_add3_u32 v7, v7, v8, v3
	v_lshlrev_b64 v[6:7], 1, v[6:7]
	v_mov_b32_e32 v3, s53
	v_add_co_u32_e32 v6, vcc, s52, v6
	v_addc_co_u32_e32 v3, vcc, v3, v7, vcc
	v_lshlrev_b64 v[4:5], 1, v[4:5]
	v_add_co_u32_e32 v4, vcc, v6, v4
	v_addc_co_u32_e32 v5, vcc, v3, v5, vcc
	v_mov_b32_e32 v3, s70
	v_add_co_u32_e32 v0, vcc, s33, v0
	v_addc_co_u32_e32 v1, vcc, v1, v3, vcc
	v_cmp_le_i64_e32 vcc, s[10:11], v[0:1]
	s_or_b64 s[56:57], vcc, s[56:57]
	global_store_short v[4:5], v10, off
	s_andn2_b64 exec, exec, s[56:57]
	s_cbranch_execz .LBB43_65
.LBB43_3:                               ; =>This Inner Loop Header: Depth=1
	v_or_b32_e32 v3, s9, v1
	v_cmp_ne_u64_e32 vcc, 0, v[2:3]
	v_ashrrev_i32_e32 v25, 31, v1
                                        ; implicit-def: $vgpr4_vgpr5
	s_and_saveexec_b64 s[0:1], vcc
	s_xor_b64 s[64:65], exec, s[0:1]
	s_cbranch_execz .LBB43_5
; %bb.4:                                ;   in Loop: Header=BB43_3 Depth=1
	s_ashr_i32 s66, s9, 31
	s_add_u32 s0, s8, s66
	s_mov_b32 s67, s66
	s_addc_u32 s1, s9, s66
	s_xor_b64 s[68:69], s[0:1], s[66:67]
	v_cvt_f32_u32_e32 v3, s68
	v_cvt_f32_u32_e32 v4, s69
	s_sub_u32 s0, 0, s68
	s_subb_u32 s1, 0, s69
	v_mac_f32_e32 v3, 0x4f800000, v4
	v_rcp_f32_e32 v3, v3
	v_mul_f32_e32 v3, 0x5f7ffffc, v3
	v_mul_f32_e32 v4, 0x2f800000, v3
	v_trunc_f32_e32 v4, v4
	v_mac_f32_e32 v3, 0xcf800000, v4
	v_cvt_u32_f32_e32 v4, v4
	v_cvt_u32_f32_e32 v3, v3
	v_mul_lo_u32 v5, s0, v4
	v_mul_hi_u32 v7, s0, v3
	v_mul_lo_u32 v6, s1, v3
	v_add_u32_e32 v5, v7, v5
	v_mul_lo_u32 v8, s0, v3
	v_add_u32_e32 v5, v5, v6
	v_mul_lo_u32 v7, v3, v5
	v_mul_hi_u32 v9, v3, v8
	v_mul_hi_u32 v6, v3, v5
	v_add_co_u32_e32 v7, vcc, v9, v7
	v_addc_co_u32_e32 v6, vcc, 0, v6, vcc
	v_mul_hi_u32 v10, v4, v8
	v_mul_lo_u32 v8, v4, v8
	v_add_co_u32_e32 v7, vcc, v7, v8
	v_mul_hi_u32 v9, v4, v5
	v_addc_co_u32_e32 v6, vcc, v6, v10, vcc
	v_addc_co_u32_e32 v7, vcc, 0, v9, vcc
	v_mul_lo_u32 v5, v4, v5
	v_add_co_u32_e32 v5, vcc, v6, v5
	v_addc_co_u32_e32 v6, vcc, 0, v7, vcc
	v_add_co_u32_e32 v3, vcc, v3, v5
	v_addc_co_u32_e32 v4, vcc, v4, v6, vcc
	v_mul_lo_u32 v5, s0, v4
	v_mul_hi_u32 v6, s0, v3
	v_add_u32_e32 v5, v6, v5
	v_mul_lo_u32 v6, s1, v3
	v_add_u32_e32 v5, v5, v6
	v_mul_lo_u32 v7, s0, v3
	v_mul_hi_u32 v8, v4, v7
	v_mul_lo_u32 v9, v4, v7
	v_mul_lo_u32 v11, v3, v5
	v_mul_hi_u32 v7, v3, v7
	v_mul_hi_u32 v10, v3, v5
	v_add_co_u32_e32 v7, vcc, v7, v11
	v_addc_co_u32_e32 v10, vcc, 0, v10, vcc
	v_add_co_u32_e32 v7, vcc, v7, v9
	v_mul_hi_u32 v6, v4, v5
	v_addc_co_u32_e32 v7, vcc, v10, v8, vcc
	v_addc_co_u32_e32 v6, vcc, 0, v6, vcc
	v_mul_lo_u32 v5, v4, v5
	v_add_co_u32_e32 v5, vcc, v7, v5
	v_addc_co_u32_e32 v6, vcc, 0, v6, vcc
	v_add_co_u32_e32 v3, vcc, v3, v5
	v_addc_co_u32_e32 v6, vcc, v4, v6, vcc
	;; [unrolled: 2-line block ×3, first 2 shown]
	v_xor_b32_e32 v9, v4, v25
	v_xor_b32_e32 v8, v5, v25
	v_mad_u64_u32 v[4:5], s[0:1], v9, v6, 0
	v_mul_hi_u32 v7, v9, v3
	v_add_co_u32_e32 v10, vcc, v7, v4
	v_addc_co_u32_e32 v11, vcc, 0, v5, vcc
	v_mad_u64_u32 v[4:5], s[0:1], v8, v6, 0
	v_mad_u64_u32 v[6:7], s[0:1], v8, v3, 0
	v_add_co_u32_e32 v3, vcc, v10, v6
	v_addc_co_u32_e32 v3, vcc, v11, v7, vcc
	v_addc_co_u32_e32 v5, vcc, 0, v5, vcc
	v_add_co_u32_e32 v3, vcc, v3, v4
	v_addc_co_u32_e32 v6, vcc, 0, v5, vcc
	v_mul_lo_u32 v7, s69, v3
	v_mul_lo_u32 v10, s68, v6
	v_mad_u64_u32 v[4:5], s[0:1], s68, v3, 0
	v_add3_u32 v5, v5, v10, v7
	v_sub_u32_e32 v7, v8, v5
	v_mov_b32_e32 v10, s69
	v_sub_co_u32_e32 v4, vcc, v9, v4
	v_subb_co_u32_e64 v7, s[0:1], v7, v10, vcc
	v_subrev_co_u32_e64 v9, s[0:1], s68, v4
	v_subbrev_co_u32_e64 v7, s[0:1], 0, v7, s[0:1]
	v_cmp_le_u32_e64 s[0:1], s69, v7
	v_cndmask_b32_e64 v10, 0, -1, s[0:1]
	v_cmp_le_u32_e64 s[0:1], s68, v9
	v_cndmask_b32_e64 v9, 0, -1, s[0:1]
	v_cmp_eq_u32_e64 s[0:1], s69, v7
	v_cndmask_b32_e64 v7, v10, v9, s[0:1]
	v_add_co_u32_e64 v9, s[0:1], 2, v3
	v_subb_co_u32_e32 v5, vcc, v8, v5, vcc
	v_addc_co_u32_e64 v10, s[0:1], 0, v6, s[0:1]
	v_cmp_le_u32_e32 vcc, s69, v5
	v_add_co_u32_e64 v11, s[0:1], 1, v3
	v_cndmask_b32_e64 v8, 0, -1, vcc
	v_cmp_le_u32_e32 vcc, s68, v4
	v_addc_co_u32_e64 v12, s[0:1], 0, v6, s[0:1]
	v_cndmask_b32_e64 v4, 0, -1, vcc
	v_cmp_eq_u32_e32 vcc, s69, v5
	v_cmp_ne_u32_e64 s[0:1], 0, v7
	v_cndmask_b32_e32 v4, v8, v4, vcc
	v_cmp_ne_u32_e32 vcc, 0, v4
	v_cndmask_b32_e64 v5, v11, v9, s[0:1]
	v_cndmask_b32_e64 v7, v12, v10, s[0:1]
	v_cndmask_b32_e32 v3, v3, v5, vcc
	v_xor_b32_e32 v5, s66, v25
	v_cndmask_b32_e32 v4, v6, v7, vcc
	v_xor_b32_e32 v3, v3, v5
	v_xor_b32_e32 v6, v4, v5
	v_sub_co_u32_e32 v4, vcc, v3, v5
	v_subb_co_u32_e32 v5, vcc, v6, v5, vcc
.LBB43_5:                               ;   in Loop: Header=BB43_3 Depth=1
	s_andn2_saveexec_b64 s[0:1], s[64:65]
	s_cbranch_execz .LBB43_7
; %bb.6:                                ;   in Loop: Header=BB43_3 Depth=1
	s_sub_i32 s64, 0, s8
	v_mul_lo_u32 v3, s64, v22
	v_mul_hi_u32 v3, v22, v3
	v_add_u32_e32 v3, v22, v3
	v_mul_hi_u32 v3, v0, v3
	v_mul_lo_u32 v4, v3, s8
	v_sub_u32_e32 v4, v0, v4
	v_subrev_u32_e32 v5, s8, v4
	v_cmp_le_u32_e32 vcc, s8, v4
	v_cndmask_b32_e32 v4, v4, v5, vcc
	v_add_u32_e32 v5, 1, v3
	v_cndmask_b32_e32 v3, v3, v5, vcc
	v_add_u32_e32 v5, 1, v3
	v_cmp_le_u32_e32 vcc, s8, v4
	v_cndmask_b32_e32 v4, v3, v5, vcc
	v_mov_b32_e32 v5, v2
.LBB43_7:                               ;   in Loop: Header=BB43_3 Depth=1
	s_or_b64 exec, exec, s[0:1]
	v_mul_lo_u32 v10, s61, v4
	v_mul_lo_u32 v11, s60, v5
	v_mad_u64_u32 v[6:7], s[0:1], s60, v4, v[0:1]
	v_add3_u32 v7, v10, v7, v11
	v_or_b32_e32 v3, s29, v7
	v_cmp_ne_u64_e32 vcc, 0, v[2:3]
	v_ashrrev_i32_e32 v26, 31, v7
                                        ; implicit-def: $vgpr8_vgpr9
	s_and_saveexec_b64 s[0:1], vcc
	s_xor_b64 s[64:65], exec, s[0:1]
	s_cbranch_execz .LBB43_9
; %bb.8:                                ;   in Loop: Header=BB43_3 Depth=1
	s_ashr_i32 s66, s29, 31
	s_add_u32 s0, s28, s66
	s_mov_b32 s67, s66
	s_addc_u32 s1, s29, s66
	s_xor_b64 s[68:69], s[0:1], s[66:67]
	v_cvt_f32_u32_e32 v3, s68
	v_cvt_f32_u32_e32 v8, s69
	s_sub_u32 s0, 0, s68
	s_subb_u32 s1, 0, s69
	v_mac_f32_e32 v3, 0x4f800000, v8
	v_rcp_f32_e32 v3, v3
	v_mul_f32_e32 v3, 0x5f7ffffc, v3
	v_mul_f32_e32 v8, 0x2f800000, v3
	v_trunc_f32_e32 v8, v8
	v_mac_f32_e32 v3, 0xcf800000, v8
	v_cvt_u32_f32_e32 v8, v8
	v_cvt_u32_f32_e32 v3, v3
	v_mul_lo_u32 v9, s0, v8
	v_mul_hi_u32 v13, s0, v3
	v_mul_lo_u32 v12, s1, v3
	v_add_u32_e32 v9, v13, v9
	v_mul_lo_u32 v14, s0, v3
	v_add_u32_e32 v9, v9, v12
	v_mul_lo_u32 v13, v3, v9
	v_mul_hi_u32 v15, v3, v14
	v_mul_hi_u32 v12, v3, v9
	v_add_co_u32_e32 v13, vcc, v15, v13
	v_addc_co_u32_e32 v12, vcc, 0, v12, vcc
	v_mul_hi_u32 v16, v8, v14
	v_mul_lo_u32 v14, v8, v14
	v_add_co_u32_e32 v13, vcc, v13, v14
	v_mul_hi_u32 v15, v8, v9
	v_addc_co_u32_e32 v12, vcc, v12, v16, vcc
	v_addc_co_u32_e32 v13, vcc, 0, v15, vcc
	v_mul_lo_u32 v9, v8, v9
	v_add_co_u32_e32 v9, vcc, v12, v9
	v_addc_co_u32_e32 v12, vcc, 0, v13, vcc
	v_add_co_u32_e32 v3, vcc, v3, v9
	v_addc_co_u32_e32 v8, vcc, v8, v12, vcc
	v_mul_lo_u32 v9, s0, v8
	v_mul_hi_u32 v12, s0, v3
	v_add_u32_e32 v9, v12, v9
	v_mul_lo_u32 v12, s1, v3
	v_add_u32_e32 v9, v9, v12
	v_mul_lo_u32 v13, s0, v3
	v_mul_hi_u32 v14, v8, v13
	v_mul_lo_u32 v15, v8, v13
	v_mul_lo_u32 v17, v3, v9
	v_mul_hi_u32 v13, v3, v13
	v_mul_hi_u32 v16, v3, v9
	v_add_co_u32_e32 v13, vcc, v13, v17
	v_addc_co_u32_e32 v16, vcc, 0, v16, vcc
	v_add_co_u32_e32 v13, vcc, v13, v15
	v_mul_hi_u32 v12, v8, v9
	v_addc_co_u32_e32 v13, vcc, v16, v14, vcc
	v_addc_co_u32_e32 v12, vcc, 0, v12, vcc
	v_mul_lo_u32 v9, v8, v9
	v_add_co_u32_e32 v9, vcc, v13, v9
	v_addc_co_u32_e32 v12, vcc, 0, v12, vcc
	v_add_co_u32_e32 v3, vcc, v3, v9
	v_addc_co_u32_e32 v12, vcc, v8, v12, vcc
	;; [unrolled: 2-line block ×3, first 2 shown]
	v_xor_b32_e32 v15, v8, v26
	v_xor_b32_e32 v14, v9, v26
	v_mad_u64_u32 v[8:9], s[0:1], v15, v12, 0
	v_mul_hi_u32 v13, v15, v3
	v_add_co_u32_e32 v16, vcc, v13, v8
	v_addc_co_u32_e32 v17, vcc, 0, v9, vcc
	v_mad_u64_u32 v[8:9], s[0:1], v14, v12, 0
	v_mad_u64_u32 v[12:13], s[0:1], v14, v3, 0
	v_add_co_u32_e32 v3, vcc, v16, v12
	v_addc_co_u32_e32 v3, vcc, v17, v13, vcc
	v_addc_co_u32_e32 v9, vcc, 0, v9, vcc
	v_add_co_u32_e32 v3, vcc, v3, v8
	v_addc_co_u32_e32 v12, vcc, 0, v9, vcc
	v_mul_lo_u32 v13, s69, v3
	v_mul_lo_u32 v16, s68, v12
	v_mad_u64_u32 v[8:9], s[0:1], s68, v3, 0
	v_add3_u32 v9, v9, v16, v13
	v_sub_u32_e32 v13, v14, v9
	v_mov_b32_e32 v16, s69
	v_sub_co_u32_e32 v8, vcc, v15, v8
	v_subb_co_u32_e64 v13, s[0:1], v13, v16, vcc
	v_subrev_co_u32_e64 v15, s[0:1], s68, v8
	v_subbrev_co_u32_e64 v13, s[0:1], 0, v13, s[0:1]
	v_cmp_le_u32_e64 s[0:1], s69, v13
	v_cndmask_b32_e64 v16, 0, -1, s[0:1]
	v_cmp_le_u32_e64 s[0:1], s68, v15
	v_cndmask_b32_e64 v15, 0, -1, s[0:1]
	v_cmp_eq_u32_e64 s[0:1], s69, v13
	v_cndmask_b32_e64 v13, v16, v15, s[0:1]
	v_add_co_u32_e64 v15, s[0:1], 2, v3
	v_subb_co_u32_e32 v9, vcc, v14, v9, vcc
	v_addc_co_u32_e64 v16, s[0:1], 0, v12, s[0:1]
	v_cmp_le_u32_e32 vcc, s69, v9
	v_add_co_u32_e64 v17, s[0:1], 1, v3
	v_cndmask_b32_e64 v14, 0, -1, vcc
	v_cmp_le_u32_e32 vcc, s68, v8
	v_addc_co_u32_e64 v18, s[0:1], 0, v12, s[0:1]
	v_cndmask_b32_e64 v8, 0, -1, vcc
	v_cmp_eq_u32_e32 vcc, s69, v9
	v_cmp_ne_u32_e64 s[0:1], 0, v13
	v_cndmask_b32_e32 v8, v14, v8, vcc
	v_cmp_ne_u32_e32 vcc, 0, v8
	v_cndmask_b32_e64 v9, v17, v15, s[0:1]
	v_cndmask_b32_e64 v13, v18, v16, s[0:1]
	v_cndmask_b32_e32 v3, v3, v9, vcc
	v_xor_b32_e32 v9, s66, v26
	v_cndmask_b32_e32 v8, v12, v13, vcc
	v_xor_b32_e32 v3, v3, v9
	v_xor_b32_e32 v12, v8, v9
	v_sub_co_u32_e32 v8, vcc, v3, v9
	v_subb_co_u32_e32 v9, vcc, v12, v9, vcc
.LBB43_9:                               ;   in Loop: Header=BB43_3 Depth=1
	s_or_saveexec_b64 s[0:1], s[64:65]
	v_cvt_f32_u32_e32 v31, s28
	s_xor_b64 exec, exec, s[0:1]
	s_cbranch_execz .LBB43_11
; %bb.10:                               ;   in Loop: Header=BB43_3 Depth=1
	v_rcp_iflag_f32_e32 v3, v31
	s_sub_i32 s64, 0, s28
	v_mul_f32_e32 v3, 0x4f7ffffe, v3
	v_cvt_u32_f32_e32 v3, v3
	v_mul_lo_u32 v8, s64, v3
	v_mul_hi_u32 v8, v3, v8
	v_add_u32_e32 v3, v3, v8
	v_mul_hi_u32 v3, v6, v3
	v_mul_lo_u32 v8, v3, s28
	v_sub_u32_e32 v8, v6, v8
	v_add_u32_e32 v9, 1, v3
	v_subrev_u32_e32 v12, s28, v8
	v_cmp_le_u32_e32 vcc, s28, v8
	v_cndmask_b32_e32 v8, v8, v12, vcc
	v_cndmask_b32_e32 v3, v3, v9, vcc
	v_add_u32_e32 v9, 1, v3
	v_cmp_le_u32_e32 vcc, s28, v8
	v_cndmask_b32_e32 v8, v3, v9, vcc
	v_mov_b32_e32 v9, v2
.LBB43_11:                              ;   in Loop: Header=BB43_3 Depth=1
	s_or_b64 exec, exec, s[0:1]
	v_mad_u64_u32 v[12:13], s[0:1], s60, v4, 0
	v_add3_u32 v29, v13, v11, v10
	v_mul_lo_u32 v3, v9, s28
	v_mul_lo_u32 v13, v8, s29
	v_mad_u64_u32 v[10:11], s[0:1], v8, s28, 0
	v_add3_u32 v3, v11, v13, v3
	v_sub_co_u32_e32 v10, vcc, v12, v10
	v_subb_co_u32_e32 v3, vcc, v29, v3, vcc
	v_add_co_u32_e32 v10, vcc, v0, v10
	v_addc_co_u32_e32 v3, vcc, v1, v3, vcc
	v_mul_lo_u32 v3, v3, s14
	v_mul_lo_u32 v13, v10, s15
	v_mad_u64_u32 v[10:11], s[0:1], v10, s14, 0
	v_add3_u32 v11, v11, v13, v3
	v_mul_lo_u32 v3, v9, s12
	v_mul_lo_u32 v13, v8, s13
	v_mad_u64_u32 v[8:9], s[0:1], v8, s12, 0
	v_add3_u32 v9, v9, v13, v3
	v_lshlrev_b64 v[8:9], 1, v[8:9]
	v_mov_b32_e32 v3, s3
	v_add_co_u32_e32 v13, vcc, s2, v8
	v_addc_co_u32_e32 v3, vcc, v3, v9, vcc
	v_lshlrev_b64 v[8:9], 1, v[10:11]
	v_add_co_u32_e32 v8, vcc, v13, v8
	v_addc_co_u32_e32 v9, vcc, v3, v9, vcc
	global_load_ushort v13, v[8:9], off
	v_lshlrev_b64 v[10:11], 1, v[4:5]
	v_or_b32_e32 v14, 1, v10
	v_mul_lo_u32 v18, s9, v14
	v_mul_lo_u32 v19, s8, v11
	v_mad_u64_u32 v[8:9], s[0:1], s8, v14, v[0:1]
	v_add3_u32 v9, v18, v9, v19
	v_or_b32_e32 v3, s29, v9
	v_cmp_ne_u64_e32 vcc, 0, v[2:3]
	v_ashrrev_i32_e32 v27, 31, v9
                                        ; implicit-def: $vgpr16_vgpr17
	s_and_saveexec_b64 s[0:1], vcc
	s_xor_b64 s[64:65], exec, s[0:1]
	s_cbranch_execz .LBB43_13
; %bb.12:                               ;   in Loop: Header=BB43_3 Depth=1
	s_ashr_i32 s66, s29, 31
	s_add_u32 s0, s28, s66
	s_mov_b32 s67, s66
	s_addc_u32 s1, s29, s66
	s_xor_b64 s[68:69], s[0:1], s[66:67]
	v_cvt_f32_u32_e32 v3, s68
	v_cvt_f32_u32_e32 v15, s69
	s_sub_u32 s0, 0, s68
	s_subb_u32 s1, 0, s69
	v_mac_f32_e32 v3, 0x4f800000, v15
	v_rcp_f32_e32 v3, v3
	v_mul_f32_e32 v3, 0x5f7ffffc, v3
	v_mul_f32_e32 v15, 0x2f800000, v3
	v_trunc_f32_e32 v15, v15
	v_mac_f32_e32 v3, 0xcf800000, v15
	v_cvt_u32_f32_e32 v15, v15
	v_cvt_u32_f32_e32 v3, v3
	v_mul_lo_u32 v16, s0, v15
	v_mul_hi_u32 v28, s0, v3
	v_mul_lo_u32 v17, s1, v3
	v_add_u32_e32 v16, v28, v16
	v_mul_lo_u32 v30, s0, v3
	v_add_u32_e32 v16, v16, v17
	v_mul_lo_u32 v28, v3, v16
	v_mul_hi_u32 v32, v3, v30
	v_mul_hi_u32 v17, v3, v16
	v_add_co_u32_e32 v28, vcc, v32, v28
	v_addc_co_u32_e32 v17, vcc, 0, v17, vcc
	v_mul_hi_u32 v33, v15, v30
	v_mul_lo_u32 v30, v15, v30
	v_add_co_u32_e32 v28, vcc, v28, v30
	v_mul_hi_u32 v32, v15, v16
	v_addc_co_u32_e32 v17, vcc, v17, v33, vcc
	v_addc_co_u32_e32 v28, vcc, 0, v32, vcc
	v_mul_lo_u32 v16, v15, v16
	v_add_co_u32_e32 v16, vcc, v17, v16
	v_addc_co_u32_e32 v17, vcc, 0, v28, vcc
	v_add_co_u32_e32 v3, vcc, v3, v16
	v_addc_co_u32_e32 v15, vcc, v15, v17, vcc
	v_mul_lo_u32 v16, s0, v15
	v_mul_hi_u32 v17, s0, v3
	v_add_u32_e32 v16, v17, v16
	v_mul_lo_u32 v17, s1, v3
	v_add_u32_e32 v16, v16, v17
	v_mul_lo_u32 v28, s0, v3
	v_mul_hi_u32 v30, v15, v28
	v_mul_lo_u32 v32, v15, v28
	v_mul_lo_u32 v34, v3, v16
	v_mul_hi_u32 v28, v3, v28
	v_mul_hi_u32 v33, v3, v16
	v_add_co_u32_e32 v28, vcc, v28, v34
	v_addc_co_u32_e32 v33, vcc, 0, v33, vcc
	v_add_co_u32_e32 v28, vcc, v28, v32
	v_mul_hi_u32 v17, v15, v16
	v_addc_co_u32_e32 v28, vcc, v33, v30, vcc
	v_addc_co_u32_e32 v17, vcc, 0, v17, vcc
	v_mul_lo_u32 v16, v15, v16
	v_add_co_u32_e32 v16, vcc, v28, v16
	v_addc_co_u32_e32 v17, vcc, 0, v17, vcc
	v_add_co_u32_e32 v3, vcc, v3, v16
	v_addc_co_u32_e32 v15, vcc, v15, v17, vcc
	;; [unrolled: 2-line block ×3, first 2 shown]
	v_xor_b32_e32 v30, v16, v27
	v_xor_b32_e32 v28, v17, v27
	v_mad_u64_u32 v[16:17], s[0:1], v30, v15, 0
	v_mul_hi_u32 v32, v30, v3
	v_add_co_u32_e32 v34, vcc, v32, v16
	v_addc_co_u32_e32 v35, vcc, 0, v17, vcc
	v_mad_u64_u32 v[32:33], s[0:1], v28, v3, 0
	v_add_co_u32_e32 v3, vcc, v34, v32
	v_mad_u64_u32 v[16:17], s[0:1], v28, v15, 0
	v_addc_co_u32_e32 v3, vcc, v35, v33, vcc
	v_addc_co_u32_e32 v15, vcc, 0, v17, vcc
	v_add_co_u32_e32 v3, vcc, v3, v16
	v_addc_co_u32_e32 v15, vcc, 0, v15, vcc
	v_mul_lo_u32 v32, s69, v3
	v_mul_lo_u32 v33, s68, v15
	v_mad_u64_u32 v[16:17], s[0:1], s68, v3, 0
	v_add3_u32 v17, v17, v33, v32
	v_sub_u32_e32 v32, v28, v17
	v_mov_b32_e32 v33, s69
	v_sub_co_u32_e32 v16, vcc, v30, v16
	v_subb_co_u32_e64 v30, s[0:1], v32, v33, vcc
	v_subrev_co_u32_e64 v32, s[0:1], s68, v16
	v_subbrev_co_u32_e64 v30, s[0:1], 0, v30, s[0:1]
	v_cmp_le_u32_e64 s[0:1], s69, v30
	v_cndmask_b32_e64 v33, 0, -1, s[0:1]
	v_cmp_le_u32_e64 s[0:1], s68, v32
	v_cndmask_b32_e64 v32, 0, -1, s[0:1]
	v_cmp_eq_u32_e64 s[0:1], s69, v30
	v_cndmask_b32_e64 v30, v33, v32, s[0:1]
	v_add_co_u32_e64 v32, s[0:1], 2, v3
	v_subb_co_u32_e32 v17, vcc, v28, v17, vcc
	v_addc_co_u32_e64 v33, s[0:1], 0, v15, s[0:1]
	v_cmp_le_u32_e32 vcc, s69, v17
	v_add_co_u32_e64 v34, s[0:1], 1, v3
	v_cndmask_b32_e64 v28, 0, -1, vcc
	v_cmp_le_u32_e32 vcc, s68, v16
	v_addc_co_u32_e64 v35, s[0:1], 0, v15, s[0:1]
	v_cndmask_b32_e64 v16, 0, -1, vcc
	v_cmp_eq_u32_e32 vcc, s69, v17
	v_cmp_ne_u32_e64 s[0:1], 0, v30
	v_cndmask_b32_e32 v16, v28, v16, vcc
	v_cmp_ne_u32_e32 vcc, 0, v16
	v_cndmask_b32_e64 v16, v34, v32, s[0:1]
	v_cndmask_b32_e64 v30, v35, v33, s[0:1]
	v_cndmask_b32_e32 v3, v3, v16, vcc
	v_xor_b32_e32 v17, s66, v27
	v_cndmask_b32_e32 v15, v15, v30, vcc
	v_xor_b32_e32 v3, v3, v17
	v_xor_b32_e32 v15, v15, v17
	v_sub_co_u32_e32 v16, vcc, v3, v17
	v_subb_co_u32_e32 v17, vcc, v15, v17, vcc
.LBB43_13:                              ;   in Loop: Header=BB43_3 Depth=1
	s_andn2_saveexec_b64 s[0:1], s[64:65]
	s_cbranch_execz .LBB43_15
; %bb.14:                               ;   in Loop: Header=BB43_3 Depth=1
	v_rcp_iflag_f32_e32 v3, v31
	s_sub_i32 s64, 0, s28
	v_mul_f32_e32 v3, 0x4f7ffffe, v3
	v_cvt_u32_f32_e32 v3, v3
	v_mul_lo_u32 v15, s64, v3
	v_mul_hi_u32 v15, v3, v15
	v_add_u32_e32 v3, v3, v15
	v_mul_hi_u32 v3, v8, v3
	v_mul_lo_u32 v15, v3, s28
	v_sub_u32_e32 v15, v8, v15
	v_add_u32_e32 v16, 1, v3
	v_subrev_u32_e32 v17, s28, v15
	v_cmp_le_u32_e32 vcc, s28, v15
	v_cndmask_b32_e32 v15, v15, v17, vcc
	v_cndmask_b32_e32 v3, v3, v16, vcc
	v_add_u32_e32 v16, 1, v3
	v_cmp_le_u32_e32 vcc, s28, v15
	v_cndmask_b32_e32 v16, v3, v16, vcc
	v_mov_b32_e32 v17, v2
.LBB43_15:                              ;   in Loop: Header=BB43_3 Depth=1
	s_or_b64 exec, exec, s[0:1]
	v_mad_u64_u32 v[14:15], s[0:1], s8, v14, 0
	v_add3_u32 v30, v15, v19, v18
	v_mul_lo_u32 v3, v17, s28
	v_mul_lo_u32 v15, v16, s29
	v_mad_u64_u32 v[18:19], s[0:1], v16, s28, 0
	v_add3_u32 v3, v19, v15, v3
	v_sub_co_u32_e32 v15, vcc, v14, v18
	v_subb_co_u32_e32 v3, vcc, v30, v3, vcc
	v_add_co_u32_e32 v15, vcc, v0, v15
	v_addc_co_u32_e32 v3, vcc, v1, v3, vcc
	v_mul_lo_u32 v3, v3, s14
	v_mul_lo_u32 v28, v15, s15
	v_mad_u64_u32 v[18:19], s[0:1], v15, s14, 0
	v_add3_u32 v19, v19, v28, v3
	v_mul_lo_u32 v3, v17, s12
	v_mul_lo_u32 v15, v16, s13
	v_mad_u64_u32 v[16:17], s[0:1], v16, s12, 0
	v_add3_u32 v17, v17, v15, v3
	v_lshlrev_b64 v[16:17], 1, v[16:17]
	v_mov_b32_e32 v3, s3
	v_add_co_u32_e32 v15, vcc, s2, v16
	v_addc_co_u32_e32 v3, vcc, v3, v17, vcc
	v_lshlrev_b64 v[16:17], 1, v[18:19]
	v_add_co_u32_e32 v16, vcc, v15, v16
	v_addc_co_u32_e32 v17, vcc, v3, v17, vcc
	global_load_ushort v15, v[16:17], off
	v_add_co_u32_e32 v16, vcc, 2, v10
	v_addc_co_u32_e32 v3, vcc, 0, v11, vcc
	v_mul_lo_u32 v32, s9, v16
	v_mul_lo_u32 v33, s8, v3
	v_mad_u64_u32 v[10:11], s[0:1], s8, v16, v[0:1]
	v_add3_u32 v11, v32, v11, v33
	v_or_b32_e32 v3, s29, v11
	v_cmp_ne_u64_e32 vcc, 0, v[2:3]
	v_ashrrev_i32_e32 v28, 31, v11
                                        ; implicit-def: $vgpr18_vgpr19
	s_and_saveexec_b64 s[0:1], vcc
	s_xor_b64 s[64:65], exec, s[0:1]
	s_cbranch_execz .LBB43_17
; %bb.16:                               ;   in Loop: Header=BB43_3 Depth=1
	s_ashr_i32 s66, s29, 31
	s_add_u32 s0, s28, s66
	s_mov_b32 s67, s66
	s_addc_u32 s1, s29, s66
	s_xor_b64 s[68:69], s[0:1], s[66:67]
	v_cvt_f32_u32_e32 v3, s68
	v_cvt_f32_u32_e32 v17, s69
	s_sub_u32 s0, 0, s68
	s_subb_u32 s1, 0, s69
	v_mac_f32_e32 v3, 0x4f800000, v17
	v_rcp_f32_e32 v3, v3
	v_mul_f32_e32 v3, 0x5f7ffffc, v3
	v_mul_f32_e32 v17, 0x2f800000, v3
	v_trunc_f32_e32 v17, v17
	v_mac_f32_e32 v3, 0xcf800000, v17
	v_cvt_u32_f32_e32 v17, v17
	v_cvt_u32_f32_e32 v3, v3
	v_mul_lo_u32 v18, s0, v17
	v_mul_hi_u32 v31, s0, v3
	v_mul_lo_u32 v19, s1, v3
	v_add_u32_e32 v18, v31, v18
	v_mul_lo_u32 v34, s0, v3
	v_add_u32_e32 v18, v18, v19
	v_mul_lo_u32 v31, v3, v18
	v_mul_hi_u32 v35, v3, v34
	v_mul_hi_u32 v19, v3, v18
	v_add_co_u32_e32 v31, vcc, v35, v31
	v_addc_co_u32_e32 v19, vcc, 0, v19, vcc
	v_mul_hi_u32 v36, v17, v34
	v_mul_lo_u32 v34, v17, v34
	v_add_co_u32_e32 v31, vcc, v31, v34
	v_mul_hi_u32 v35, v17, v18
	v_addc_co_u32_e32 v19, vcc, v19, v36, vcc
	v_addc_co_u32_e32 v31, vcc, 0, v35, vcc
	v_mul_lo_u32 v18, v17, v18
	v_add_co_u32_e32 v18, vcc, v19, v18
	v_addc_co_u32_e32 v19, vcc, 0, v31, vcc
	v_add_co_u32_e32 v3, vcc, v3, v18
	v_addc_co_u32_e32 v17, vcc, v17, v19, vcc
	v_mul_lo_u32 v18, s0, v17
	v_mul_hi_u32 v19, s0, v3
	v_add_u32_e32 v18, v19, v18
	v_mul_lo_u32 v19, s1, v3
	v_add_u32_e32 v18, v18, v19
	v_mul_lo_u32 v31, s0, v3
	v_mul_hi_u32 v34, v17, v31
	v_mul_lo_u32 v35, v17, v31
	v_mul_lo_u32 v37, v3, v18
	v_mul_hi_u32 v31, v3, v31
	v_mul_hi_u32 v36, v3, v18
	v_add_co_u32_e32 v31, vcc, v31, v37
	v_addc_co_u32_e32 v36, vcc, 0, v36, vcc
	v_add_co_u32_e32 v31, vcc, v31, v35
	v_mul_hi_u32 v19, v17, v18
	v_addc_co_u32_e32 v31, vcc, v36, v34, vcc
	v_addc_co_u32_e32 v19, vcc, 0, v19, vcc
	v_mul_lo_u32 v18, v17, v18
	v_add_co_u32_e32 v18, vcc, v31, v18
	v_addc_co_u32_e32 v19, vcc, 0, v19, vcc
	v_add_co_u32_e32 v3, vcc, v3, v18
	v_addc_co_u32_e32 v17, vcc, v17, v19, vcc
	;; [unrolled: 2-line block ×3, first 2 shown]
	v_xor_b32_e32 v36, v18, v28
	v_xor_b32_e32 v31, v19, v28
	v_mad_u64_u32 v[18:19], s[0:1], v36, v17, 0
	v_mul_hi_u32 v34, v36, v3
	v_add_co_u32_e32 v37, vcc, v34, v18
	v_addc_co_u32_e32 v38, vcc, 0, v19, vcc
	v_mad_u64_u32 v[34:35], s[0:1], v31, v3, 0
	v_add_co_u32_e32 v3, vcc, v37, v34
	v_mad_u64_u32 v[18:19], s[0:1], v31, v17, 0
	v_addc_co_u32_e32 v3, vcc, v38, v35, vcc
	v_addc_co_u32_e32 v17, vcc, 0, v19, vcc
	v_add_co_u32_e32 v3, vcc, v3, v18
	v_addc_co_u32_e32 v17, vcc, 0, v17, vcc
	v_mul_lo_u32 v34, s69, v3
	v_mul_lo_u32 v35, s68, v17
	v_mad_u64_u32 v[18:19], s[0:1], s68, v3, 0
	v_add3_u32 v19, v19, v35, v34
	v_sub_u32_e32 v34, v31, v19
	v_mov_b32_e32 v35, s69
	v_sub_co_u32_e32 v18, vcc, v36, v18
	v_subb_co_u32_e64 v34, s[0:1], v34, v35, vcc
	v_subrev_co_u32_e64 v35, s[0:1], s68, v18
	v_subbrev_co_u32_e64 v34, s[0:1], 0, v34, s[0:1]
	v_cmp_le_u32_e64 s[0:1], s69, v34
	v_cndmask_b32_e64 v36, 0, -1, s[0:1]
	v_cmp_le_u32_e64 s[0:1], s68, v35
	v_cndmask_b32_e64 v35, 0, -1, s[0:1]
	v_cmp_eq_u32_e64 s[0:1], s69, v34
	v_cndmask_b32_e64 v34, v36, v35, s[0:1]
	v_add_co_u32_e64 v35, s[0:1], 2, v3
	v_subb_co_u32_e32 v19, vcc, v31, v19, vcc
	v_addc_co_u32_e64 v36, s[0:1], 0, v17, s[0:1]
	v_cmp_le_u32_e32 vcc, s69, v19
	v_add_co_u32_e64 v37, s[0:1], 1, v3
	v_cndmask_b32_e64 v31, 0, -1, vcc
	v_cmp_le_u32_e32 vcc, s68, v18
	v_addc_co_u32_e64 v38, s[0:1], 0, v17, s[0:1]
	v_cndmask_b32_e64 v18, 0, -1, vcc
	v_cmp_eq_u32_e32 vcc, s69, v19
	v_cmp_ne_u32_e64 s[0:1], 0, v34
	v_cndmask_b32_e32 v18, v31, v18, vcc
	v_cmp_ne_u32_e32 vcc, 0, v18
	v_cndmask_b32_e64 v18, v37, v35, s[0:1]
	v_cndmask_b32_e64 v34, v38, v36, s[0:1]
	v_cndmask_b32_e32 v3, v3, v18, vcc
	v_xor_b32_e32 v19, s66, v28
	v_cndmask_b32_e32 v17, v17, v34, vcc
	v_xor_b32_e32 v3, v3, v19
	v_xor_b32_e32 v17, v17, v19
	v_sub_co_u32_e32 v18, vcc, v3, v19
	v_subb_co_u32_e32 v19, vcc, v17, v19, vcc
                                        ; implicit-def: $vgpr31
.LBB43_17:                              ;   in Loop: Header=BB43_3 Depth=1
	s_andn2_saveexec_b64 s[0:1], s[64:65]
	s_cbranch_execz .LBB43_19
; %bb.18:                               ;   in Loop: Header=BB43_3 Depth=1
	v_rcp_iflag_f32_e32 v3, v31
	s_sub_i32 s64, 0, s28
	v_mul_f32_e32 v3, 0x4f7ffffe, v3
	v_cvt_u32_f32_e32 v3, v3
	v_mul_lo_u32 v17, s64, v3
	v_mul_hi_u32 v17, v3, v17
	v_add_u32_e32 v3, v3, v17
	v_mul_hi_u32 v3, v10, v3
	v_mul_lo_u32 v17, v3, s28
	v_sub_u32_e32 v17, v10, v17
	v_add_u32_e32 v18, 1, v3
	v_subrev_u32_e32 v19, s28, v17
	v_cmp_le_u32_e32 vcc, s28, v17
	v_cndmask_b32_e32 v17, v17, v19, vcc
	v_cndmask_b32_e32 v3, v3, v18, vcc
	v_add_u32_e32 v18, 1, v3
	v_cmp_le_u32_e32 vcc, s28, v17
	v_cndmask_b32_e32 v18, v3, v18, vcc
	v_mov_b32_e32 v19, v2
.LBB43_19:                              ;   in Loop: Header=BB43_3 Depth=1
	s_or_b64 exec, exec, s[0:1]
	v_mad_u64_u32 v[16:17], s[0:1], s8, v16, 0
	v_add3_u32 v31, v17, v33, v32
	v_mul_lo_u32 v3, v19, s28
	v_mul_lo_u32 v17, v18, s29
	v_mad_u64_u32 v[32:33], s[0:1], v18, s28, 0
	v_add3_u32 v3, v33, v17, v3
	v_sub_co_u32_e32 v17, vcc, v16, v32
	v_subb_co_u32_e32 v3, vcc, v31, v3, vcc
	v_add_co_u32_e32 v17, vcc, v0, v17
	v_addc_co_u32_e32 v3, vcc, v1, v3, vcc
	v_mul_lo_u32 v3, v3, s14
	v_mul_lo_u32 v34, v17, s15
	v_mad_u64_u32 v[32:33], s[0:1], v17, s14, 0
	v_add3_u32 v33, v33, v34, v3
	v_mul_lo_u32 v3, v19, s12
	v_mul_lo_u32 v17, v18, s13
	v_mad_u64_u32 v[18:19], s[0:1], v18, s12, 0
	v_add3_u32 v19, v19, v17, v3
	v_lshlrev_b64 v[18:19], 1, v[18:19]
	v_mov_b32_e32 v3, s3
	v_add_co_u32_e32 v17, vcc, s2, v18
	v_addc_co_u32_e32 v3, vcc, v3, v19, vcc
	v_lshlrev_b64 v[18:19], 1, v[32:33]
	v_add_co_u32_e32 v18, vcc, v17, v18
	v_addc_co_u32_e32 v19, vcc, v3, v19, vcc
	global_load_ushort v17, v[18:19], off
	v_or_b32_e32 v3, s35, v7
	v_cmp_ne_u64_e32 vcc, 0, v[2:3]
                                        ; implicit-def: $vgpr18_vgpr19
	s_and_saveexec_b64 s[0:1], vcc
	s_xor_b64 s[64:65], exec, s[0:1]
	s_cbranch_execz .LBB43_21
; %bb.20:                               ;   in Loop: Header=BB43_3 Depth=1
	s_ashr_i32 s66, s35, 31
	s_add_u32 s0, s34, s66
	s_mov_b32 s67, s66
	s_addc_u32 s1, s35, s66
	s_xor_b64 s[68:69], s[0:1], s[66:67]
	v_cvt_f32_u32_e32 v3, s68
	v_cvt_f32_u32_e32 v18, s69
	s_sub_u32 s0, 0, s68
	s_subb_u32 s1, 0, s69
	v_mac_f32_e32 v3, 0x4f800000, v18
	v_rcp_f32_e32 v3, v3
	v_mul_f32_e32 v3, 0x5f7ffffc, v3
	v_mul_f32_e32 v18, 0x2f800000, v3
	v_trunc_f32_e32 v18, v18
	v_mac_f32_e32 v3, 0xcf800000, v18
	v_cvt_u32_f32_e32 v18, v18
	v_cvt_u32_f32_e32 v3, v3
	v_mul_lo_u32 v19, s0, v18
	v_mul_hi_u32 v33, s0, v3
	v_mul_lo_u32 v32, s1, v3
	v_add_u32_e32 v19, v33, v19
	v_mul_lo_u32 v34, s0, v3
	v_add_u32_e32 v19, v19, v32
	v_mul_lo_u32 v33, v3, v19
	v_mul_hi_u32 v35, v3, v34
	v_mul_hi_u32 v32, v3, v19
	v_add_co_u32_e32 v33, vcc, v35, v33
	v_addc_co_u32_e32 v32, vcc, 0, v32, vcc
	v_mul_hi_u32 v36, v18, v34
	v_mul_lo_u32 v34, v18, v34
	v_add_co_u32_e32 v33, vcc, v33, v34
	v_mul_hi_u32 v35, v18, v19
	v_addc_co_u32_e32 v32, vcc, v32, v36, vcc
	v_addc_co_u32_e32 v33, vcc, 0, v35, vcc
	v_mul_lo_u32 v19, v18, v19
	v_add_co_u32_e32 v19, vcc, v32, v19
	v_addc_co_u32_e32 v32, vcc, 0, v33, vcc
	v_add_co_u32_e32 v3, vcc, v3, v19
	v_addc_co_u32_e32 v18, vcc, v18, v32, vcc
	v_mul_lo_u32 v19, s0, v18
	v_mul_hi_u32 v32, s0, v3
	v_add_u32_e32 v19, v32, v19
	v_mul_lo_u32 v32, s1, v3
	v_add_u32_e32 v19, v19, v32
	v_mul_lo_u32 v33, s0, v3
	v_mul_hi_u32 v34, v18, v33
	v_mul_lo_u32 v35, v18, v33
	v_mul_lo_u32 v37, v3, v19
	v_mul_hi_u32 v33, v3, v33
	v_mul_hi_u32 v36, v3, v19
	v_add_co_u32_e32 v33, vcc, v33, v37
	v_addc_co_u32_e32 v36, vcc, 0, v36, vcc
	v_add_co_u32_e32 v33, vcc, v33, v35
	v_mul_hi_u32 v32, v18, v19
	v_addc_co_u32_e32 v33, vcc, v36, v34, vcc
	v_addc_co_u32_e32 v32, vcc, 0, v32, vcc
	v_mul_lo_u32 v19, v18, v19
	v_add_co_u32_e32 v19, vcc, v33, v19
	v_addc_co_u32_e32 v32, vcc, 0, v32, vcc
	v_add_co_u32_e32 v3, vcc, v3, v19
	v_addc_co_u32_e32 v18, vcc, v18, v32, vcc
	;; [unrolled: 2-line block ×3, first 2 shown]
	v_xor_b32_e32 v33, v6, v26
	v_xor_b32_e32 v32, v7, v26
	v_mad_u64_u32 v[6:7], s[0:1], v33, v18, 0
	v_mul_hi_u32 v19, v33, v3
	v_add_co_u32_e32 v34, vcc, v19, v6
	v_addc_co_u32_e32 v35, vcc, 0, v7, vcc
	v_mad_u64_u32 v[6:7], s[0:1], v32, v18, 0
	v_mad_u64_u32 v[18:19], s[0:1], v32, v3, 0
	v_add_co_u32_e32 v3, vcc, v34, v18
	v_addc_co_u32_e32 v3, vcc, v35, v19, vcc
	v_addc_co_u32_e32 v7, vcc, 0, v7, vcc
	v_add_co_u32_e32 v3, vcc, v3, v6
	v_addc_co_u32_e32 v18, vcc, 0, v7, vcc
	v_mul_lo_u32 v19, s69, v3
	v_mul_lo_u32 v34, s68, v18
	v_mad_u64_u32 v[6:7], s[0:1], s68, v3, 0
	v_add3_u32 v7, v7, v34, v19
	v_sub_u32_e32 v19, v32, v7
	v_mov_b32_e32 v34, s69
	v_sub_co_u32_e32 v6, vcc, v33, v6
	v_subb_co_u32_e64 v19, s[0:1], v19, v34, vcc
	v_subrev_co_u32_e64 v33, s[0:1], s68, v6
	v_subbrev_co_u32_e64 v19, s[0:1], 0, v19, s[0:1]
	v_cmp_le_u32_e64 s[0:1], s69, v19
	v_cndmask_b32_e64 v34, 0, -1, s[0:1]
	v_cmp_le_u32_e64 s[0:1], s68, v33
	v_cndmask_b32_e64 v33, 0, -1, s[0:1]
	v_cmp_eq_u32_e64 s[0:1], s69, v19
	v_cndmask_b32_e64 v19, v34, v33, s[0:1]
	v_add_co_u32_e64 v33, s[0:1], 2, v3
	v_subb_co_u32_e32 v7, vcc, v32, v7, vcc
	v_addc_co_u32_e64 v34, s[0:1], 0, v18, s[0:1]
	v_cmp_le_u32_e32 vcc, s69, v7
	v_add_co_u32_e64 v35, s[0:1], 1, v3
	v_cndmask_b32_e64 v32, 0, -1, vcc
	v_cmp_le_u32_e32 vcc, s68, v6
	v_addc_co_u32_e64 v36, s[0:1], 0, v18, s[0:1]
	v_cndmask_b32_e64 v6, 0, -1, vcc
	v_cmp_eq_u32_e32 vcc, s69, v7
	v_cmp_ne_u32_e64 s[0:1], 0, v19
	v_cndmask_b32_e32 v6, v32, v6, vcc
	v_cmp_ne_u32_e32 vcc, 0, v6
	v_cndmask_b32_e64 v7, v35, v33, s[0:1]
	v_cndmask_b32_e64 v19, v36, v34, s[0:1]
	v_cndmask_b32_e32 v3, v3, v7, vcc
	v_xor_b32_e32 v7, s66, v26
	v_cndmask_b32_e32 v6, v18, v19, vcc
	v_xor_b32_e32 v3, v3, v7
	v_xor_b32_e32 v6, v6, v7
	v_sub_co_u32_e32 v18, vcc, v3, v7
	v_subb_co_u32_e32 v19, vcc, v6, v7, vcc
                                        ; implicit-def: $vgpr6_vgpr7
.LBB43_21:                              ;   in Loop: Header=BB43_3 Depth=1
	s_or_saveexec_b64 s[0:1], s[64:65]
	v_cvt_f32_u32_e32 v26, s34
	s_xor_b64 exec, exec, s[0:1]
	s_cbranch_execz .LBB43_23
; %bb.22:                               ;   in Loop: Header=BB43_3 Depth=1
	v_rcp_iflag_f32_e32 v3, v26
	s_sub_i32 s64, 0, s34
	v_mov_b32_e32 v19, v2
	v_mul_f32_e32 v3, 0x4f7ffffe, v3
	v_cvt_u32_f32_e32 v3, v3
	v_mul_lo_u32 v7, s64, v3
	v_mul_hi_u32 v7, v3, v7
	v_add_u32_e32 v3, v3, v7
	v_mul_hi_u32 v3, v6, v3
	v_mul_lo_u32 v7, v3, s34
	v_sub_u32_e32 v6, v6, v7
	v_add_u32_e32 v18, 1, v3
	v_subrev_u32_e32 v7, s34, v6
	v_cmp_le_u32_e32 vcc, s34, v6
	v_cndmask_b32_e32 v6, v6, v7, vcc
	v_cndmask_b32_e32 v3, v3, v18, vcc
	v_add_u32_e32 v7, 1, v3
	v_cmp_le_u32_e32 vcc, s34, v6
	v_cndmask_b32_e32 v18, v3, v7, vcc
.LBB43_23:                              ;   in Loop: Header=BB43_3 Depth=1
	s_or_b64 exec, exec, s[0:1]
	v_mul_lo_u32 v3, v19, s34
	v_mul_lo_u32 v32, v18, s35
	v_mad_u64_u32 v[6:7], s[0:1], v18, s34, 0
	v_add3_u32 v3, v7, v32, v3
	v_sub_co_u32_e32 v6, vcc, v12, v6
	v_subb_co_u32_e32 v3, vcc, v29, v3, vcc
	v_add_co_u32_e32 v6, vcc, v0, v6
	v_addc_co_u32_e32 v3, vcc, v1, v3, vcc
	v_mul_lo_u32 v3, v3, s18
	v_mul_lo_u32 v12, v6, s19
	v_mad_u64_u32 v[6:7], s[0:1], v6, s18, 0
	v_add3_u32 v7, v7, v12, v3
	v_mul_lo_u32 v3, v19, s16
	v_mul_lo_u32 v12, v18, s17
	v_mad_u64_u32 v[18:19], s[0:1], v18, s16, 0
	v_add3_u32 v19, v19, v12, v3
	v_lshlrev_b64 v[18:19], 1, v[18:19]
	v_mov_b32_e32 v3, s31
	v_add_co_u32_e32 v12, vcc, s30, v18
	v_addc_co_u32_e32 v3, vcc, v3, v19, vcc
	v_lshlrev_b64 v[6:7], 1, v[6:7]
	v_add_co_u32_e32 v6, vcc, v12, v6
	v_addc_co_u32_e32 v7, vcc, v3, v7, vcc
	global_load_ushort v12, v[6:7], off
	v_or_b32_e32 v3, s35, v9
	v_cmp_ne_u64_e32 vcc, 0, v[2:3]
                                        ; implicit-def: $vgpr6_vgpr7
	s_and_saveexec_b64 s[0:1], vcc
	s_xor_b64 s[64:65], exec, s[0:1]
	s_cbranch_execz .LBB43_25
; %bb.24:                               ;   in Loop: Header=BB43_3 Depth=1
	s_ashr_i32 s66, s35, 31
	s_add_u32 s0, s34, s66
	s_mov_b32 s67, s66
	s_addc_u32 s1, s35, s66
	s_xor_b64 s[68:69], s[0:1], s[66:67]
	v_cvt_f32_u32_e32 v3, s68
	v_cvt_f32_u32_e32 v6, s69
	s_sub_u32 s0, 0, s68
	s_subb_u32 s1, 0, s69
	v_mac_f32_e32 v3, 0x4f800000, v6
	v_rcp_f32_e32 v3, v3
	v_mul_f32_e32 v3, 0x5f7ffffc, v3
	v_mul_f32_e32 v6, 0x2f800000, v3
	v_trunc_f32_e32 v6, v6
	v_mac_f32_e32 v3, 0xcf800000, v6
	v_cvt_u32_f32_e32 v6, v6
	v_cvt_u32_f32_e32 v3, v3
	v_mul_lo_u32 v7, s0, v6
	v_mul_hi_u32 v19, s0, v3
	v_mul_lo_u32 v18, s1, v3
	v_add_u32_e32 v7, v19, v7
	v_mul_lo_u32 v29, s0, v3
	v_add_u32_e32 v7, v7, v18
	v_mul_lo_u32 v19, v3, v7
	v_mul_hi_u32 v32, v3, v29
	v_mul_hi_u32 v18, v3, v7
	v_add_co_u32_e32 v19, vcc, v32, v19
	v_addc_co_u32_e32 v18, vcc, 0, v18, vcc
	v_mul_hi_u32 v33, v6, v29
	v_mul_lo_u32 v29, v6, v29
	v_add_co_u32_e32 v19, vcc, v19, v29
	v_mul_hi_u32 v32, v6, v7
	v_addc_co_u32_e32 v18, vcc, v18, v33, vcc
	v_addc_co_u32_e32 v19, vcc, 0, v32, vcc
	v_mul_lo_u32 v7, v6, v7
	v_add_co_u32_e32 v7, vcc, v18, v7
	v_addc_co_u32_e32 v18, vcc, 0, v19, vcc
	v_add_co_u32_e32 v3, vcc, v3, v7
	v_addc_co_u32_e32 v6, vcc, v6, v18, vcc
	v_mul_lo_u32 v7, s0, v6
	v_mul_hi_u32 v18, s0, v3
	v_add_u32_e32 v7, v18, v7
	v_mul_lo_u32 v18, s1, v3
	v_add_u32_e32 v7, v7, v18
	v_mul_lo_u32 v19, s0, v3
	v_mul_hi_u32 v29, v6, v19
	v_mul_lo_u32 v32, v6, v19
	v_mul_lo_u32 v34, v3, v7
	v_mul_hi_u32 v19, v3, v19
	v_mul_hi_u32 v33, v3, v7
	v_add_co_u32_e32 v19, vcc, v19, v34
	v_addc_co_u32_e32 v33, vcc, 0, v33, vcc
	v_add_co_u32_e32 v19, vcc, v19, v32
	v_mul_hi_u32 v18, v6, v7
	v_addc_co_u32_e32 v19, vcc, v33, v29, vcc
	v_addc_co_u32_e32 v18, vcc, 0, v18, vcc
	v_mul_lo_u32 v7, v6, v7
	v_add_co_u32_e32 v7, vcc, v19, v7
	v_addc_co_u32_e32 v18, vcc, 0, v18, vcc
	v_add_co_u32_e32 v3, vcc, v3, v7
	v_addc_co_u32_e32 v18, vcc, v6, v18, vcc
	;; [unrolled: 2-line block ×3, first 2 shown]
	v_xor_b32_e32 v29, v6, v27
	v_xor_b32_e32 v19, v7, v27
	v_mad_u64_u32 v[6:7], s[0:1], v29, v18, 0
	v_mul_hi_u32 v8, v29, v3
	v_add_co_u32_e32 v32, vcc, v8, v6
	v_addc_co_u32_e32 v33, vcc, 0, v7, vcc
	v_mad_u64_u32 v[8:9], s[0:1], v19, v3, 0
	v_add_co_u32_e32 v3, vcc, v32, v8
	v_mad_u64_u32 v[6:7], s[0:1], v19, v18, 0
	v_addc_co_u32_e32 v3, vcc, v33, v9, vcc
	v_addc_co_u32_e32 v7, vcc, 0, v7, vcc
	v_add_co_u32_e32 v3, vcc, v3, v6
	v_addc_co_u32_e32 v8, vcc, 0, v7, vcc
	v_mul_lo_u32 v9, s69, v3
	v_mul_lo_u32 v18, s68, v8
	v_mad_u64_u32 v[6:7], s[0:1], s68, v3, 0
	v_add3_u32 v7, v7, v18, v9
	v_sub_u32_e32 v9, v19, v7
	v_mov_b32_e32 v18, s69
	v_sub_co_u32_e32 v6, vcc, v29, v6
	v_subb_co_u32_e64 v9, s[0:1], v9, v18, vcc
	v_subrev_co_u32_e64 v18, s[0:1], s68, v6
	v_subbrev_co_u32_e64 v9, s[0:1], 0, v9, s[0:1]
	v_cmp_le_u32_e64 s[0:1], s69, v9
	v_cndmask_b32_e64 v29, 0, -1, s[0:1]
	v_cmp_le_u32_e64 s[0:1], s68, v18
	v_cndmask_b32_e64 v18, 0, -1, s[0:1]
	v_cmp_eq_u32_e64 s[0:1], s69, v9
	v_cndmask_b32_e64 v9, v29, v18, s[0:1]
	v_add_co_u32_e64 v18, s[0:1], 2, v3
	v_subb_co_u32_e32 v7, vcc, v19, v7, vcc
	v_addc_co_u32_e64 v29, s[0:1], 0, v8, s[0:1]
	v_cmp_le_u32_e32 vcc, s69, v7
	v_add_co_u32_e64 v32, s[0:1], 1, v3
	v_cndmask_b32_e64 v19, 0, -1, vcc
	v_cmp_le_u32_e32 vcc, s68, v6
	v_addc_co_u32_e64 v33, s[0:1], 0, v8, s[0:1]
	v_cndmask_b32_e64 v6, 0, -1, vcc
	v_cmp_eq_u32_e32 vcc, s69, v7
	v_cmp_ne_u32_e64 s[0:1], 0, v9
	v_cndmask_b32_e32 v6, v19, v6, vcc
	v_cmp_ne_u32_e32 vcc, 0, v6
	v_cndmask_b32_e64 v7, v32, v18, s[0:1]
	v_cndmask_b32_e64 v9, v33, v29, s[0:1]
	v_cndmask_b32_e32 v3, v3, v7, vcc
	v_xor_b32_e32 v7, s66, v27
	v_cndmask_b32_e32 v6, v8, v9, vcc
	v_xor_b32_e32 v3, v3, v7
	v_xor_b32_e32 v8, v6, v7
	v_sub_co_u32_e32 v6, vcc, v3, v7
	v_subb_co_u32_e32 v7, vcc, v8, v7, vcc
                                        ; implicit-def: $vgpr8_vgpr9
.LBB43_25:                              ;   in Loop: Header=BB43_3 Depth=1
	s_andn2_saveexec_b64 s[0:1], s[64:65]
	s_cbranch_execz .LBB43_27
; %bb.26:                               ;   in Loop: Header=BB43_3 Depth=1
	v_rcp_iflag_f32_e32 v3, v26
	s_sub_i32 s64, 0, s34
	v_mul_f32_e32 v3, 0x4f7ffffe, v3
	v_cvt_u32_f32_e32 v3, v3
	v_mul_lo_u32 v6, s64, v3
	v_mul_hi_u32 v6, v3, v6
	v_add_u32_e32 v3, v3, v6
	v_mul_hi_u32 v3, v8, v3
	v_mul_lo_u32 v6, v3, s34
	v_sub_u32_e32 v6, v8, v6
	v_add_u32_e32 v7, 1, v3
	v_subrev_u32_e32 v8, s34, v6
	v_cmp_le_u32_e32 vcc, s34, v6
	v_cndmask_b32_e32 v6, v6, v8, vcc
	v_cndmask_b32_e32 v3, v3, v7, vcc
	v_add_u32_e32 v7, 1, v3
	v_cmp_le_u32_e32 vcc, s34, v6
	v_cndmask_b32_e32 v6, v3, v7, vcc
	v_mov_b32_e32 v7, v2
.LBB43_27:                              ;   in Loop: Header=BB43_3 Depth=1
	s_or_b64 exec, exec, s[0:1]
	v_mul_lo_u32 v3, v7, s34
	v_mul_lo_u32 v18, v6, s35
	v_mad_u64_u32 v[8:9], s[0:1], v6, s34, 0
	v_add3_u32 v3, v9, v18, v3
	v_sub_co_u32_e32 v8, vcc, v14, v8
	v_subb_co_u32_e32 v3, vcc, v30, v3, vcc
	v_add_co_u32_e32 v8, vcc, v0, v8
	v_addc_co_u32_e32 v3, vcc, v1, v3, vcc
	v_mul_lo_u32 v3, v3, s18
	v_mul_lo_u32 v14, v8, s19
	v_mad_u64_u32 v[8:9], s[0:1], v8, s18, 0
	v_add3_u32 v9, v9, v14, v3
	v_mul_lo_u32 v3, v7, s16
	v_mul_lo_u32 v14, v6, s17
	v_mad_u64_u32 v[6:7], s[0:1], v6, s16, 0
	v_add3_u32 v7, v7, v14, v3
	v_lshlrev_b64 v[6:7], 1, v[6:7]
	v_mov_b32_e32 v3, s31
	v_add_co_u32_e32 v14, vcc, s30, v6
	v_addc_co_u32_e32 v3, vcc, v3, v7, vcc
	v_lshlrev_b64 v[6:7], 1, v[8:9]
	v_add_co_u32_e32 v6, vcc, v14, v6
	v_addc_co_u32_e32 v7, vcc, v3, v7, vcc
	global_load_ushort v8, v[6:7], off
	v_or_b32_e32 v3, s35, v11
	v_cmp_ne_u64_e32 vcc, 0, v[2:3]
                                        ; implicit-def: $vgpr6_vgpr7
	s_and_saveexec_b64 s[0:1], vcc
	s_xor_b64 s[64:65], exec, s[0:1]
	s_cbranch_execz .LBB43_29
; %bb.28:                               ;   in Loop: Header=BB43_3 Depth=1
	s_ashr_i32 s66, s35, 31
	s_add_u32 s0, s34, s66
	s_mov_b32 s67, s66
	s_addc_u32 s1, s35, s66
	s_xor_b64 s[68:69], s[0:1], s[66:67]
	v_cvt_f32_u32_e32 v3, s68
	v_cvt_f32_u32_e32 v6, s69
	s_sub_u32 s0, 0, s68
	s_subb_u32 s1, 0, s69
	v_mac_f32_e32 v3, 0x4f800000, v6
	v_rcp_f32_e32 v3, v3
	v_mul_f32_e32 v3, 0x5f7ffffc, v3
	v_mul_f32_e32 v6, 0x2f800000, v3
	v_trunc_f32_e32 v6, v6
	v_mac_f32_e32 v3, 0xcf800000, v6
	v_cvt_u32_f32_e32 v6, v6
	v_cvt_u32_f32_e32 v3, v3
	v_mul_lo_u32 v7, s0, v6
	v_mul_hi_u32 v14, s0, v3
	v_mul_lo_u32 v9, s1, v3
	v_add_u32_e32 v7, v14, v7
	v_mul_lo_u32 v18, s0, v3
	v_add_u32_e32 v7, v7, v9
	v_mul_lo_u32 v14, v3, v7
	v_mul_hi_u32 v19, v3, v18
	v_mul_hi_u32 v9, v3, v7
	v_add_co_u32_e32 v14, vcc, v19, v14
	v_addc_co_u32_e32 v9, vcc, 0, v9, vcc
	v_mul_hi_u32 v26, v6, v18
	v_mul_lo_u32 v18, v6, v18
	v_add_co_u32_e32 v14, vcc, v14, v18
	v_mul_hi_u32 v19, v6, v7
	v_addc_co_u32_e32 v9, vcc, v9, v26, vcc
	v_addc_co_u32_e32 v14, vcc, 0, v19, vcc
	v_mul_lo_u32 v7, v6, v7
	v_add_co_u32_e32 v7, vcc, v9, v7
	v_addc_co_u32_e32 v9, vcc, 0, v14, vcc
	v_add_co_u32_e32 v3, vcc, v3, v7
	v_addc_co_u32_e32 v6, vcc, v6, v9, vcc
	v_mul_lo_u32 v7, s0, v6
	v_mul_hi_u32 v9, s0, v3
	v_add_u32_e32 v7, v9, v7
	v_mul_lo_u32 v9, s1, v3
	v_add_u32_e32 v7, v7, v9
	v_mul_lo_u32 v14, s0, v3
	v_mul_hi_u32 v18, v6, v14
	v_mul_lo_u32 v19, v6, v14
	v_mul_lo_u32 v27, v3, v7
	v_mul_hi_u32 v14, v3, v14
	v_mul_hi_u32 v26, v3, v7
	v_add_co_u32_e32 v14, vcc, v14, v27
	v_addc_co_u32_e32 v26, vcc, 0, v26, vcc
	v_add_co_u32_e32 v14, vcc, v14, v19
	v_mul_hi_u32 v9, v6, v7
	v_addc_co_u32_e32 v14, vcc, v26, v18, vcc
	v_addc_co_u32_e32 v9, vcc, 0, v9, vcc
	v_mul_lo_u32 v7, v6, v7
	v_add_co_u32_e32 v7, vcc, v14, v7
	v_addc_co_u32_e32 v9, vcc, 0, v9, vcc
	v_add_co_u32_e32 v3, vcc, v3, v7
	v_addc_co_u32_e32 v9, vcc, v6, v9, vcc
	;; [unrolled: 2-line block ×3, first 2 shown]
	v_xor_b32_e32 v18, v6, v28
	v_xor_b32_e32 v14, v7, v28
	v_mad_u64_u32 v[6:7], s[0:1], v18, v9, 0
	v_mul_hi_u32 v10, v18, v3
	v_add_co_u32_e32 v19, vcc, v10, v6
	v_addc_co_u32_e32 v26, vcc, 0, v7, vcc
	v_mad_u64_u32 v[10:11], s[0:1], v14, v3, 0
	v_add_co_u32_e32 v3, vcc, v19, v10
	v_mad_u64_u32 v[6:7], s[0:1], v14, v9, 0
	v_addc_co_u32_e32 v3, vcc, v26, v11, vcc
	v_addc_co_u32_e32 v7, vcc, 0, v7, vcc
	v_add_co_u32_e32 v3, vcc, v3, v6
	v_addc_co_u32_e32 v9, vcc, 0, v7, vcc
	v_mul_lo_u32 v10, s69, v3
	v_mul_lo_u32 v11, s68, v9
	v_mad_u64_u32 v[6:7], s[0:1], s68, v3, 0
	v_add3_u32 v7, v7, v11, v10
	v_sub_u32_e32 v10, v14, v7
	v_mov_b32_e32 v11, s69
	v_sub_co_u32_e32 v6, vcc, v18, v6
	v_subb_co_u32_e64 v10, s[0:1], v10, v11, vcc
	v_subrev_co_u32_e64 v11, s[0:1], s68, v6
	v_subbrev_co_u32_e64 v10, s[0:1], 0, v10, s[0:1]
	v_cmp_le_u32_e64 s[0:1], s69, v10
	v_cndmask_b32_e64 v18, 0, -1, s[0:1]
	v_cmp_le_u32_e64 s[0:1], s68, v11
	v_cndmask_b32_e64 v11, 0, -1, s[0:1]
	v_cmp_eq_u32_e64 s[0:1], s69, v10
	v_cndmask_b32_e64 v10, v18, v11, s[0:1]
	v_add_co_u32_e64 v11, s[0:1], 2, v3
	v_subb_co_u32_e32 v7, vcc, v14, v7, vcc
	v_addc_co_u32_e64 v18, s[0:1], 0, v9, s[0:1]
	v_cmp_le_u32_e32 vcc, s69, v7
	v_add_co_u32_e64 v19, s[0:1], 1, v3
	v_cndmask_b32_e64 v14, 0, -1, vcc
	v_cmp_le_u32_e32 vcc, s68, v6
	v_addc_co_u32_e64 v26, s[0:1], 0, v9, s[0:1]
	v_cndmask_b32_e64 v6, 0, -1, vcc
	v_cmp_eq_u32_e32 vcc, s69, v7
	v_cmp_ne_u32_e64 s[0:1], 0, v10
	v_cndmask_b32_e32 v6, v14, v6, vcc
	v_cmp_ne_u32_e32 vcc, 0, v6
	v_cndmask_b32_e64 v7, v19, v11, s[0:1]
	v_cndmask_b32_e64 v10, v26, v18, s[0:1]
	v_cndmask_b32_e32 v3, v3, v7, vcc
	v_xor_b32_e32 v7, s66, v28
	v_cndmask_b32_e32 v6, v9, v10, vcc
	v_xor_b32_e32 v3, v3, v7
	v_xor_b32_e32 v9, v6, v7
	v_sub_co_u32_e32 v6, vcc, v3, v7
	v_subb_co_u32_e32 v7, vcc, v9, v7, vcc
                                        ; implicit-def: $vgpr26
                                        ; implicit-def: $vgpr10_vgpr11
.LBB43_29:                              ;   in Loop: Header=BB43_3 Depth=1
	s_andn2_saveexec_b64 s[0:1], s[64:65]
	s_cbranch_execz .LBB43_31
; %bb.30:                               ;   in Loop: Header=BB43_3 Depth=1
	v_rcp_iflag_f32_e32 v3, v26
	s_sub_i32 s64, 0, s34
	v_mul_f32_e32 v3, 0x4f7ffffe, v3
	v_cvt_u32_f32_e32 v3, v3
	v_mul_lo_u32 v6, s64, v3
	v_mul_hi_u32 v6, v3, v6
	v_add_u32_e32 v3, v3, v6
	v_mul_hi_u32 v3, v10, v3
	v_mul_lo_u32 v6, v3, s34
	v_sub_u32_e32 v6, v10, v6
	v_add_u32_e32 v7, 1, v3
	v_subrev_u32_e32 v9, s34, v6
	v_cmp_le_u32_e32 vcc, s34, v6
	v_cndmask_b32_e32 v6, v6, v9, vcc
	v_cndmask_b32_e32 v3, v3, v7, vcc
	v_add_u32_e32 v7, 1, v3
	v_cmp_le_u32_e32 vcc, s34, v6
	v_cndmask_b32_e32 v6, v3, v7, vcc
	v_mov_b32_e32 v7, v2
.LBB43_31:                              ;   in Loop: Header=BB43_3 Depth=1
	s_or_b64 exec, exec, s[0:1]
	v_mul_lo_u32 v3, v7, s34
	v_mul_lo_u32 v9, v6, s35
	v_mad_u64_u32 v[10:11], s[0:1], v6, s34, 0
	v_add3_u32 v3, v11, v9, v3
	v_sub_co_u32_e32 v9, vcc, v16, v10
	v_subb_co_u32_e32 v3, vcc, v31, v3, vcc
	v_add_co_u32_e32 v9, vcc, v0, v9
	v_addc_co_u32_e32 v3, vcc, v1, v3, vcc
	v_mul_lo_u32 v3, v3, s18
	v_mul_lo_u32 v14, v9, s19
	v_mad_u64_u32 v[10:11], s[0:1], v9, s18, 0
	v_add3_u32 v11, v11, v14, v3
	v_mul_lo_u32 v3, v7, s16
	v_mul_lo_u32 v9, v6, s17
	v_mad_u64_u32 v[6:7], s[0:1], v6, s16, 0
	v_add3_u32 v7, v7, v9, v3
	v_lshlrev_b64 v[6:7], 1, v[6:7]
	v_mov_b32_e32 v3, s31
	v_add_co_u32_e32 v9, vcc, s30, v6
	v_addc_co_u32_e32 v3, vcc, v3, v7, vcc
	v_lshlrev_b64 v[6:7], 1, v[10:11]
	v_add_co_u32_e32 v6, vcc, v9, v6
	v_addc_co_u32_e32 v7, vcc, v3, v7, vcc
	global_load_ushort v9, v[6:7], off
	v_or_b32_e32 v3, s47, v1
	v_cmp_ne_u64_e32 vcc, 0, v[2:3]
                                        ; implicit-def: $vgpr6_vgpr7
	s_and_saveexec_b64 s[0:1], vcc
	s_xor_b64 s[64:65], exec, s[0:1]
	s_cbranch_execz .LBB43_33
; %bb.32:                               ;   in Loop: Header=BB43_3 Depth=1
	s_ashr_i32 s66, s47, 31
	s_add_u32 s0, s46, s66
	s_mov_b32 s67, s66
	s_addc_u32 s1, s47, s66
	s_xor_b64 s[68:69], s[0:1], s[66:67]
	v_cvt_f32_u32_e32 v3, s68
	v_cvt_f32_u32_e32 v6, s69
	s_sub_u32 s0, 0, s68
	s_subb_u32 s1, 0, s69
	v_mac_f32_e32 v3, 0x4f800000, v6
	v_rcp_f32_e32 v3, v3
	v_mul_f32_e32 v3, 0x5f7ffffc, v3
	v_mul_f32_e32 v6, 0x2f800000, v3
	v_trunc_f32_e32 v6, v6
	v_mac_f32_e32 v3, 0xcf800000, v6
	v_cvt_u32_f32_e32 v6, v6
	v_cvt_u32_f32_e32 v3, v3
	v_mul_lo_u32 v7, s0, v6
	v_mul_hi_u32 v11, s0, v3
	v_mul_lo_u32 v10, s1, v3
	v_add_u32_e32 v7, v11, v7
	v_mul_lo_u32 v14, s0, v3
	v_add_u32_e32 v7, v7, v10
	v_mul_lo_u32 v11, v3, v7
	v_mul_hi_u32 v16, v3, v14
	v_mul_hi_u32 v10, v3, v7
	v_add_co_u32_e32 v11, vcc, v16, v11
	v_addc_co_u32_e32 v10, vcc, 0, v10, vcc
	v_mul_hi_u32 v18, v6, v14
	v_mul_lo_u32 v14, v6, v14
	v_add_co_u32_e32 v11, vcc, v11, v14
	v_mul_hi_u32 v16, v6, v7
	v_addc_co_u32_e32 v10, vcc, v10, v18, vcc
	v_addc_co_u32_e32 v11, vcc, 0, v16, vcc
	v_mul_lo_u32 v7, v6, v7
	v_add_co_u32_e32 v7, vcc, v10, v7
	v_addc_co_u32_e32 v10, vcc, 0, v11, vcc
	v_add_co_u32_e32 v3, vcc, v3, v7
	v_addc_co_u32_e32 v6, vcc, v6, v10, vcc
	v_mul_lo_u32 v7, s0, v6
	v_mul_hi_u32 v10, s0, v3
	v_add_u32_e32 v7, v10, v7
	v_mul_lo_u32 v10, s1, v3
	v_add_u32_e32 v7, v7, v10
	v_mul_lo_u32 v11, s0, v3
	v_mul_hi_u32 v14, v6, v11
	v_mul_lo_u32 v16, v6, v11
	v_mul_lo_u32 v19, v3, v7
	v_mul_hi_u32 v11, v3, v11
	v_mul_hi_u32 v18, v3, v7
	v_add_co_u32_e32 v11, vcc, v11, v19
	v_addc_co_u32_e32 v18, vcc, 0, v18, vcc
	v_add_co_u32_e32 v11, vcc, v11, v16
	v_mul_hi_u32 v10, v6, v7
	v_addc_co_u32_e32 v11, vcc, v18, v14, vcc
	v_addc_co_u32_e32 v10, vcc, 0, v10, vcc
	v_mul_lo_u32 v7, v6, v7
	v_add_co_u32_e32 v7, vcc, v11, v7
	v_addc_co_u32_e32 v10, vcc, 0, v10, vcc
	v_add_co_u32_e32 v3, vcc, v3, v7
	v_addc_co_u32_e32 v10, vcc, v6, v10, vcc
	;; [unrolled: 2-line block ×3, first 2 shown]
	v_xor_b32_e32 v16, v6, v25
	v_xor_b32_e32 v14, v7, v25
	v_mad_u64_u32 v[6:7], s[0:1], v16, v10, 0
	v_mul_hi_u32 v11, v16, v3
	v_add_co_u32_e32 v18, vcc, v11, v6
	v_addc_co_u32_e32 v19, vcc, 0, v7, vcc
	v_mad_u64_u32 v[6:7], s[0:1], v14, v10, 0
	v_mad_u64_u32 v[10:11], s[0:1], v14, v3, 0
	v_add_co_u32_e32 v3, vcc, v18, v10
	v_addc_co_u32_e32 v3, vcc, v19, v11, vcc
	v_addc_co_u32_e32 v7, vcc, 0, v7, vcc
	v_add_co_u32_e32 v3, vcc, v3, v6
	v_addc_co_u32_e32 v10, vcc, 0, v7, vcc
	v_mul_lo_u32 v11, s69, v3
	v_mul_lo_u32 v18, s68, v10
	v_mad_u64_u32 v[6:7], s[0:1], s68, v3, 0
	v_add3_u32 v7, v7, v18, v11
	v_sub_u32_e32 v11, v14, v7
	v_mov_b32_e32 v18, s69
	v_sub_co_u32_e32 v6, vcc, v16, v6
	v_subb_co_u32_e64 v11, s[0:1], v11, v18, vcc
	v_subrev_co_u32_e64 v16, s[0:1], s68, v6
	v_subbrev_co_u32_e64 v11, s[0:1], 0, v11, s[0:1]
	v_cmp_le_u32_e64 s[0:1], s69, v11
	v_cndmask_b32_e64 v18, 0, -1, s[0:1]
	v_cmp_le_u32_e64 s[0:1], s68, v16
	v_cndmask_b32_e64 v16, 0, -1, s[0:1]
	v_cmp_eq_u32_e64 s[0:1], s69, v11
	v_cndmask_b32_e64 v11, v18, v16, s[0:1]
	v_add_co_u32_e64 v16, s[0:1], 2, v3
	v_subb_co_u32_e32 v7, vcc, v14, v7, vcc
	v_addc_co_u32_e64 v18, s[0:1], 0, v10, s[0:1]
	v_cmp_le_u32_e32 vcc, s69, v7
	v_add_co_u32_e64 v19, s[0:1], 1, v3
	v_cndmask_b32_e64 v14, 0, -1, vcc
	v_cmp_le_u32_e32 vcc, s68, v6
	v_addc_co_u32_e64 v26, s[0:1], 0, v10, s[0:1]
	v_cndmask_b32_e64 v6, 0, -1, vcc
	v_cmp_eq_u32_e32 vcc, s69, v7
	v_cmp_ne_u32_e64 s[0:1], 0, v11
	v_cndmask_b32_e32 v6, v14, v6, vcc
	v_cmp_ne_u32_e32 vcc, 0, v6
	v_cndmask_b32_e64 v7, v19, v16, s[0:1]
	v_cndmask_b32_e64 v11, v26, v18, s[0:1]
	v_cndmask_b32_e32 v3, v3, v7, vcc
	v_xor_b32_e32 v7, s66, v25
	v_cndmask_b32_e32 v6, v10, v11, vcc
	v_xor_b32_e32 v3, v3, v7
	v_xor_b32_e32 v10, v6, v7
	v_sub_co_u32_e32 v6, vcc, v3, v7
	v_subb_co_u32_e32 v7, vcc, v10, v7, vcc
.LBB43_33:                              ;   in Loop: Header=BB43_3 Depth=1
	s_andn2_saveexec_b64 s[0:1], s[64:65]
	s_cbranch_execz .LBB43_35
; %bb.34:                               ;   in Loop: Header=BB43_3 Depth=1
	v_cvt_f32_u32_e32 v3, s46
	s_sub_i32 s64, 0, s46
	v_rcp_iflag_f32_e32 v3, v3
	v_mul_f32_e32 v3, 0x4f7ffffe, v3
	v_cvt_u32_f32_e32 v3, v3
	v_mul_lo_u32 v6, s64, v3
	v_mul_hi_u32 v6, v3, v6
	v_add_u32_e32 v3, v3, v6
	v_mul_hi_u32 v3, v0, v3
	v_mul_lo_u32 v6, v3, s46
	v_sub_u32_e32 v6, v0, v6
	v_add_u32_e32 v7, 1, v3
	v_subrev_u32_e32 v10, s46, v6
	v_cmp_le_u32_e32 vcc, s46, v6
	v_cndmask_b32_e32 v6, v6, v10, vcc
	v_cndmask_b32_e32 v3, v3, v7, vcc
	v_add_u32_e32 v7, 1, v3
	v_cmp_le_u32_e32 vcc, s46, v6
	v_cndmask_b32_e32 v6, v3, v7, vcc
	v_mov_b32_e32 v7, v2
.LBB43_35:                              ;   in Loop: Header=BB43_3 Depth=1
	s_or_b64 exec, exec, s[0:1]
	v_mad_u64_u32 v[10:11], s[0:1], s73, v6, v[0:1]
	v_mul_lo_u32 v3, s73, v7
	v_mul_lo_u32 v14, s74, v6
	v_add3_u32 v3, v14, v11, v3
	v_mul_lo_u32 v14, v10, s23
	v_mul_lo_u32 v3, v3, s22
	v_mad_u64_u32 v[10:11], s[0:1], v10, s22, 0
	v_add3_u32 v11, v11, v14, v3
	v_mul_lo_u32 v3, v7, s20
	v_mul_lo_u32 v14, v6, s21
	v_mad_u64_u32 v[6:7], s[0:1], v6, s20, 0
	v_add3_u32 v7, v7, v14, v3
	v_lshlrev_b64 v[6:7], 1, v[6:7]
	v_mov_b32_e32 v3, s45
	v_add_co_u32_e32 v14, vcc, s44, v6
	v_addc_co_u32_e32 v3, vcc, v3, v7, vcc
	v_lshlrev_b64 v[6:7], 1, v[10:11]
	v_add_co_u32_e32 v6, vcc, v14, v6
	v_addc_co_u32_e32 v7, vcc, v3, v7, vcc
	global_load_ushort v10, v[6:7], off
	v_or_b32_e32 v3, s51, v1
	v_cmp_ne_u64_e32 vcc, 0, v[2:3]
                                        ; implicit-def: $vgpr6_vgpr7
	s_and_saveexec_b64 s[0:1], vcc
	s_xor_b64 s[64:65], exec, s[0:1]
	s_cbranch_execz .LBB43_37
; %bb.36:                               ;   in Loop: Header=BB43_3 Depth=1
	s_ashr_i32 s66, s51, 31
	s_add_u32 s0, s50, s66
	s_mov_b32 s67, s66
	s_addc_u32 s1, s51, s66
	s_xor_b64 s[68:69], s[0:1], s[66:67]
	v_cvt_f32_u32_e32 v3, s68
	v_cvt_f32_u32_e32 v6, s69
	s_sub_u32 s0, 0, s68
	s_subb_u32 s1, 0, s69
	v_mac_f32_e32 v3, 0x4f800000, v6
	v_rcp_f32_e32 v3, v3
	v_mul_f32_e32 v3, 0x5f7ffffc, v3
	v_mul_f32_e32 v6, 0x2f800000, v3
	v_trunc_f32_e32 v6, v6
	v_mac_f32_e32 v3, 0xcf800000, v6
	v_cvt_u32_f32_e32 v6, v6
	v_cvt_u32_f32_e32 v3, v3
	v_mul_lo_u32 v7, s0, v6
	v_mul_hi_u32 v14, s0, v3
	v_mul_lo_u32 v11, s1, v3
	v_add_u32_e32 v7, v14, v7
	v_mul_lo_u32 v16, s0, v3
	v_add_u32_e32 v7, v7, v11
	v_mul_lo_u32 v14, v3, v7
	v_mul_hi_u32 v18, v3, v16
	v_mul_hi_u32 v11, v3, v7
	v_add_co_u32_e32 v14, vcc, v18, v14
	v_addc_co_u32_e32 v11, vcc, 0, v11, vcc
	v_mul_hi_u32 v19, v6, v16
	v_mul_lo_u32 v16, v6, v16
	v_add_co_u32_e32 v14, vcc, v14, v16
	v_mul_hi_u32 v18, v6, v7
	v_addc_co_u32_e32 v11, vcc, v11, v19, vcc
	v_addc_co_u32_e32 v14, vcc, 0, v18, vcc
	v_mul_lo_u32 v7, v6, v7
	v_add_co_u32_e32 v7, vcc, v11, v7
	v_addc_co_u32_e32 v11, vcc, 0, v14, vcc
	v_add_co_u32_e32 v3, vcc, v3, v7
	v_addc_co_u32_e32 v6, vcc, v6, v11, vcc
	v_mul_lo_u32 v7, s0, v6
	v_mul_hi_u32 v11, s0, v3
	v_add_u32_e32 v7, v11, v7
	v_mul_lo_u32 v11, s1, v3
	v_add_u32_e32 v7, v7, v11
	v_mul_lo_u32 v14, s0, v3
	v_mul_hi_u32 v16, v6, v14
	v_mul_lo_u32 v18, v6, v14
	v_mul_lo_u32 v26, v3, v7
	v_mul_hi_u32 v14, v3, v14
	v_mul_hi_u32 v19, v3, v7
	v_add_co_u32_e32 v14, vcc, v14, v26
	v_addc_co_u32_e32 v19, vcc, 0, v19, vcc
	v_add_co_u32_e32 v14, vcc, v14, v18
	v_mul_hi_u32 v11, v6, v7
	v_addc_co_u32_e32 v14, vcc, v19, v16, vcc
	v_addc_co_u32_e32 v11, vcc, 0, v11, vcc
	v_mul_lo_u32 v7, v6, v7
	v_add_co_u32_e32 v7, vcc, v14, v7
	v_addc_co_u32_e32 v11, vcc, 0, v11, vcc
	v_add_co_u32_e32 v3, vcc, v3, v7
	v_addc_co_u32_e32 v11, vcc, v6, v11, vcc
	;; [unrolled: 2-line block ×3, first 2 shown]
	v_xor_b32_e32 v16, v6, v25
	v_xor_b32_e32 v14, v7, v25
	v_mad_u64_u32 v[6:7], s[0:1], v16, v11, 0
	v_mul_hi_u32 v18, v16, v3
	v_add_co_u32_e32 v26, vcc, v18, v6
	v_addc_co_u32_e32 v27, vcc, 0, v7, vcc
	v_mad_u64_u32 v[18:19], s[0:1], v14, v3, 0
	v_add_co_u32_e32 v3, vcc, v26, v18
	v_mad_u64_u32 v[6:7], s[0:1], v14, v11, 0
	v_addc_co_u32_e32 v3, vcc, v27, v19, vcc
	v_addc_co_u32_e32 v7, vcc, 0, v7, vcc
	v_add_co_u32_e32 v3, vcc, v3, v6
	v_addc_co_u32_e32 v11, vcc, 0, v7, vcc
	v_mul_lo_u32 v18, s69, v3
	v_mul_lo_u32 v19, s68, v11
	v_mad_u64_u32 v[6:7], s[0:1], s68, v3, 0
	v_add3_u32 v7, v7, v19, v18
	v_sub_u32_e32 v18, v14, v7
	v_mov_b32_e32 v19, s69
	v_sub_co_u32_e32 v6, vcc, v16, v6
	v_subb_co_u32_e64 v16, s[0:1], v18, v19, vcc
	v_subrev_co_u32_e64 v18, s[0:1], s68, v6
	v_subbrev_co_u32_e64 v16, s[0:1], 0, v16, s[0:1]
	v_cmp_le_u32_e64 s[0:1], s69, v16
	v_cndmask_b32_e64 v19, 0, -1, s[0:1]
	v_cmp_le_u32_e64 s[0:1], s68, v18
	v_cndmask_b32_e64 v18, 0, -1, s[0:1]
	v_cmp_eq_u32_e64 s[0:1], s69, v16
	v_cndmask_b32_e64 v16, v19, v18, s[0:1]
	v_add_co_u32_e64 v18, s[0:1], 2, v3
	v_subb_co_u32_e32 v7, vcc, v14, v7, vcc
	v_addc_co_u32_e64 v19, s[0:1], 0, v11, s[0:1]
	v_cmp_le_u32_e32 vcc, s69, v7
	v_add_co_u32_e64 v26, s[0:1], 1, v3
	v_cndmask_b32_e64 v14, 0, -1, vcc
	v_cmp_le_u32_e32 vcc, s68, v6
	v_addc_co_u32_e64 v27, s[0:1], 0, v11, s[0:1]
	v_cndmask_b32_e64 v6, 0, -1, vcc
	v_cmp_eq_u32_e32 vcc, s69, v7
	v_cmp_ne_u32_e64 s[0:1], 0, v16
	v_cndmask_b32_e32 v6, v14, v6, vcc
	v_cmp_ne_u32_e32 vcc, 0, v6
	v_cndmask_b32_e64 v7, v26, v18, s[0:1]
	v_cndmask_b32_e64 v16, v27, v19, s[0:1]
	v_cndmask_b32_e32 v3, v3, v7, vcc
	v_xor_b32_e32 v7, s66, v25
	v_cndmask_b32_e32 v6, v11, v16, vcc
	v_xor_b32_e32 v3, v3, v7
	v_xor_b32_e32 v11, v6, v7
	v_sub_co_u32_e32 v6, vcc, v3, v7
	v_subb_co_u32_e32 v7, vcc, v11, v7, vcc
.LBB43_37:                              ;   in Loop: Header=BB43_3 Depth=1
	s_andn2_saveexec_b64 s[0:1], s[64:65]
	s_cbranch_execz .LBB43_39
; %bb.38:                               ;   in Loop: Header=BB43_3 Depth=1
	v_cvt_f32_u32_e32 v3, s50
	s_sub_i32 s64, 0, s50
	v_rcp_iflag_f32_e32 v3, v3
	v_mul_f32_e32 v3, 0x4f7ffffe, v3
	v_cvt_u32_f32_e32 v3, v3
	v_mul_lo_u32 v6, s64, v3
	v_mul_hi_u32 v6, v3, v6
	v_add_u32_e32 v3, v3, v6
	v_mul_hi_u32 v3, v0, v3
	v_mul_lo_u32 v6, v3, s50
	v_sub_u32_e32 v6, v0, v6
	v_add_u32_e32 v7, 1, v3
	v_subrev_u32_e32 v11, s50, v6
	v_cmp_le_u32_e32 vcc, s50, v6
	v_cndmask_b32_e32 v6, v6, v11, vcc
	v_cndmask_b32_e32 v3, v3, v7, vcc
	v_add_u32_e32 v7, 1, v3
	v_cmp_le_u32_e32 vcc, s50, v6
	v_cndmask_b32_e32 v6, v3, v7, vcc
	v_mov_b32_e32 v7, v2
.LBB43_39:                              ;   in Loop: Header=BB43_3 Depth=1
	s_or_b64 exec, exec, s[0:1]
	s_andn2_b64 vcc, exec, s[58:59]
	v_mov_b32_e32 v16, 0
	v_mov_b32_e32 v14, 0
	;; [unrolled: 1-line block ×6, first 2 shown]
	s_cbranch_vccnz .LBB43_41
; %bb.40:                               ;   in Loop: Header=BB43_3 Depth=1
	v_mad_u64_u32 v[26:27], s[0:1], s71, v4, v[0:1]
	v_mul_lo_u32 v3, s71, v5
	v_mul_lo_u32 v11, s72, v4
	v_add3_u32 v14, v11, v27, v3
	v_mul_lo_u32 v3, v26, s39
	v_mul_lo_u32 v11, v14, s38
	v_mad_u64_u32 v[18:19], s[0:1], v26, s38, 0
	v_add3_u32 v19, v19, v3, v11
	v_lshlrev_b64 v[18:19], 1, v[18:19]
	v_mov_b32_e32 v3, s37
	v_add_co_u32_e32 v18, vcc, s36, v18
	v_addc_co_u32_e32 v19, vcc, v3, v19, vcc
	v_sub_co_u32_e32 v11, vcc, 1, v4
	v_subb_co_u32_e32 v16, vcc, 0, v5, vcc
	v_mul_lo_u32 v16, s8, v16
	v_mul_lo_u32 v25, s9, v11
	v_mad_u64_u32 v[28:29], s[0:1], s8, v11, v[0:1]
	v_add3_u32 v16, v25, v29, v16
	v_mul_lo_u32 v11, v16, s38
	v_mul_lo_u32 v25, v28, s39
	v_mad_u64_u32 v[30:31], s[0:1], v28, s38, 0
	v_add3_u32 v31, v31, v25, v11
	v_lshlrev_b64 v[30:31], 1, v[30:31]
	v_add_co_u32_e32 v30, vcc, s36, v30
	v_addc_co_u32_e32 v31, vcc, v3, v31, vcc
	v_sub_co_u32_e32 v11, vcc, 2, v4
	v_subb_co_u32_e32 v25, vcc, 0, v5, vcc
	v_mul_lo_u32 v25, s8, v25
	v_mul_lo_u32 v27, s9, v11
	v_mad_u64_u32 v[32:33], s[0:1], s8, v11, v[0:1]
	v_add3_u32 v25, v27, v33, v25
	v_mul_lo_u32 v11, v25, s38
	v_mul_lo_u32 v27, v32, s39
	v_mad_u64_u32 v[34:35], s[0:1], v32, s38, 0
	v_add3_u32 v35, v35, v27, v11
	v_lshlrev_b64 v[34:35], 1, v[34:35]
	v_add_co_u32_e32 v34, vcc, s36, v34
	v_addc_co_u32_e32 v35, vcc, v3, v35, vcc
	global_load_ushort v18, v[18:19], off
	s_nop 0
	global_load_ushort v3, v[30:31], off
	global_load_ushort v11, v[34:35], off
	v_mul_lo_u32 v19, v26, s43
	v_mul_lo_u32 v14, v14, s42
	v_mad_u64_u32 v[26:27], s[0:1], v26, s42, 0
	v_add3_u32 v27, v27, v19, v14
	v_lshlrev_b64 v[26:27], 1, v[26:27]
	v_mul_lo_u32 v16, v16, s42
	v_mul_lo_u32 v19, v28, s43
	v_mad_u64_u32 v[28:29], s[0:1], v28, s42, 0
	v_mov_b32_e32 v14, s41
	v_add_co_u32_e32 v26, vcc, s40, v26
	v_add3_u32 v29, v29, v19, v16
	v_addc_co_u32_e32 v27, vcc, v14, v27, vcc
	v_lshlrev_b64 v[28:29], 1, v[28:29]
	v_mul_lo_u32 v16, v25, s42
	v_mul_lo_u32 v19, v32, s43
	v_mad_u64_u32 v[30:31], s[0:1], v32, s42, 0
	v_add_co_u32_e32 v28, vcc, s40, v28
	v_add3_u32 v31, v31, v19, v16
	v_addc_co_u32_e32 v29, vcc, v14, v29, vcc
	v_lshlrev_b64 v[30:31], 1, v[30:31]
	v_add_co_u32_e32 v30, vcc, s40, v30
	v_addc_co_u32_e32 v31, vcc, v14, v31, vcc
	global_load_ushort v19, v[26:27], off
	global_load_ushort v14, v[28:29], off
	;; [unrolled: 1-line block ×3, first 2 shown]
.LBB43_41:                              ;   in Loop: Header=BB43_3 Depth=1
	s_waitcnt vmcnt(6)
	v_cvt_f32_f16_e32 v13, v13
	s_waitcnt vmcnt(3)
	v_cvt_f32_f16_e32 v12, v12
	v_cvt_f32_f16_e32 v18, v18
	s_waitcnt vmcnt(2)
	v_cvt_f32_f16_e32 v19, v19
	v_cvt_f32_f16_e32 v17, v17
	v_add_f32_e32 v12, v13, v12
	v_add_f32_e32 v12, v12, v18
	;; [unrolled: 1-line block ×3, first 2 shown]
	v_mul_f32_e32 v13, 0xbfb8aa3b, v12
	v_fma_f32 v18, v12, s77, -v13
	v_rndne_f32_e32 v19, v13
	v_fmac_f32_e32 v18, 0xb2a5705f, v12
	v_sub_f32_e32 v13, v13, v19
	v_add_f32_e32 v13, v13, v18
	v_cvt_i32_f32_e32 v18, v19
	v_exp_f32_e32 v13, v13
	v_cmp_nlt_f32_e32 vcc, s78, v12
	v_cvt_f32_f16_e32 v11, v11
	s_waitcnt vmcnt(1)
	v_cvt_f32_f16_e32 v9, v9
	v_ldexp_f32 v13, v13, v18
	v_cndmask_b32_e32 v13, 0, v13, vcc
	v_cmp_ngt_f32_e32 vcc, s79, v12
	v_cndmask_b32_e32 v12, v24, v13, vcc
	v_add_f32_e32 v12, 1.0, v12
	v_div_scale_f32 v13, s[0:1], v12, v12, 1.0
	v_rcp_f32_e32 v18, v13
	v_fma_f32 v19, -v13, v18, 1.0
	v_fmac_f32_e32 v18, v19, v18
	v_div_scale_f32 v19, vcc, 1.0, v12, 1.0
	v_mul_f32_e32 v25, v19, v18
	v_fma_f32 v26, -v13, v25, v19
	v_fmac_f32_e32 v25, v26, v18
	v_fma_f32 v13, -v13, v25, v19
	s_waitcnt vmcnt(0)
	v_cvt_f32_f16_e32 v19, v16
	v_div_fmas_f32 v13, v13, v18, v25
	v_div_fixup_f32 v16, v13, v12, 1.0
	v_add_f32_e32 v12, v17, v11
	v_add_f32_e32 v11, v9, v19
	v_fmac_f32_e32 v12, v11, v16
	v_cmp_nlt_f32_e64 s[0:1], |v12|, s80
                                        ; implicit-def: $vgpr13
	s_and_saveexec_b64 s[64:65], s[0:1]
	s_xor_b64 s[0:1], exec, s[64:65]
	s_cbranch_execz .LBB43_43
; %bb.42:                               ;   in Loop: Header=BB43_3 Depth=1
	v_add_f32_e64 v9, |v12|, |v12|
	v_mul_f32_e32 v13, 0x3fb8aa3b, v9
	v_rndne_f32_e32 v17, v13
	v_sub_f32_e32 v18, v13, v17
	v_fma_f32 v13, v9, s81, -v13
	v_fmac_f32_e32 v13, 0x32a5705f, v9
	v_add_f32_e32 v13, v18, v13
	v_cvt_i32_f32_e32 v17, v17
	v_exp_f32_e32 v13, v13
	v_cmp_ngt_f32_e32 vcc, s82, v9
	v_ldexp_f32 v13, v13, v17
	v_cndmask_b32_e32 v13, 0, v13, vcc
	v_cmp_nlt_f32_e32 vcc, s83, v9
	v_cndmask_b32_e32 v9, v24, v13, vcc
	v_add_f32_e32 v9, 1.0, v9
	v_rcp_f32_e32 v9, v9
	v_fma_f32 v13, v9, -2.0, 1.0
.LBB43_43:                              ;   in Loop: Header=BB43_3 Depth=1
	s_andn2_saveexec_b64 s[0:1], s[0:1]
; %bb.44:                               ;   in Loop: Header=BB43_3 Depth=1
	v_mul_f32_e32 v9, v12, v12
	v_mov_b32_e32 v13, 0x3ca908c9
	v_fmac_f32_e32 v13, 0xbbbac73d, v9
	v_fma_f32 v13, v9, v13, v20
	v_fma_f32 v13, v9, v13, v21
	;; [unrolled: 1-line block ×3, first 2 shown]
	v_mul_f32_e64 v13, |v12|, v13
	v_fma_f32 v13, v9, v13, |v12|
; %bb.45:                               ;   in Loop: Header=BB43_3 Depth=1
	s_or_b64 exec, exec, s[0:1]
	v_cvt_f32_f16_e32 v9, v15
	v_cvt_f32_f16_e32 v8, v8
	v_cvt_f32_f16_e32 v3, v3
	v_cvt_f32_f16_e32 v14, v14
	v_bfi_b32 v13, s84, v13, v12
	v_add_f32_e32 v8, v9, v8
	v_add_f32_e32 v3, v8, v3
	;; [unrolled: 1-line block ×3, first 2 shown]
	v_mul_f32_e32 v8, 0xbfb8aa3b, v3
	v_fma_f32 v9, v3, s77, -v8
	v_rndne_f32_e32 v14, v8
	v_fmac_f32_e32 v9, 0xb2a5705f, v3
	v_sub_f32_e32 v8, v8, v14
	v_add_f32_e32 v8, v8, v9
	v_exp_f32_e32 v8, v8
	v_cvt_i32_f32_e32 v9, v14
	v_cmp_nlt_f32_e32 vcc, s78, v3
	v_mul_lo_u32 v15, s63, v4
	v_mul_lo_u32 v17, s62, v5
	v_ldexp_f32 v8, v8, v9
	v_cndmask_b32_e32 v8, 0, v8, vcc
	v_cmp_ngt_f32_e32 vcc, s79, v3
	v_cndmask_b32_e32 v3, v24, v8, vcc
	v_add_f32_e32 v3, 1.0, v3
	v_div_scale_f32 v14, s[0:1], v3, v3, 1.0
	v_rcp_f32_e32 v18, v14
	v_mad_u64_u32 v[8:9], s[0:1], s62, v4, v[0:1]
	v_add3_u32 v9, v15, v9, v17
	v_fma_f32 v19, -v14, v18, 1.0
	v_fmac_f32_e32 v18, v19, v18
	v_div_scale_f32 v19, vcc, 1.0, v3, 1.0
	v_mul_f32_e32 v25, v19, v18
	v_fma_f32 v26, -v14, v25, v19
	v_fmac_f32_e32 v25, v26, v18
	v_fma_f32 v14, -v14, v25, v19
	v_div_fmas_f32 v14, v14, v18, v25
	v_div_fixup_f32 v14, v14, v3, 1.0
	v_mad_u64_u32 v[18:19], s[0:1], s75, v6, v[0:1]
	v_mul_lo_u32 v3, s75, v7
	v_mul_lo_u32 v25, s76, v6
	v_add3_u32 v3, v25, v19, v3
	v_mul_lo_u32 v25, v18, s27
	v_mul_lo_u32 v3, v3, s26
	v_mad_u64_u32 v[18:19], s[0:1], v18, s26, 0
	v_add3_u32 v19, v19, v25, v3
	v_mul_lo_u32 v3, v7, s24
	v_mul_lo_u32 v25, v6, s25
	v_mad_u64_u32 v[6:7], s[0:1], v6, s24, 0
	v_add3_u32 v7, v7, v25, v3
	v_lshlrev_b64 v[6:7], 1, v[6:7]
	v_mov_b32_e32 v3, s49
	v_add_co_u32_e32 v25, vcc, s48, v6
	v_addc_co_u32_e32 v3, vcc, v3, v7, vcc
	v_lshlrev_b64 v[6:7], 1, v[18:19]
	v_cvt_f32_f16_e32 v18, v10
	v_add_co_u32_e32 v6, vcc, v25, v6
	v_addc_co_u32_e32 v7, vcc, v3, v7, vcc
	v_sub_f32_e32 v3, v18, v13
	v_fma_mixlo_f16 v3, v14, v3, v13
	global_store_short v[6:7], v3, off
	v_or_b32_e32 v3, s55, v9
	v_cmp_ne_u64_e32 vcc, 0, v[2:3]
                                        ; implicit-def: $vgpr6_vgpr7
	s_and_saveexec_b64 s[0:1], vcc
	s_xor_b64 s[64:65], exec, s[0:1]
	s_cbranch_execz .LBB43_47
; %bb.46:                               ;   in Loop: Header=BB43_3 Depth=1
	s_ashr_i32 s66, s55, 31
	s_add_u32 s0, s54, s66
	s_mov_b32 s67, s66
	s_addc_u32 s1, s55, s66
	s_xor_b64 s[68:69], s[0:1], s[66:67]
	v_cvt_f32_u32_e32 v3, s68
	v_cvt_f32_u32_e32 v6, s69
	s_sub_u32 s0, 0, s68
	s_subb_u32 s1, 0, s69
	v_mac_f32_e32 v3, 0x4f800000, v6
	v_rcp_f32_e32 v3, v3
	v_mul_f32_e32 v3, 0x5f7ffffc, v3
	v_mul_f32_e32 v6, 0x2f800000, v3
	v_trunc_f32_e32 v6, v6
	v_mac_f32_e32 v3, 0xcf800000, v6
	v_cvt_u32_f32_e32 v6, v6
	v_cvt_u32_f32_e32 v3, v3
	v_mul_lo_u32 v7, s0, v6
	v_mul_hi_u32 v18, s0, v3
	v_mul_lo_u32 v12, s1, v3
	v_add_u32_e32 v7, v18, v7
	v_mul_lo_u32 v19, s0, v3
	v_add_u32_e32 v7, v7, v12
	v_mul_lo_u32 v18, v3, v7
	v_mul_hi_u32 v25, v3, v19
	v_mul_hi_u32 v12, v3, v7
	v_add_co_u32_e32 v18, vcc, v25, v18
	v_addc_co_u32_e32 v12, vcc, 0, v12, vcc
	v_mul_hi_u32 v26, v6, v19
	v_mul_lo_u32 v19, v6, v19
	v_add_co_u32_e32 v18, vcc, v18, v19
	v_mul_hi_u32 v25, v6, v7
	v_addc_co_u32_e32 v12, vcc, v12, v26, vcc
	v_addc_co_u32_e32 v18, vcc, 0, v25, vcc
	v_mul_lo_u32 v7, v6, v7
	v_add_co_u32_e32 v7, vcc, v12, v7
	v_addc_co_u32_e32 v12, vcc, 0, v18, vcc
	v_add_co_u32_e32 v3, vcc, v3, v7
	v_addc_co_u32_e32 v6, vcc, v6, v12, vcc
	v_mul_lo_u32 v7, s0, v6
	v_mul_hi_u32 v12, s0, v3
	v_add_u32_e32 v7, v12, v7
	v_mul_lo_u32 v12, s1, v3
	v_add_u32_e32 v7, v7, v12
	v_mul_lo_u32 v18, s0, v3
	v_mul_hi_u32 v19, v6, v18
	v_mul_lo_u32 v25, v6, v18
	v_mul_lo_u32 v27, v3, v7
	v_mul_hi_u32 v18, v3, v18
	v_mul_hi_u32 v26, v3, v7
	v_add_co_u32_e32 v18, vcc, v18, v27
	v_addc_co_u32_e32 v26, vcc, 0, v26, vcc
	v_add_co_u32_e32 v18, vcc, v18, v25
	v_mul_hi_u32 v12, v6, v7
	v_addc_co_u32_e32 v18, vcc, v26, v19, vcc
	v_addc_co_u32_e32 v12, vcc, 0, v12, vcc
	v_mul_lo_u32 v7, v6, v7
	v_add_co_u32_e32 v7, vcc, v18, v7
	v_addc_co_u32_e32 v12, vcc, 0, v12, vcc
	v_add_co_u32_e32 v3, vcc, v3, v7
	v_addc_co_u32_e32 v12, vcc, v6, v12, vcc
	v_ashrrev_i32_e32 v18, 31, v9
	v_add_co_u32_e32 v6, vcc, v8, v18
	v_addc_co_u32_e32 v7, vcc, v9, v18, vcc
	v_xor_b32_e32 v25, v6, v18
	v_xor_b32_e32 v19, v7, v18
	v_mad_u64_u32 v[6:7], s[0:1], v25, v12, 0
	v_mul_hi_u32 v8, v25, v3
	v_add_co_u32_e32 v26, vcc, v8, v6
	v_addc_co_u32_e32 v27, vcc, 0, v7, vcc
	v_mad_u64_u32 v[8:9], s[0:1], v19, v3, 0
	v_add_co_u32_e32 v3, vcc, v26, v8
	v_mad_u64_u32 v[6:7], s[0:1], v19, v12, 0
	v_addc_co_u32_e32 v3, vcc, v27, v9, vcc
	v_addc_co_u32_e32 v7, vcc, 0, v7, vcc
	v_add_co_u32_e32 v3, vcc, v3, v6
	v_addc_co_u32_e32 v8, vcc, 0, v7, vcc
	v_mul_lo_u32 v9, s69, v3
	v_mul_lo_u32 v12, s68, v8
	v_mad_u64_u32 v[6:7], s[0:1], s68, v3, 0
	v_add3_u32 v7, v7, v12, v9
	v_sub_u32_e32 v9, v19, v7
	v_mov_b32_e32 v12, s69
	v_sub_co_u32_e32 v6, vcc, v25, v6
	v_subb_co_u32_e64 v9, s[0:1], v9, v12, vcc
	v_subrev_co_u32_e64 v12, s[0:1], s68, v6
	v_subbrev_co_u32_e64 v9, s[0:1], 0, v9, s[0:1]
	v_cmp_le_u32_e64 s[0:1], s69, v9
	v_cndmask_b32_e64 v25, 0, -1, s[0:1]
	v_cmp_le_u32_e64 s[0:1], s68, v12
	v_cndmask_b32_e64 v12, 0, -1, s[0:1]
	v_cmp_eq_u32_e64 s[0:1], s69, v9
	v_cndmask_b32_e64 v9, v25, v12, s[0:1]
	v_add_co_u32_e64 v12, s[0:1], 2, v3
	v_subb_co_u32_e32 v7, vcc, v19, v7, vcc
	v_addc_co_u32_e64 v25, s[0:1], 0, v8, s[0:1]
	v_cmp_le_u32_e32 vcc, s69, v7
	v_add_co_u32_e64 v26, s[0:1], 1, v3
	v_cndmask_b32_e64 v19, 0, -1, vcc
	v_cmp_le_u32_e32 vcc, s68, v6
	v_addc_co_u32_e64 v27, s[0:1], 0, v8, s[0:1]
	v_cndmask_b32_e64 v6, 0, -1, vcc
	v_cmp_eq_u32_e32 vcc, s69, v7
	v_cmp_ne_u32_e64 s[0:1], 0, v9
	v_cndmask_b32_e32 v6, v19, v6, vcc
	v_cmp_ne_u32_e32 vcc, 0, v6
	v_cndmask_b32_e64 v7, v26, v12, s[0:1]
	v_cndmask_b32_e64 v9, v27, v25, s[0:1]
	v_cndmask_b32_e32 v3, v3, v7, vcc
	v_xor_b32_e32 v7, s66, v18
	v_cndmask_b32_e32 v6, v8, v9, vcc
	v_xor_b32_e32 v3, v3, v7
	v_xor_b32_e32 v8, v6, v7
	v_sub_co_u32_e32 v6, vcc, v3, v7
	v_subb_co_u32_e32 v7, vcc, v8, v7, vcc
                                        ; implicit-def: $vgpr8_vgpr9
.LBB43_47:                              ;   in Loop: Header=BB43_3 Depth=1
	s_or_saveexec_b64 s[0:1], s[64:65]
	v_cvt_f32_u32_e32 v12, s54
	s_xor_b64 exec, exec, s[0:1]
	s_cbranch_execz .LBB43_49
; %bb.48:                               ;   in Loop: Header=BB43_3 Depth=1
	v_rcp_iflag_f32_e32 v3, v12
	s_sub_i32 s64, 0, s54
	v_mul_f32_e32 v3, 0x4f7ffffe, v3
	v_cvt_u32_f32_e32 v3, v3
	v_mul_lo_u32 v6, s64, v3
	v_mul_hi_u32 v6, v3, v6
	v_add_u32_e32 v3, v3, v6
	v_mul_hi_u32 v3, v8, v3
	v_mul_lo_u32 v6, v3, s54
	v_sub_u32_e32 v6, v8, v6
	v_add_u32_e32 v7, 1, v3
	v_subrev_u32_e32 v8, s54, v6
	v_cmp_le_u32_e32 vcc, s54, v6
	v_cndmask_b32_e32 v6, v6, v8, vcc
	v_cndmask_b32_e32 v3, v3, v7, vcc
	v_add_u32_e32 v7, 1, v3
	v_cmp_le_u32_e32 vcc, s54, v6
	v_cndmask_b32_e32 v6, v3, v7, vcc
	v_mov_b32_e32 v7, v2
.LBB43_49:                              ;   in Loop: Header=BB43_3 Depth=1
	s_or_b64 exec, exec, s[0:1]
	v_mad_u64_u32 v[8:9], s[0:1], s62, v4, 0
	v_add3_u32 v3, v9, v17, v15
	v_cvt_f16_f32_e32 v15, v16
	v_mul_lo_u32 v9, v7, s54
	v_mul_lo_u32 v18, v6, s55
	v_mad_u64_u32 v[16:17], s[0:1], v6, s54, 0
	v_add3_u32 v9, v17, v18, v9
	v_sub_co_u32_e32 v8, vcc, v8, v16
	v_subb_co_u32_e32 v3, vcc, v3, v9, vcc
	v_add_co_u32_e32 v8, vcc, v0, v8
	v_addc_co_u32_e32 v3, vcc, v1, v3, vcc
	v_mul_lo_u32 v3, v3, s6
	v_mul_lo_u32 v16, v8, s7
	v_mad_u64_u32 v[8:9], s[0:1], v8, s6, 0
	v_add3_u32 v9, v9, v16, v3
	v_mul_lo_u32 v3, v7, s4
	v_mul_lo_u32 v16, v6, s5
	v_mad_u64_u32 v[6:7], s[0:1], v6, s4, 0
	v_add3_u32 v7, v7, v16, v3
	v_lshlrev_b64 v[6:7], 1, v[6:7]
	v_mov_b32_e32 v3, s53
	v_add_co_u32_e32 v16, vcc, s52, v6
	v_addc_co_u32_e32 v3, vcc, v3, v7, vcc
	v_lshlrev_b64 v[6:7], 1, v[8:9]
	v_add_co_u32_e32 v6, vcc, v16, v6
	v_addc_co_u32_e32 v7, vcc, v3, v7, vcc
	v_lshlrev_b64 v[4:5], 2, v[4:5]
	global_store_short v[6:7], v15, off
	v_or_b32_e32 v15, 1, v4
	v_mul_lo_u32 v16, s9, v15
	v_mul_lo_u32 v17, s8, v5
	v_mad_u64_u32 v[6:7], s[0:1], s8, v15, v[0:1]
	v_add3_u32 v7, v16, v7, v17
	v_or_b32_e32 v3, s55, v7
	v_cmp_ne_u64_e32 vcc, 0, v[2:3]
                                        ; implicit-def: $vgpr8_vgpr9
	s_and_saveexec_b64 s[0:1], vcc
	s_xor_b64 s[64:65], exec, s[0:1]
	s_cbranch_execz .LBB43_51
; %bb.50:                               ;   in Loop: Header=BB43_3 Depth=1
	s_ashr_i32 s66, s55, 31
	s_add_u32 s0, s54, s66
	s_mov_b32 s67, s66
	s_addc_u32 s1, s55, s66
	s_xor_b64 s[68:69], s[0:1], s[66:67]
	v_cvt_f32_u32_e32 v3, s68
	v_cvt_f32_u32_e32 v8, s69
	s_sub_u32 s0, 0, s68
	s_subb_u32 s1, 0, s69
	v_mac_f32_e32 v3, 0x4f800000, v8
	v_rcp_f32_e32 v3, v3
	v_mul_f32_e32 v3, 0x5f7ffffc, v3
	v_mul_f32_e32 v8, 0x2f800000, v3
	v_trunc_f32_e32 v8, v8
	v_mac_f32_e32 v3, 0xcf800000, v8
	v_cvt_u32_f32_e32 v8, v8
	v_cvt_u32_f32_e32 v3, v3
	v_mul_lo_u32 v9, s0, v8
	v_mul_hi_u32 v19, s0, v3
	v_mul_lo_u32 v18, s1, v3
	v_add_u32_e32 v9, v19, v9
	v_mul_lo_u32 v25, s0, v3
	v_add_u32_e32 v9, v9, v18
	v_mul_lo_u32 v19, v3, v9
	v_mul_hi_u32 v26, v3, v25
	v_mul_hi_u32 v18, v3, v9
	v_add_co_u32_e32 v19, vcc, v26, v19
	v_addc_co_u32_e32 v18, vcc, 0, v18, vcc
	v_mul_hi_u32 v27, v8, v25
	v_mul_lo_u32 v25, v8, v25
	v_add_co_u32_e32 v19, vcc, v19, v25
	v_mul_hi_u32 v26, v8, v9
	v_addc_co_u32_e32 v18, vcc, v18, v27, vcc
	v_addc_co_u32_e32 v19, vcc, 0, v26, vcc
	v_mul_lo_u32 v9, v8, v9
	v_add_co_u32_e32 v9, vcc, v18, v9
	v_addc_co_u32_e32 v18, vcc, 0, v19, vcc
	v_add_co_u32_e32 v3, vcc, v3, v9
	v_addc_co_u32_e32 v8, vcc, v8, v18, vcc
	v_mul_lo_u32 v9, s0, v8
	v_mul_hi_u32 v18, s0, v3
	v_add_u32_e32 v9, v18, v9
	v_mul_lo_u32 v18, s1, v3
	v_add_u32_e32 v9, v9, v18
	v_mul_lo_u32 v19, s0, v3
	v_mul_hi_u32 v25, v8, v19
	v_mul_lo_u32 v26, v8, v19
	v_mul_lo_u32 v28, v3, v9
	v_mul_hi_u32 v19, v3, v19
	v_mul_hi_u32 v27, v3, v9
	v_add_co_u32_e32 v19, vcc, v19, v28
	v_addc_co_u32_e32 v27, vcc, 0, v27, vcc
	v_add_co_u32_e32 v19, vcc, v19, v26
	v_mul_hi_u32 v18, v8, v9
	v_addc_co_u32_e32 v19, vcc, v27, v25, vcc
	v_addc_co_u32_e32 v18, vcc, 0, v18, vcc
	v_mul_lo_u32 v9, v8, v9
	v_add_co_u32_e32 v9, vcc, v19, v9
	v_addc_co_u32_e32 v18, vcc, 0, v18, vcc
	v_add_co_u32_e32 v3, vcc, v3, v9
	v_addc_co_u32_e32 v8, vcc, v8, v18, vcc
	v_ashrrev_i32_e32 v18, 31, v7
	v_add_co_u32_e32 v6, vcc, v6, v18
	v_addc_co_u32_e32 v7, vcc, v7, v18, vcc
	v_xor_b32_e32 v25, v6, v18
	v_xor_b32_e32 v19, v7, v18
	v_mad_u64_u32 v[6:7], s[0:1], v25, v8, 0
	v_mul_hi_u32 v9, v25, v3
	v_add_co_u32_e32 v26, vcc, v9, v6
	v_addc_co_u32_e32 v27, vcc, 0, v7, vcc
	v_mad_u64_u32 v[6:7], s[0:1], v19, v8, 0
	v_mad_u64_u32 v[8:9], s[0:1], v19, v3, 0
	v_add_co_u32_e32 v3, vcc, v26, v8
	v_addc_co_u32_e32 v3, vcc, v27, v9, vcc
	v_addc_co_u32_e32 v7, vcc, 0, v7, vcc
	v_add_co_u32_e32 v3, vcc, v3, v6
	v_addc_co_u32_e32 v8, vcc, 0, v7, vcc
	v_mul_lo_u32 v9, s69, v3
	v_mul_lo_u32 v26, s68, v8
	v_mad_u64_u32 v[6:7], s[0:1], s68, v3, 0
	v_add3_u32 v7, v7, v26, v9
	v_sub_u32_e32 v9, v19, v7
	v_mov_b32_e32 v26, s69
	v_sub_co_u32_e32 v6, vcc, v25, v6
	v_subb_co_u32_e64 v9, s[0:1], v9, v26, vcc
	v_subrev_co_u32_e64 v25, s[0:1], s68, v6
	v_subbrev_co_u32_e64 v9, s[0:1], 0, v9, s[0:1]
	v_cmp_le_u32_e64 s[0:1], s69, v9
	v_cndmask_b32_e64 v26, 0, -1, s[0:1]
	v_cmp_le_u32_e64 s[0:1], s68, v25
	v_cndmask_b32_e64 v25, 0, -1, s[0:1]
	v_cmp_eq_u32_e64 s[0:1], s69, v9
	v_cndmask_b32_e64 v9, v26, v25, s[0:1]
	v_add_co_u32_e64 v25, s[0:1], 2, v3
	v_subb_co_u32_e32 v7, vcc, v19, v7, vcc
	v_addc_co_u32_e64 v26, s[0:1], 0, v8, s[0:1]
	v_cmp_le_u32_e32 vcc, s69, v7
	v_add_co_u32_e64 v27, s[0:1], 1, v3
	v_cndmask_b32_e64 v19, 0, -1, vcc
	v_cmp_le_u32_e32 vcc, s68, v6
	v_addc_co_u32_e64 v28, s[0:1], 0, v8, s[0:1]
	v_cndmask_b32_e64 v6, 0, -1, vcc
	v_cmp_eq_u32_e32 vcc, s69, v7
	v_cmp_ne_u32_e64 s[0:1], 0, v9
	v_cndmask_b32_e32 v6, v19, v6, vcc
	v_cmp_ne_u32_e32 vcc, 0, v6
	v_cndmask_b32_e64 v7, v27, v25, s[0:1]
	v_cndmask_b32_e64 v9, v28, v26, s[0:1]
	v_cndmask_b32_e32 v3, v3, v7, vcc
	v_xor_b32_e32 v7, s66, v18
	v_cndmask_b32_e32 v6, v8, v9, vcc
	v_xor_b32_e32 v3, v3, v7
	v_xor_b32_e32 v6, v6, v7
	v_sub_co_u32_e32 v8, vcc, v3, v7
	v_subb_co_u32_e32 v9, vcc, v6, v7, vcc
                                        ; implicit-def: $vgpr6_vgpr7
.LBB43_51:                              ;   in Loop: Header=BB43_3 Depth=1
	s_andn2_saveexec_b64 s[0:1], s[64:65]
	s_cbranch_execz .LBB43_53
; %bb.52:                               ;   in Loop: Header=BB43_3 Depth=1
	v_rcp_iflag_f32_e32 v3, v12
	s_sub_i32 s64, 0, s54
	v_mov_b32_e32 v9, v2
	v_mul_f32_e32 v3, 0x4f7ffffe, v3
	v_cvt_u32_f32_e32 v3, v3
	v_mul_lo_u32 v7, s64, v3
	v_mul_hi_u32 v7, v3, v7
	v_add_u32_e32 v3, v3, v7
	v_mul_hi_u32 v3, v6, v3
	v_mul_lo_u32 v7, v3, s54
	v_sub_u32_e32 v6, v6, v7
	v_add_u32_e32 v8, 1, v3
	v_subrev_u32_e32 v7, s54, v6
	v_cmp_le_u32_e32 vcc, s54, v6
	v_cndmask_b32_e32 v6, v6, v7, vcc
	v_cndmask_b32_e32 v3, v3, v8, vcc
	v_add_u32_e32 v7, 1, v3
	v_cmp_le_u32_e32 vcc, s54, v6
	v_cndmask_b32_e32 v8, v3, v7, vcc
.LBB43_53:                              ;   in Loop: Header=BB43_3 Depth=1
	s_or_b64 exec, exec, s[0:1]
	v_mad_u64_u32 v[6:7], s[0:1], s8, v15, 0
	v_add3_u32 v3, v7, v17, v16
	v_cvt_f16_f32_e32 v16, v14
	v_mul_lo_u32 v7, v9, s54
	v_mul_lo_u32 v17, v8, s55
	v_mad_u64_u32 v[14:15], s[0:1], v8, s54, 0
	v_add3_u32 v7, v15, v17, v7
	v_sub_co_u32_e32 v6, vcc, v6, v14
	v_subb_co_u32_e32 v3, vcc, v3, v7, vcc
	v_add_co_u32_e32 v6, vcc, v0, v6
	v_addc_co_u32_e32 v3, vcc, v1, v3, vcc
	v_mul_lo_u32 v3, v3, s6
	v_mul_lo_u32 v14, v6, s7
	v_mad_u64_u32 v[6:7], s[0:1], v6, s6, 0
	v_add3_u32 v7, v7, v14, v3
	v_mul_lo_u32 v3, v9, s4
	v_mul_lo_u32 v14, v8, s5
	v_mad_u64_u32 v[8:9], s[0:1], v8, s4, 0
	v_add3_u32 v9, v9, v14, v3
	v_lshlrev_b64 v[8:9], 1, v[8:9]
	v_mov_b32_e32 v3, s53
	v_add_co_u32_e32 v8, vcc, s52, v8
	v_addc_co_u32_e32 v3, vcc, v3, v9, vcc
	v_lshlrev_b64 v[6:7], 1, v[6:7]
	v_add_co_u32_e32 v6, vcc, v8, v6
	v_addc_co_u32_e32 v7, vcc, v3, v7, vcc
	v_add_co_u32_e32 v14, vcc, 2, v4
	v_addc_co_u32_e32 v3, vcc, 0, v5, vcc
	global_store_short v[6:7], v16, off
	v_mul_lo_u32 v15, s9, v14
	v_mul_lo_u32 v16, s8, v3
	v_mad_u64_u32 v[6:7], s[0:1], s8, v14, v[0:1]
	v_add3_u32 v7, v15, v7, v16
	v_or_b32_e32 v3, s55, v7
	v_cmp_ne_u64_e32 vcc, 0, v[2:3]
                                        ; implicit-def: $vgpr8_vgpr9
	s_and_saveexec_b64 s[0:1], vcc
	s_xor_b64 s[64:65], exec, s[0:1]
	s_cbranch_execz .LBB43_55
; %bb.54:                               ;   in Loop: Header=BB43_3 Depth=1
	s_ashr_i32 s66, s55, 31
	s_add_u32 s0, s54, s66
	s_mov_b32 s67, s66
	s_addc_u32 s1, s55, s66
	s_xor_b64 s[68:69], s[0:1], s[66:67]
	v_cvt_f32_u32_e32 v3, s68
	v_cvt_f32_u32_e32 v8, s69
	s_sub_u32 s0, 0, s68
	s_subb_u32 s1, 0, s69
	v_mac_f32_e32 v3, 0x4f800000, v8
	v_rcp_f32_e32 v3, v3
	v_mul_f32_e32 v3, 0x5f7ffffc, v3
	v_mul_f32_e32 v8, 0x2f800000, v3
	v_trunc_f32_e32 v8, v8
	v_mac_f32_e32 v3, 0xcf800000, v8
	v_cvt_u32_f32_e32 v8, v8
	v_cvt_u32_f32_e32 v3, v3
	v_mul_lo_u32 v9, s0, v8
	v_mul_hi_u32 v18, s0, v3
	v_mul_lo_u32 v17, s1, v3
	v_add_u32_e32 v9, v18, v9
	v_mul_lo_u32 v19, s0, v3
	v_add_u32_e32 v9, v9, v17
	v_mul_lo_u32 v18, v3, v9
	v_mul_hi_u32 v25, v3, v19
	v_mul_hi_u32 v17, v3, v9
	v_add_co_u32_e32 v18, vcc, v25, v18
	v_addc_co_u32_e32 v17, vcc, 0, v17, vcc
	v_mul_hi_u32 v26, v8, v19
	v_mul_lo_u32 v19, v8, v19
	v_add_co_u32_e32 v18, vcc, v18, v19
	v_mul_hi_u32 v25, v8, v9
	v_addc_co_u32_e32 v17, vcc, v17, v26, vcc
	v_addc_co_u32_e32 v18, vcc, 0, v25, vcc
	v_mul_lo_u32 v9, v8, v9
	v_add_co_u32_e32 v9, vcc, v17, v9
	v_addc_co_u32_e32 v17, vcc, 0, v18, vcc
	v_add_co_u32_e32 v3, vcc, v3, v9
	v_addc_co_u32_e32 v8, vcc, v8, v17, vcc
	v_mul_lo_u32 v9, s0, v8
	v_mul_hi_u32 v17, s0, v3
	v_add_u32_e32 v9, v17, v9
	v_mul_lo_u32 v17, s1, v3
	v_add_u32_e32 v9, v9, v17
	v_mul_lo_u32 v18, s0, v3
	v_mul_hi_u32 v19, v8, v18
	v_mul_lo_u32 v25, v8, v18
	v_mul_lo_u32 v27, v3, v9
	v_mul_hi_u32 v18, v3, v18
	v_mul_hi_u32 v26, v3, v9
	v_add_co_u32_e32 v18, vcc, v18, v27
	v_addc_co_u32_e32 v26, vcc, 0, v26, vcc
	v_add_co_u32_e32 v18, vcc, v18, v25
	v_mul_hi_u32 v17, v8, v9
	v_addc_co_u32_e32 v18, vcc, v26, v19, vcc
	v_addc_co_u32_e32 v17, vcc, 0, v17, vcc
	v_mul_lo_u32 v9, v8, v9
	v_add_co_u32_e32 v9, vcc, v18, v9
	v_addc_co_u32_e32 v17, vcc, 0, v17, vcc
	v_add_co_u32_e32 v3, vcc, v3, v9
	v_addc_co_u32_e32 v8, vcc, v8, v17, vcc
	v_ashrrev_i32_e32 v17, 31, v7
	v_add_co_u32_e32 v6, vcc, v6, v17
	v_addc_co_u32_e32 v7, vcc, v7, v17, vcc
	v_xor_b32_e32 v19, v6, v17
	v_xor_b32_e32 v18, v7, v17
	v_mad_u64_u32 v[6:7], s[0:1], v19, v8, 0
	v_mul_hi_u32 v9, v19, v3
	v_add_co_u32_e32 v25, vcc, v9, v6
	v_addc_co_u32_e32 v26, vcc, 0, v7, vcc
	v_mad_u64_u32 v[6:7], s[0:1], v18, v8, 0
	v_mad_u64_u32 v[8:9], s[0:1], v18, v3, 0
	v_add_co_u32_e32 v3, vcc, v25, v8
	v_addc_co_u32_e32 v3, vcc, v26, v9, vcc
	v_addc_co_u32_e32 v7, vcc, 0, v7, vcc
	v_add_co_u32_e32 v3, vcc, v3, v6
	v_addc_co_u32_e32 v8, vcc, 0, v7, vcc
	v_mul_lo_u32 v9, s69, v3
	v_mul_lo_u32 v25, s68, v8
	v_mad_u64_u32 v[6:7], s[0:1], s68, v3, 0
	v_add3_u32 v7, v7, v25, v9
	v_sub_u32_e32 v9, v18, v7
	v_mov_b32_e32 v25, s69
	v_sub_co_u32_e32 v6, vcc, v19, v6
	v_subb_co_u32_e64 v9, s[0:1], v9, v25, vcc
	v_subrev_co_u32_e64 v19, s[0:1], s68, v6
	v_subbrev_co_u32_e64 v9, s[0:1], 0, v9, s[0:1]
	v_cmp_le_u32_e64 s[0:1], s69, v9
	v_cndmask_b32_e64 v25, 0, -1, s[0:1]
	v_cmp_le_u32_e64 s[0:1], s68, v19
	v_cndmask_b32_e64 v19, 0, -1, s[0:1]
	v_cmp_eq_u32_e64 s[0:1], s69, v9
	v_cndmask_b32_e64 v9, v25, v19, s[0:1]
	v_add_co_u32_e64 v19, s[0:1], 2, v3
	v_subb_co_u32_e32 v7, vcc, v18, v7, vcc
	v_addc_co_u32_e64 v25, s[0:1], 0, v8, s[0:1]
	v_cmp_le_u32_e32 vcc, s69, v7
	v_add_co_u32_e64 v26, s[0:1], 1, v3
	v_cndmask_b32_e64 v18, 0, -1, vcc
	v_cmp_le_u32_e32 vcc, s68, v6
	v_addc_co_u32_e64 v27, s[0:1], 0, v8, s[0:1]
	v_cndmask_b32_e64 v6, 0, -1, vcc
	v_cmp_eq_u32_e32 vcc, s69, v7
	v_cmp_ne_u32_e64 s[0:1], 0, v9
	v_cndmask_b32_e32 v6, v18, v6, vcc
	v_cmp_ne_u32_e32 vcc, 0, v6
	v_cndmask_b32_e64 v7, v26, v19, s[0:1]
	v_cndmask_b32_e64 v9, v27, v25, s[0:1]
	v_cndmask_b32_e32 v3, v3, v7, vcc
	v_xor_b32_e32 v7, s66, v17
	v_cndmask_b32_e32 v6, v8, v9, vcc
	v_xor_b32_e32 v3, v3, v7
	v_xor_b32_e32 v6, v6, v7
	v_sub_co_u32_e32 v8, vcc, v3, v7
	v_subb_co_u32_e32 v9, vcc, v6, v7, vcc
                                        ; implicit-def: $vgpr6_vgpr7
.LBB43_55:                              ;   in Loop: Header=BB43_3 Depth=1
	s_andn2_saveexec_b64 s[0:1], s[64:65]
	s_cbranch_execz .LBB43_57
; %bb.56:                               ;   in Loop: Header=BB43_3 Depth=1
	v_rcp_iflag_f32_e32 v3, v12
	s_sub_i32 s64, 0, s54
	v_mov_b32_e32 v9, v2
	v_mul_f32_e32 v3, 0x4f7ffffe, v3
	v_cvt_u32_f32_e32 v3, v3
	v_mul_lo_u32 v7, s64, v3
	v_mul_hi_u32 v7, v3, v7
	v_add_u32_e32 v3, v3, v7
	v_mul_hi_u32 v3, v6, v3
	v_mul_lo_u32 v7, v3, s54
	v_sub_u32_e32 v6, v6, v7
	v_add_u32_e32 v8, 1, v3
	v_subrev_u32_e32 v7, s54, v6
	v_cmp_le_u32_e32 vcc, s54, v6
	v_cndmask_b32_e32 v6, v6, v7, vcc
	v_cndmask_b32_e32 v3, v3, v8, vcc
	v_add_u32_e32 v7, 1, v3
	v_cmp_le_u32_e32 vcc, s54, v6
	v_cndmask_b32_e32 v8, v3, v7, vcc
.LBB43_57:                              ;   in Loop: Header=BB43_3 Depth=1
	s_or_b64 exec, exec, s[0:1]
	v_mad_u64_u32 v[6:7], s[0:1], s8, v14, 0
	v_add3_u32 v3, v7, v16, v15
	v_mul_lo_u32 v7, v9, s54
	v_mul_lo_u32 v16, v8, s55
	v_mad_u64_u32 v[14:15], s[0:1], v8, s54, 0
	v_add3_u32 v7, v15, v16, v7
	v_sub_co_u32_e32 v6, vcc, v6, v14
	v_subb_co_u32_e32 v3, vcc, v3, v7, vcc
	v_add_co_u32_e32 v6, vcc, v0, v6
	v_addc_co_u32_e32 v3, vcc, v1, v3, vcc
	v_mul_lo_u32 v3, v3, s6
	v_mul_lo_u32 v14, v6, s7
	v_mad_u64_u32 v[6:7], s[0:1], v6, s6, 0
	v_add3_u32 v7, v7, v14, v3
	v_mul_lo_u32 v3, v9, s4
	v_mul_lo_u32 v14, v8, s5
	v_mad_u64_u32 v[8:9], s[0:1], v8, s4, 0
	v_add3_u32 v9, v9, v14, v3
	v_lshlrev_b64 v[8:9], 1, v[8:9]
	v_cvt_f16_f32_e32 v13, v13
	v_mov_b32_e32 v3, s53
	v_add_co_u32_e32 v8, vcc, s52, v8
	v_addc_co_u32_e32 v3, vcc, v3, v9, vcc
	v_lshlrev_b64 v[6:7], 1, v[6:7]
	v_add_co_u32_e32 v6, vcc, v8, v6
	v_addc_co_u32_e32 v7, vcc, v3, v7, vcc
	global_store_short v[6:7], v13, off
	v_add_co_u32_e32 v13, vcc, 3, v4
	v_addc_co_u32_e32 v3, vcc, 0, v5, vcc
	v_mul_lo_u32 v14, s9, v13
	v_mul_lo_u32 v15, s8, v3
	v_mad_u64_u32 v[6:7], s[0:1], s8, v13, v[0:1]
	v_add3_u32 v7, v14, v7, v15
	v_or_b32_e32 v3, s55, v7
	v_cmp_ne_u64_e32 vcc, 0, v[2:3]
                                        ; implicit-def: $vgpr8_vgpr9
	s_and_saveexec_b64 s[0:1], vcc
	s_xor_b64 s[64:65], exec, s[0:1]
	s_cbranch_execz .LBB43_59
; %bb.58:                               ;   in Loop: Header=BB43_3 Depth=1
	s_ashr_i32 s66, s55, 31
	s_add_u32 s0, s54, s66
	s_mov_b32 s67, s66
	s_addc_u32 s1, s55, s66
	s_xor_b64 s[68:69], s[0:1], s[66:67]
	v_cvt_f32_u32_e32 v3, s68
	v_cvt_f32_u32_e32 v8, s69
	s_sub_u32 s0, 0, s68
	s_subb_u32 s1, 0, s69
	v_mac_f32_e32 v3, 0x4f800000, v8
	v_rcp_f32_e32 v3, v3
	v_mul_f32_e32 v3, 0x5f7ffffc, v3
	v_mul_f32_e32 v8, 0x2f800000, v3
	v_trunc_f32_e32 v8, v8
	v_mac_f32_e32 v3, 0xcf800000, v8
	v_cvt_u32_f32_e32 v8, v8
	v_cvt_u32_f32_e32 v3, v3
	v_mul_lo_u32 v9, s0, v8
	v_mul_hi_u32 v17, s0, v3
	v_mul_lo_u32 v16, s1, v3
	v_add_u32_e32 v9, v17, v9
	v_mul_lo_u32 v18, s0, v3
	v_add_u32_e32 v9, v9, v16
	v_mul_lo_u32 v17, v3, v9
	v_mul_hi_u32 v19, v3, v18
	v_mul_hi_u32 v16, v3, v9
	v_add_co_u32_e32 v17, vcc, v19, v17
	v_addc_co_u32_e32 v16, vcc, 0, v16, vcc
	v_mul_hi_u32 v25, v8, v18
	v_mul_lo_u32 v18, v8, v18
	v_add_co_u32_e32 v17, vcc, v17, v18
	v_mul_hi_u32 v19, v8, v9
	v_addc_co_u32_e32 v16, vcc, v16, v25, vcc
	v_addc_co_u32_e32 v17, vcc, 0, v19, vcc
	v_mul_lo_u32 v9, v8, v9
	v_add_co_u32_e32 v9, vcc, v16, v9
	v_addc_co_u32_e32 v16, vcc, 0, v17, vcc
	v_add_co_u32_e32 v3, vcc, v3, v9
	v_addc_co_u32_e32 v8, vcc, v8, v16, vcc
	v_mul_lo_u32 v9, s0, v8
	v_mul_hi_u32 v16, s0, v3
	v_add_u32_e32 v9, v16, v9
	v_mul_lo_u32 v16, s1, v3
	v_add_u32_e32 v9, v9, v16
	v_mul_lo_u32 v17, s0, v3
	v_mul_hi_u32 v18, v8, v17
	v_mul_lo_u32 v19, v8, v17
	v_mul_lo_u32 v26, v3, v9
	v_mul_hi_u32 v17, v3, v17
	v_mul_hi_u32 v25, v3, v9
	v_add_co_u32_e32 v17, vcc, v17, v26
	v_addc_co_u32_e32 v25, vcc, 0, v25, vcc
	v_add_co_u32_e32 v17, vcc, v17, v19
	v_mul_hi_u32 v16, v8, v9
	v_addc_co_u32_e32 v17, vcc, v25, v18, vcc
	v_addc_co_u32_e32 v16, vcc, 0, v16, vcc
	v_mul_lo_u32 v9, v8, v9
	v_add_co_u32_e32 v9, vcc, v17, v9
	v_addc_co_u32_e32 v16, vcc, 0, v16, vcc
	v_add_co_u32_e32 v3, vcc, v3, v9
	v_addc_co_u32_e32 v8, vcc, v8, v16, vcc
	v_ashrrev_i32_e32 v16, 31, v7
	v_add_co_u32_e32 v6, vcc, v6, v16
	v_addc_co_u32_e32 v7, vcc, v7, v16, vcc
	v_xor_b32_e32 v18, v6, v16
	v_xor_b32_e32 v17, v7, v16
	v_mad_u64_u32 v[6:7], s[0:1], v18, v8, 0
	v_mul_hi_u32 v9, v18, v3
	v_add_co_u32_e32 v19, vcc, v9, v6
	v_addc_co_u32_e32 v25, vcc, 0, v7, vcc
	v_mad_u64_u32 v[6:7], s[0:1], v17, v8, 0
	v_mad_u64_u32 v[8:9], s[0:1], v17, v3, 0
	v_add_co_u32_e32 v3, vcc, v19, v8
	v_addc_co_u32_e32 v3, vcc, v25, v9, vcc
	v_addc_co_u32_e32 v7, vcc, 0, v7, vcc
	v_add_co_u32_e32 v3, vcc, v3, v6
	v_addc_co_u32_e32 v8, vcc, 0, v7, vcc
	v_mul_lo_u32 v9, s69, v3
	v_mul_lo_u32 v19, s68, v8
	v_mad_u64_u32 v[6:7], s[0:1], s68, v3, 0
	v_add3_u32 v7, v7, v19, v9
	v_sub_u32_e32 v9, v17, v7
	v_mov_b32_e32 v19, s69
	v_sub_co_u32_e32 v6, vcc, v18, v6
	v_subb_co_u32_e64 v9, s[0:1], v9, v19, vcc
	v_subrev_co_u32_e64 v18, s[0:1], s68, v6
	v_subbrev_co_u32_e64 v9, s[0:1], 0, v9, s[0:1]
	v_cmp_le_u32_e64 s[0:1], s69, v9
	v_cndmask_b32_e64 v19, 0, -1, s[0:1]
	v_cmp_le_u32_e64 s[0:1], s68, v18
	v_cndmask_b32_e64 v18, 0, -1, s[0:1]
	v_cmp_eq_u32_e64 s[0:1], s69, v9
	v_cndmask_b32_e64 v9, v19, v18, s[0:1]
	v_add_co_u32_e64 v18, s[0:1], 2, v3
	v_subb_co_u32_e32 v7, vcc, v17, v7, vcc
	v_addc_co_u32_e64 v19, s[0:1], 0, v8, s[0:1]
	v_cmp_le_u32_e32 vcc, s69, v7
	v_add_co_u32_e64 v25, s[0:1], 1, v3
	v_cndmask_b32_e64 v17, 0, -1, vcc
	v_cmp_le_u32_e32 vcc, s68, v6
	v_addc_co_u32_e64 v26, s[0:1], 0, v8, s[0:1]
	v_cndmask_b32_e64 v6, 0, -1, vcc
	v_cmp_eq_u32_e32 vcc, s69, v7
	v_cmp_ne_u32_e64 s[0:1], 0, v9
	v_cndmask_b32_e32 v6, v17, v6, vcc
	v_cmp_ne_u32_e32 vcc, 0, v6
	v_cndmask_b32_e64 v7, v25, v18, s[0:1]
	v_cndmask_b32_e64 v9, v26, v19, s[0:1]
	v_cndmask_b32_e32 v3, v3, v7, vcc
	v_xor_b32_e32 v7, s66, v16
	v_cndmask_b32_e32 v6, v8, v9, vcc
	v_xor_b32_e32 v3, v3, v7
	v_xor_b32_e32 v6, v6, v7
	v_sub_co_u32_e32 v8, vcc, v3, v7
	v_subb_co_u32_e32 v9, vcc, v6, v7, vcc
                                        ; implicit-def: $vgpr6_vgpr7
.LBB43_59:                              ;   in Loop: Header=BB43_3 Depth=1
	s_andn2_saveexec_b64 s[0:1], s[64:65]
	s_cbranch_execz .LBB43_61
; %bb.60:                               ;   in Loop: Header=BB43_3 Depth=1
	v_rcp_iflag_f32_e32 v3, v12
	s_sub_i32 s64, 0, s54
	v_mov_b32_e32 v9, v2
	v_mul_f32_e32 v3, 0x4f7ffffe, v3
	v_cvt_u32_f32_e32 v3, v3
	v_mul_lo_u32 v7, s64, v3
	v_mul_hi_u32 v7, v3, v7
	v_add_u32_e32 v3, v3, v7
	v_mul_hi_u32 v3, v6, v3
	v_mul_lo_u32 v7, v3, s54
	v_sub_u32_e32 v6, v6, v7
	v_add_u32_e32 v8, 1, v3
	v_subrev_u32_e32 v7, s54, v6
	v_cmp_le_u32_e32 vcc, s54, v6
	v_cndmask_b32_e32 v6, v6, v7, vcc
	v_cndmask_b32_e32 v3, v3, v8, vcc
	v_add_u32_e32 v7, 1, v3
	v_cmp_le_u32_e32 vcc, s54, v6
	v_cndmask_b32_e32 v8, v3, v7, vcc
.LBB43_61:                              ;   in Loop: Header=BB43_3 Depth=1
	s_or_b64 exec, exec, s[0:1]
	v_mad_u64_u32 v[6:7], s[0:1], s8, v13, 0
	v_add3_u32 v3, v7, v15, v14
	v_mul_lo_u32 v7, v9, s54
	v_mul_lo_u32 v13, v8, s55
	v_mad_u64_u32 v[14:15], s[0:1], v8, s54, 0
	v_add3_u32 v7, v15, v13, v7
	v_sub_co_u32_e32 v6, vcc, v6, v14
	v_subb_co_u32_e32 v3, vcc, v3, v7, vcc
	v_add_co_u32_e32 v6, vcc, v0, v6
	v_addc_co_u32_e32 v3, vcc, v1, v3, vcc
	v_mul_lo_u32 v3, v3, s6
	v_mul_lo_u32 v13, v6, s7
	v_mad_u64_u32 v[6:7], s[0:1], v6, s6, 0
	v_add3_u32 v7, v7, v13, v3
	v_mul_lo_u32 v3, v9, s4
	v_mul_lo_u32 v13, v8, s5
	v_mad_u64_u32 v[8:9], s[0:1], v8, s4, 0
	v_add3_u32 v9, v9, v13, v3
	v_lshlrev_b64 v[8:9], 1, v[8:9]
	v_mov_b32_e32 v3, s53
	v_add_co_u32_e32 v8, vcc, s52, v8
	v_addc_co_u32_e32 v3, vcc, v3, v9, vcc
	v_lshlrev_b64 v[6:7], 1, v[6:7]
	v_add_co_u32_e32 v6, vcc, v8, v6
	v_addc_co_u32_e32 v7, vcc, v3, v7, vcc
	v_add_co_u32_e32 v8, vcc, 4, v4
	v_addc_co_u32_e32 v3, vcc, 0, v5, vcc
	global_store_short v[6:7], v10, off
	v_mul_lo_u32 v9, s9, v8
	v_mul_lo_u32 v10, s8, v3
	v_mad_u64_u32 v[4:5], s[0:1], s8, v8, v[0:1]
	v_add3_u32 v5, v9, v5, v10
	v_or_b32_e32 v3, s55, v5
	v_cmp_ne_u64_e32 vcc, 0, v[2:3]
                                        ; implicit-def: $vgpr6_vgpr7
	s_and_saveexec_b64 s[0:1], vcc
	s_xor_b64 s[64:65], exec, s[0:1]
	s_cbranch_execz .LBB43_63
; %bb.62:                               ;   in Loop: Header=BB43_3 Depth=1
	s_ashr_i32 s66, s55, 31
	s_add_u32 s0, s54, s66
	s_mov_b32 s67, s66
	s_addc_u32 s1, s55, s66
	s_xor_b64 s[68:69], s[0:1], s[66:67]
	v_cvt_f32_u32_e32 v3, s68
	v_cvt_f32_u32_e32 v6, s69
	s_sub_u32 s0, 0, s68
	s_subb_u32 s1, 0, s69
	v_mac_f32_e32 v3, 0x4f800000, v6
	v_rcp_f32_e32 v3, v3
	v_mul_f32_e32 v3, 0x5f7ffffc, v3
	v_mul_f32_e32 v6, 0x2f800000, v3
	v_trunc_f32_e32 v6, v6
	v_mac_f32_e32 v3, 0xcf800000, v6
	v_cvt_u32_f32_e32 v6, v6
	v_cvt_u32_f32_e32 v3, v3
	v_mul_lo_u32 v7, s0, v6
	v_mul_hi_u32 v13, s0, v3
	v_mul_lo_u32 v12, s1, v3
	v_add_u32_e32 v7, v13, v7
	v_mul_lo_u32 v14, s0, v3
	v_add_u32_e32 v7, v7, v12
	v_mul_lo_u32 v13, v3, v7
	v_mul_hi_u32 v15, v3, v14
	v_mul_hi_u32 v12, v3, v7
	v_add_co_u32_e32 v13, vcc, v15, v13
	v_addc_co_u32_e32 v12, vcc, 0, v12, vcc
	v_mul_hi_u32 v16, v6, v14
	v_mul_lo_u32 v14, v6, v14
	v_add_co_u32_e32 v13, vcc, v13, v14
	v_mul_hi_u32 v15, v6, v7
	v_addc_co_u32_e32 v12, vcc, v12, v16, vcc
	v_addc_co_u32_e32 v13, vcc, 0, v15, vcc
	v_mul_lo_u32 v7, v6, v7
	v_add_co_u32_e32 v7, vcc, v12, v7
	v_addc_co_u32_e32 v12, vcc, 0, v13, vcc
	v_add_co_u32_e32 v3, vcc, v3, v7
	v_addc_co_u32_e32 v6, vcc, v6, v12, vcc
	v_mul_lo_u32 v7, s0, v6
	v_mul_hi_u32 v12, s0, v3
	v_add_u32_e32 v7, v12, v7
	v_mul_lo_u32 v12, s1, v3
	v_add_u32_e32 v7, v7, v12
	v_mul_lo_u32 v13, s0, v3
	v_mul_hi_u32 v14, v6, v13
	v_mul_lo_u32 v15, v6, v13
	v_mul_lo_u32 v17, v3, v7
	v_mul_hi_u32 v13, v3, v13
	v_mul_hi_u32 v16, v3, v7
	v_add_co_u32_e32 v13, vcc, v13, v17
	v_addc_co_u32_e32 v16, vcc, 0, v16, vcc
	v_add_co_u32_e32 v13, vcc, v13, v15
	v_mul_hi_u32 v12, v6, v7
	v_addc_co_u32_e32 v13, vcc, v16, v14, vcc
	v_addc_co_u32_e32 v12, vcc, 0, v12, vcc
	v_mul_lo_u32 v7, v6, v7
	v_add_co_u32_e32 v7, vcc, v13, v7
	v_addc_co_u32_e32 v12, vcc, 0, v12, vcc
	v_add_co_u32_e32 v3, vcc, v3, v7
	v_addc_co_u32_e32 v6, vcc, v6, v12, vcc
	v_ashrrev_i32_e32 v12, 31, v5
	v_add_co_u32_e32 v4, vcc, v4, v12
	v_addc_co_u32_e32 v5, vcc, v5, v12, vcc
	v_xor_b32_e32 v14, v4, v12
	v_xor_b32_e32 v13, v5, v12
	v_mad_u64_u32 v[4:5], s[0:1], v14, v6, 0
	v_mul_hi_u32 v7, v14, v3
	v_add_co_u32_e32 v15, vcc, v7, v4
	v_addc_co_u32_e32 v16, vcc, 0, v5, vcc
	v_mad_u64_u32 v[4:5], s[0:1], v13, v6, 0
	v_mad_u64_u32 v[6:7], s[0:1], v13, v3, 0
	v_add_co_u32_e32 v3, vcc, v15, v6
	v_addc_co_u32_e32 v3, vcc, v16, v7, vcc
	v_addc_co_u32_e32 v5, vcc, 0, v5, vcc
	v_add_co_u32_e32 v3, vcc, v3, v4
	v_addc_co_u32_e32 v6, vcc, 0, v5, vcc
	v_mul_lo_u32 v7, s69, v3
	v_mul_lo_u32 v15, s68, v6
	v_mad_u64_u32 v[4:5], s[0:1], s68, v3, 0
	v_add3_u32 v5, v5, v15, v7
	v_sub_u32_e32 v7, v13, v5
	v_mov_b32_e32 v15, s69
	v_sub_co_u32_e32 v4, vcc, v14, v4
	v_subb_co_u32_e64 v7, s[0:1], v7, v15, vcc
	v_subrev_co_u32_e64 v14, s[0:1], s68, v4
	v_subbrev_co_u32_e64 v7, s[0:1], 0, v7, s[0:1]
	v_cmp_le_u32_e64 s[0:1], s69, v7
	v_cndmask_b32_e64 v15, 0, -1, s[0:1]
	v_cmp_le_u32_e64 s[0:1], s68, v14
	v_cndmask_b32_e64 v14, 0, -1, s[0:1]
	v_cmp_eq_u32_e64 s[0:1], s69, v7
	v_cndmask_b32_e64 v7, v15, v14, s[0:1]
	v_add_co_u32_e64 v14, s[0:1], 2, v3
	v_subb_co_u32_e32 v5, vcc, v13, v5, vcc
	v_addc_co_u32_e64 v15, s[0:1], 0, v6, s[0:1]
	v_cmp_le_u32_e32 vcc, s69, v5
	v_add_co_u32_e64 v16, s[0:1], 1, v3
	v_cndmask_b32_e64 v13, 0, -1, vcc
	v_cmp_le_u32_e32 vcc, s68, v4
	v_addc_co_u32_e64 v17, s[0:1], 0, v6, s[0:1]
	v_cndmask_b32_e64 v4, 0, -1, vcc
	v_cmp_eq_u32_e32 vcc, s69, v5
	v_cmp_ne_u32_e64 s[0:1], 0, v7
	v_cndmask_b32_e32 v4, v13, v4, vcc
	v_cmp_ne_u32_e32 vcc, 0, v4
	v_cndmask_b32_e64 v5, v16, v14, s[0:1]
	v_cndmask_b32_e64 v7, v17, v15, s[0:1]
	v_cndmask_b32_e32 v3, v3, v5, vcc
	v_xor_b32_e32 v5, s66, v12
	v_cndmask_b32_e32 v4, v6, v7, vcc
	v_xor_b32_e32 v3, v3, v5
	v_xor_b32_e32 v4, v4, v5
	v_sub_co_u32_e32 v6, vcc, v3, v5
	v_subb_co_u32_e32 v7, vcc, v4, v5, vcc
                                        ; implicit-def: $vgpr12
                                        ; implicit-def: $vgpr4_vgpr5
.LBB43_63:                              ;   in Loop: Header=BB43_3 Depth=1
	s_andn2_saveexec_b64 s[0:1], s[64:65]
	s_cbranch_execz .LBB43_2
; %bb.64:                               ;   in Loop: Header=BB43_3 Depth=1
	v_rcp_iflag_f32_e32 v3, v12
	s_sub_i32 s64, 0, s54
	v_mov_b32_e32 v7, v2
	v_mul_f32_e32 v3, 0x4f7ffffe, v3
	v_cvt_u32_f32_e32 v3, v3
	v_mul_lo_u32 v5, s64, v3
	v_mul_hi_u32 v5, v3, v5
	v_add_u32_e32 v3, v3, v5
	v_mul_hi_u32 v3, v4, v3
	v_mul_lo_u32 v5, v3, s54
	v_sub_u32_e32 v4, v4, v5
	v_add_u32_e32 v6, 1, v3
	v_subrev_u32_e32 v5, s54, v4
	v_cmp_le_u32_e32 vcc, s54, v4
	v_cndmask_b32_e32 v4, v4, v5, vcc
	v_cndmask_b32_e32 v3, v3, v6, vcc
	v_add_u32_e32 v5, 1, v3
	v_cmp_le_u32_e32 vcc, s54, v4
	v_cndmask_b32_e32 v6, v3, v5, vcc
	s_branch .LBB43_2
.LBB43_65:
	s_endpgm
	.section	.rodata,"a",@progbits
	.p2align	6, 0x0
	.amdhsa_kernel _ZN2at6native12_GLOBAL__N_16kernel16gru_cell_forwardIN3c104HalfEflLi2EEEvNS_4cuda6detail10TensorInfoIT_T1_EESB_SB_SB_SB_SB_SB_SA_SA_
		.amdhsa_group_segment_fixed_size 0
		.amdhsa_private_segment_fixed_size 0
		.amdhsa_kernarg_size 3184
		.amdhsa_user_sgpr_count 6
		.amdhsa_user_sgpr_private_segment_buffer 1
		.amdhsa_user_sgpr_dispatch_ptr 0
		.amdhsa_user_sgpr_queue_ptr 0
		.amdhsa_user_sgpr_kernarg_segment_ptr 1
		.amdhsa_user_sgpr_dispatch_id 0
		.amdhsa_user_sgpr_flat_scratch_init 0
		.amdhsa_user_sgpr_kernarg_preload_length 0
		.amdhsa_user_sgpr_kernarg_preload_offset 0
		.amdhsa_user_sgpr_private_segment_size 0
		.amdhsa_uses_dynamic_stack 0
		.amdhsa_system_sgpr_private_segment_wavefront_offset 0
		.amdhsa_system_sgpr_workgroup_id_x 1
		.amdhsa_system_sgpr_workgroup_id_y 0
		.amdhsa_system_sgpr_workgroup_id_z 0
		.amdhsa_system_sgpr_workgroup_info 0
		.amdhsa_system_vgpr_workitem_id 0
		.amdhsa_next_free_vgpr 39
		.amdhsa_next_free_sgpr 85
		.amdhsa_accum_offset 40
		.amdhsa_reserve_vcc 1
		.amdhsa_reserve_flat_scratch 0
		.amdhsa_float_round_mode_32 0
		.amdhsa_float_round_mode_16_64 0
		.amdhsa_float_denorm_mode_32 3
		.amdhsa_float_denorm_mode_16_64 3
		.amdhsa_dx10_clamp 1
		.amdhsa_ieee_mode 1
		.amdhsa_fp16_overflow 0
		.amdhsa_tg_split 0
		.amdhsa_exception_fp_ieee_invalid_op 0
		.amdhsa_exception_fp_denorm_src 0
		.amdhsa_exception_fp_ieee_div_zero 0
		.amdhsa_exception_fp_ieee_overflow 0
		.amdhsa_exception_fp_ieee_underflow 0
		.amdhsa_exception_fp_ieee_inexact 0
		.amdhsa_exception_int_div_zero 0
	.end_amdhsa_kernel
	.section	.text._ZN2at6native12_GLOBAL__N_16kernel16gru_cell_forwardIN3c104HalfEflLi2EEEvNS_4cuda6detail10TensorInfoIT_T1_EESB_SB_SB_SB_SB_SB_SA_SA_,"axG",@progbits,_ZN2at6native12_GLOBAL__N_16kernel16gru_cell_forwardIN3c104HalfEflLi2EEEvNS_4cuda6detail10TensorInfoIT_T1_EESB_SB_SB_SB_SB_SB_SA_SA_,comdat
.Lfunc_end43:
	.size	_ZN2at6native12_GLOBAL__N_16kernel16gru_cell_forwardIN3c104HalfEflLi2EEEvNS_4cuda6detail10TensorInfoIT_T1_EESB_SB_SB_SB_SB_SB_SA_SA_, .Lfunc_end43-_ZN2at6native12_GLOBAL__N_16kernel16gru_cell_forwardIN3c104HalfEflLi2EEEvNS_4cuda6detail10TensorInfoIT_T1_EESB_SB_SB_SB_SB_SB_SA_SA_
                                        ; -- End function
	.section	.AMDGPU.csdata,"",@progbits
; Kernel info:
; codeLenInByte = 15124
; NumSgprs: 89
; NumVgprs: 39
; NumAgprs: 0
; TotalNumVgprs: 39
; ScratchSize: 0
; MemoryBound: 0
; FloatMode: 240
; IeeeMode: 1
; LDSByteSize: 0 bytes/workgroup (compile time only)
; SGPRBlocks: 11
; VGPRBlocks: 4
; NumSGPRsForWavesPerEU: 89
; NumVGPRsForWavesPerEU: 39
; AccumOffset: 40
; Occupancy: 8
; WaveLimiterHint : 1
; COMPUTE_PGM_RSRC2:SCRATCH_EN: 0
; COMPUTE_PGM_RSRC2:USER_SGPR: 6
; COMPUTE_PGM_RSRC2:TRAP_HANDLER: 0
; COMPUTE_PGM_RSRC2:TGID_X_EN: 1
; COMPUTE_PGM_RSRC2:TGID_Y_EN: 0
; COMPUTE_PGM_RSRC2:TGID_Z_EN: 0
; COMPUTE_PGM_RSRC2:TIDIG_COMP_CNT: 0
; COMPUTE_PGM_RSRC3_GFX90A:ACCUM_OFFSET: 9
; COMPUTE_PGM_RSRC3_GFX90A:TG_SPLIT: 0
	.section	.text._ZN2at6native12_GLOBAL__N_16kernel16gru_cell_forwardIN3c108BFloat16EfiLi1EEEvNS_4cuda6detail10TensorInfoIT_T1_EESB_SB_SB_SB_SB_SB_SA_SA_,"axG",@progbits,_ZN2at6native12_GLOBAL__N_16kernel16gru_cell_forwardIN3c108BFloat16EfiLi1EEEvNS_4cuda6detail10TensorInfoIT_T1_EESB_SB_SB_SB_SB_SB_SA_SA_,comdat
	.globl	_ZN2at6native12_GLOBAL__N_16kernel16gru_cell_forwardIN3c108BFloat16EfiLi1EEEvNS_4cuda6detail10TensorInfoIT_T1_EESB_SB_SB_SB_SB_SB_SA_SA_ ; -- Begin function _ZN2at6native12_GLOBAL__N_16kernel16gru_cell_forwardIN3c108BFloat16EfiLi1EEEvNS_4cuda6detail10TensorInfoIT_T1_EESB_SB_SB_SB_SB_SB_SA_SA_
	.p2align	8
	.type	_ZN2at6native12_GLOBAL__N_16kernel16gru_cell_forwardIN3c108BFloat16EfiLi1EEEvNS_4cuda6detail10TensorInfoIT_T1_EESB_SB_SB_SB_SB_SB_SA_SA_,@function
_ZN2at6native12_GLOBAL__N_16kernel16gru_cell_forwardIN3c108BFloat16EfiLi1EEEvNS_4cuda6detail10TensorInfoIT_T1_EESB_SB_SB_SB_SB_SB_SA_SA_: ; @_ZN2at6native12_GLOBAL__N_16kernel16gru_cell_forwardIN3c108BFloat16EfiLi1EEEvNS_4cuda6detail10TensorInfoIT_T1_EESB_SB_SB_SB_SB_SB_SA_SA_
; %bb.0:
	s_load_dword s7, s[4:5], 0x5fc
	s_load_dwordx2 s[2:3], s[4:5], 0x5e8
	s_add_u32 s0, s4, 0x5f0
	s_addc_u32 s1, s5, 0
	s_waitcnt lgkmcnt(0)
	s_and_b32 s20, s7, 0xffff
	s_mul_i32 s6, s6, s20
	v_add_u32_e32 v0, s6, v0
	v_cmp_gt_i32_e32 vcc, s3, v0
	s_and_saveexec_b64 s[6:7], vcc
	s_cbranch_execz .LBB44_9
; %bb.1:
	s_load_dwordx2 s[6:7], s[4:5], 0x1b0
	s_load_dwordx2 s[8:9], s[4:5], 0x0
	s_load_dword s22, s[4:5], 0x6c
	s_load_dwordx2 s[10:11], s[4:5], 0xd8
	s_load_dword s23, s[4:5], 0x144
	s_load_dword s24, s[4:5], 0x21c
	s_load_dwordx2 s[12:13], s[4:5], 0x288
	s_load_dword s25, s[4:5], 0x2f4
	s_waitcnt lgkmcnt(0)
	s_cmp_lg_u64 s[6:7], 0
	s_cselect_b64 s[36:37], -1, 0
	s_abs_i32 s26, s2
	v_cvt_f32_u32_e32 v1, s26
	s_load_dwordx2 s[14:15], s[4:5], 0x360
	s_load_dword s21, s[4:5], 0x3cc
	s_load_dwordx2 s[16:17], s[4:5], 0x438
	s_load_dword s35, s[4:5], 0x4a4
	s_load_dword s28, s[0:1], 0x0
	s_load_dwordx2 s[18:19], s[4:5], 0x510
	s_load_dword s27, s[4:5], 0x57c
	s_sub_i32 s0, 0, s26
	v_rcp_iflag_f32_e32 v1, v1
	v_cndmask_b32_e64 v3, 0, 1, s[36:37]
	s_waitcnt lgkmcnt(0)
	s_mul_i32 s28, s28, s20
	s_mov_b64 s[4:5], 0
	v_mul_f32_e32 v1, 0x4f7ffffe, v1
	v_cvt_u32_f32_e32 v1, v1
	s_ashr_i32 s29, s2, 31
	s_lshl_b32 s30, s2, 1
	s_lshl_b32 s31, s2, 2
	v_mul_lo_u32 v2, s0, v1
	v_mul_hi_u32 v2, v1, v2
	v_add_u32_e32 v1, v1, v2
	s_sub_i32 s33, 0, s2
	v_mul_lo_u32 v2, v0, s21
	s_mul_i32 s34, s28, s21
	v_mul_lo_u32 v4, v0, s35
	s_mul_i32 s35, s28, s35
	v_mov_b32_e32 v8, s9
	v_mov_b32_e32 v9, s11
	;; [unrolled: 1-line block ×3, first 2 shown]
	v_cmp_ne_u32_e64 s[0:1], 1, v3
	s_mov_b32 s9, 0x5040100
	s_mov_b32 s11, 0xbfb8aa3b
	;; [unrolled: 1-line block ×8, first 2 shown]
	v_mov_b32_e32 v11, 0xbd5c1c4e
	v_mov_b32_e32 v12, 0x3e088382
	;; [unrolled: 1-line block ×3, first 2 shown]
	s_brev_b32 s41, -2
	s_movk_i32 s42, 0x7fff
	v_mov_b32_e32 v14, 0x7f800000
	v_mov_b32_e32 v15, 0x7fc0
	s_branch .LBB44_3
.LBB44_2:                               ;   in Loop: Header=BB44_3 Depth=1
	s_or_b64 exec, exec, s[20:21]
	v_lshlrev_b32_e32 v18, 16, v18
	v_lshlrev_b32_e32 v19, 16, v19
	v_add_f32_e32 v18, v18, v19
	v_lshlrev_b32_e32 v19, 16, v20
	v_add_f32_e32 v18, v18, v19
	s_waitcnt vmcnt(0)
	v_lshlrev_b32_e32 v19, 16, v22
	v_add_f32_e32 v18, v18, v19
	v_mul_f32_e32 v19, 0xbfb8aa3b, v18
	v_fma_f32 v20, v18, s11, -v19
	v_rndne_f32_e32 v22, v19
	v_fmac_f32_e32 v20, 0xb2a5705f, v18
	v_sub_f32_e32 v19, v19, v22
	v_add_f32_e32 v19, v19, v20
	v_exp_f32_e32 v19, v19
	v_cvt_i32_f32_e32 v20, v22
	v_cmp_nlt_f32_e32 vcc, s15, v18
	v_lshlrev_b32_e32 v17, 2, v17
	v_lshlrev_b32_e32 v16, 2, v16
	v_ldexp_f32 v19, v19, v20
	v_cndmask_b32_e32 v19, 0, v19, vcc
	v_cmp_ngt_f32_e32 vcc, s36, v18
	v_cndmask_b32_e32 v18, v14, v19, vcc
	v_add_f32_e32 v20, 1.0, v18
	v_div_scale_f32 v22, s[20:21], v20, v20, 1.0
	v_rcp_f32_e32 v24, v22
	v_mad_u64_u32 v[18:19], s[20:21], s31, v5, v[0:1]
	v_mul_lo_u32 v18, v18, s27
	v_fma_f32 v5, -v22, v24, 1.0
	v_fmac_f32_e32 v24, v5, v24
	v_div_scale_f32 v5, vcc, 1.0, v20, 1.0
	v_mul_f32_e32 v19, v5, v24
	v_fma_f32 v25, -v22, v19, v5
	v_fmac_f32_e32 v19, v25, v24
	v_fma_f32 v5, -v22, v19, v5
	v_div_fmas_f32 v5, v5, v24, v19
	v_div_fixup_f32 v20, v5, v20, 1.0
	v_ashrrev_i32_e32 v5, 31, v4
	v_lshlrev_b64 v[24:25], 1, v[4:5]
	v_mov_b32_e32 v5, s17
	v_add_co_u32_e32 v24, vcc, s16, v24
	v_addc_co_u32_e32 v25, vcc, v5, v25, vcc
	v_bfi_b32 v5, s41, v21, v6
	v_lshlrev_b32_e32 v6, 16, v3
	v_sub_f32_e32 v6, v6, v5
	v_fma_f32 v6, v20, v6, v5
	v_bfe_u32 v19, v6, 16, 1
	v_add3_u32 v19, v6, v19, s42
	v_lshrrev_b32_e32 v19, 16, v19
	v_cmp_o_f32_e32 vcc, v6, v6
	v_cndmask_b32_e32 v6, v15, v19, vcc
	global_store_short v[24:25], v6, off
	v_bfe_u32 v6, v23, 16, 1
	v_add3_u32 v6, v23, v6, s42
	v_ashrrev_i32_e32 v19, 31, v18
	v_lshrrev_b32_e32 v6, 16, v6
	v_cmp_o_f32_e32 vcc, v23, v23
	v_lshlrev_b64 v[18:19], 1, v[18:19]
	v_cndmask_b32_e32 v6, v15, v6, vcc
	v_mov_b32_e32 v21, s19
	v_add_co_u32_e32 v18, vcc, s18, v18
	v_addc_co_u32_e32 v19, vcc, v21, v19, vcc
	global_store_short v[18:19], v6, off
	v_sub_u32_e32 v18, v17, v16
	v_or_b32_e32 v16, 1, v18
	v_mad_u64_u32 v[16:17], s[20:21], s2, v16, v[0:1]
	v_bfe_u32 v6, v20, 16, 1
	v_mul_lo_u32 v16, v16, s27
	v_add3_u32 v6, v20, v6, s42
	v_ashrrev_i32_e32 v17, 31, v16
	v_lshrrev_b32_e32 v6, 16, v6
	v_cmp_o_f32_e32 vcc, v20, v20
	v_lshlrev_b64 v[16:17], 1, v[16:17]
	v_cndmask_b32_e32 v6, v15, v6, vcc
	v_add_co_u32_e32 v16, vcc, s18, v16
	v_addc_co_u32_e32 v17, vcc, v21, v17, vcc
	global_store_short v[16:17], v6, off
	v_bfe_u32 v6, v5, 16, 1
	v_add3_u32 v6, v5, v6, s42
	v_lshrrev_b32_e32 v6, 16, v6
	v_cmp_o_f32_e32 vcc, v5, v5
	v_cndmask_b32_e32 v5, v15, v6, vcc
	v_or_b32_e32 v6, 2, v18
	v_mad_u64_u32 v[16:17], s[20:21], s2, v6, v[0:1]
	v_mul_lo_u32 v16, v16, s27
	v_ashrrev_i32_e32 v17, 31, v16
	v_lshlrev_b64 v[16:17], 1, v[16:17]
	v_add_co_u32_e32 v16, vcc, s18, v16
	v_addc_co_u32_e32 v17, vcc, v21, v17, vcc
	global_store_short v[16:17], v5, off
	v_or_b32_e32 v5, 3, v18
	v_mad_u64_u32 v[16:17], s[20:21], s2, v5, v[0:1]
	v_mul_lo_u32 v16, v16, s27
	v_ashrrev_i32_e32 v17, 31, v16
	v_lshlrev_b64 v[16:17], 1, v[16:17]
	v_add_co_u32_e32 v16, vcc, s18, v16
	v_addc_co_u32_e32 v17, vcc, v21, v17, vcc
	global_store_short v[16:17], v3, off
	v_bfe_u32 v3, v7, 16, 1
	v_add_u32_e32 v5, 4, v18
	v_add3_u32 v3, v7, v3, s42
	v_cmp_o_f32_e32 vcc, v7, v7
	v_mad_u64_u32 v[6:7], s[20:21], s2, v5, v[0:1]
	v_mul_lo_u32 v6, v6, s27
	v_ashrrev_i32_e32 v7, 31, v6
	v_lshrrev_b32_e32 v3, 16, v3
	v_lshlrev_b64 v[6:7], 1, v[6:7]
	v_cndmask_b32_e32 v3, v15, v3, vcc
	v_add_co_u32_e32 v6, vcc, s18, v6
	v_addc_co_u32_e32 v7, vcc, v21, v7, vcc
	v_add_u32_e32 v0, s28, v0
	v_cmp_le_i32_e32 vcc, s3, v0
	v_add_u32_e32 v2, s34, v2
	s_or_b64 s[4:5], vcc, s[4:5]
	v_add_u32_e32 v4, s35, v4
	global_store_short v[6:7], v3, off
	s_andn2_b64 exec, exec, s[4:5]
	s_cbranch_execz .LBB44_9
.LBB44_3:                               ; =>This Inner Loop Header: Depth=1
	v_ashrrev_i32_e32 v3, 31, v0
	v_xor_b32_e32 v16, s29, v3
	v_sub_u32_e32 v3, 0, v0
	v_max_i32_e32 v3, v0, v3
	v_mul_hi_u32 v5, v3, v1
	v_mul_lo_u32 v6, v5, s26
	v_sub_u32_e32 v3, v3, v6
	v_add_u32_e32 v6, 1, v5
	v_cmp_le_u32_e32 vcc, s26, v3
	v_cndmask_b32_e32 v5, v5, v6, vcc
	v_subrev_u32_e32 v6, s26, v3
	v_cndmask_b32_e32 v3, v3, v6, vcc
	v_add_u32_e32 v6, 1, v5
	v_cmp_le_u32_e32 vcc, s26, v3
	v_cndmask_b32_e32 v3, v5, v6, vcc
	v_xor_b32_e32 v17, v3, v16
	v_sub_u32_e32 v5, v17, v16
	v_mad_u64_u32 v[20:21], s[20:21], s30, v5, v[0:1]
	v_mul_lo_u32 v6, v20, s22
	v_ashrrev_i32_e32 v7, 31, v6
	v_lshlrev_b64 v[6:7], 1, v[6:7]
	v_add_co_u32_e32 v22, vcc, s8, v6
	v_lshlrev_b32_e32 v3, 1, v17
	v_lshlrev_b32_e32 v6, 1, v16
	v_sub_u32_e32 v3, v3, v6
	v_or_b32_e32 v6, 1, v3
	v_mad_u64_u32 v[24:25], s[20:21], s2, v6, v[0:1]
	v_mul_lo_u32 v6, v24, s22
	v_addc_co_u32_e32 v23, vcc, v8, v7, vcc
	v_ashrrev_i32_e32 v7, 31, v6
	v_add_u32_e32 v3, 2, v3
	v_lshlrev_b64 v[6:7], 1, v[6:7]
	v_mad_u64_u32 v[28:29], s[20:21], s2, v3, v[0:1]
	v_add_co_u32_e32 v26, vcc, s8, v6
	v_mul_lo_u32 v6, v28, s22
	v_addc_co_u32_e32 v27, vcc, v8, v7, vcc
	v_ashrrev_i32_e32 v7, 31, v6
	v_lshlrev_b64 v[6:7], 1, v[6:7]
	v_mul_lo_u32 v20, v20, s23
	v_add_co_u32_e32 v30, vcc, s8, v6
	v_ashrrev_i32_e32 v21, 31, v20
	v_addc_co_u32_e32 v31, vcc, v8, v7, vcc
	v_lshlrev_b64 v[20:21], 1, v[20:21]
	global_load_ushort v7, v[22:23], off
	global_load_ushort v18, v[26:27], off
	;; [unrolled: 1-line block ×3, first 2 shown]
	v_add_co_u32_e32 v26, vcc, s10, v20
	v_mul_lo_u32 v20, v24, s23
	v_addc_co_u32_e32 v27, vcc, v9, v21, vcc
	v_ashrrev_i32_e32 v21, 31, v20
	v_lshlrev_b64 v[20:21], 1, v[20:21]
	v_add_co_u32_e32 v24, vcc, s10, v20
	v_mul_lo_u32 v20, v28, s23
	v_addc_co_u32_e32 v25, vcc, v9, v21, vcc
	v_ashrrev_i32_e32 v21, 31, v20
	v_lshlrev_b64 v[20:21], 1, v[20:21]
	v_add_co_u32_e32 v28, vcc, s10, v20
	v_ashrrev_i32_e32 v3, 31, v2
	v_addc_co_u32_e32 v29, vcc, v9, v21, vcc
	global_load_ushort v23, v[26:27], off
	global_load_ushort v19, v[24:25], off
	;; [unrolled: 1-line block ×3, first 2 shown]
	v_lshlrev_b64 v[24:25], 1, v[2:3]
	v_add_co_u32_e32 v24, vcc, s14, v24
	v_addc_co_u32_e32 v25, vcc, v10, v25, vcc
	global_load_ushort v3, v[24:25], off
	s_and_b64 vcc, exec, s[0:1]
	v_mov_b32_e32 v22, 0
	v_mov_b32_e32 v26, 0
	v_mov_b32_e32 v20, 0
	v_mov_b32_e32 v24, 0
	v_mov_b32_e32 v25, 0
	s_cbranch_vccnz .LBB44_5
; %bb.4:                                ;   in Loop: Header=BB44_3 Depth=1
	v_mad_u64_u32 v[26:27], s[20:21], s33, v5, v[0:1]
	v_mul_lo_u32 v24, v26, s24
	v_ashrrev_i32_e32 v25, 31, v24
	v_lshlrev_b64 v[24:25], 1, v[24:25]
	v_sub_u32_e32 v22, v16, v17
	v_add_co_u32_e32 v28, vcc, s6, v24
	v_mul_lo_u32 v24, s2, v22
	v_add3_u32 v36, v24, s2, v0
	v_mov_b32_e32 v20, s7
	v_mul_lo_u32 v24, v36, s24
	v_addc_co_u32_e32 v29, vcc, v20, v25, vcc
	v_ashrrev_i32_e32 v25, 31, v24
	v_add_u32_e32 v22, 2, v22
	v_lshlrev_b64 v[24:25], 1, v[24:25]
	v_mad_u64_u32 v[32:33], s[20:21], s2, v22, v[0:1]
	v_add_co_u32_e32 v30, vcc, s6, v24
	v_mul_lo_u32 v24, v32, s24
	v_addc_co_u32_e32 v31, vcc, v20, v25, vcc
	v_ashrrev_i32_e32 v25, 31, v24
	v_lshlrev_b64 v[24:25], 1, v[24:25]
	v_mul_lo_u32 v26, v26, s25
	v_add_co_u32_e32 v34, vcc, s6, v24
	v_ashrrev_i32_e32 v27, 31, v26
	v_addc_co_u32_e32 v35, vcc, v20, v25, vcc
	v_lshlrev_b64 v[26:27], 1, v[26:27]
	global_load_ushort v24, v[28:29], off
	global_load_ushort v20, v[30:31], off
	global_load_ushort v25, v[34:35], off
	v_mov_b32_e32 v22, s13
	v_add_co_u32_e32 v28, vcc, s12, v26
	v_mul_lo_u32 v26, v36, s25
	v_addc_co_u32_e32 v29, vcc, v22, v27, vcc
	v_ashrrev_i32_e32 v27, 31, v26
	v_lshlrev_b64 v[26:27], 1, v[26:27]
	v_add_co_u32_e32 v30, vcc, s12, v26
	v_mul_lo_u32 v26, v32, s25
	v_addc_co_u32_e32 v31, vcc, v22, v27, vcc
	v_ashrrev_i32_e32 v27, 31, v26
	v_lshlrev_b64 v[26:27], 1, v[26:27]
	v_add_co_u32_e32 v32, vcc, s12, v26
	v_addc_co_u32_e32 v33, vcc, v22, v27, vcc
	global_load_ushort v27, v[32:33], off
	global_load_ushort v26, v[28:29], off
	;; [unrolled: 1-line block ×3, first 2 shown]
	s_waitcnt vmcnt(2)
	v_perm_b32 v25, v27, v25, s9
.LBB44_5:                               ;   in Loop: Header=BB44_3 Depth=1
	s_waitcnt vmcnt(6)
	v_lshlrev_b32_e32 v7, 16, v7
	s_waitcnt vmcnt(3)
	v_lshlrev_b32_e32 v23, 16, v23
	v_add_f32_e32 v7, v23, v7
	v_lshlrev_b32_e32 v23, 16, v24
	v_add_f32_e32 v7, v7, v23
	s_waitcnt vmcnt(1)
	v_lshlrev_b32_e32 v23, 16, v26
	v_add_f32_e32 v7, v7, v23
	v_mul_f32_e32 v23, 0xbfb8aa3b, v7
	v_fma_f32 v24, v7, s11, -v23
	v_rndne_f32_e32 v26, v23
	v_fmac_f32_e32 v24, 0xb2a5705f, v7
	v_sub_f32_e32 v23, v23, v26
	v_add_f32_e32 v23, v23, v24
	v_exp_f32_e32 v23, v23
	v_cvt_i32_f32_e32 v24, v26
	v_cmp_nlt_f32_e32 vcc, s15, v7
	v_lshlrev_b32_e32 v6, 16, v6
	v_ldexp_f32 v23, v23, v24
	v_cndmask_b32_e32 v23, 0, v23, vcc
	v_cmp_ngt_f32_e32 vcc, s36, v7
	v_cndmask_b32_e32 v7, v14, v23, vcc
	v_add_f32_e32 v7, 1.0, v7
	v_div_scale_f32 v23, s[20:21], v7, v7, 1.0
	v_rcp_f32_e32 v24, v23
	v_fma_f32 v26, -v23, v24, 1.0
	v_fmac_f32_e32 v24, v26, v24
	v_div_scale_f32 v26, vcc, 1.0, v7, 1.0
	v_mul_f32_e32 v27, v26, v24
	v_fma_f32 v28, -v23, v27, v26
	v_fmac_f32_e32 v27, v28, v24
	v_fma_f32 v23, -v23, v27, v26
	v_div_fmas_f32 v23, v23, v24, v27
	v_div_fixup_f32 v23, v23, v7, 1.0
	v_lshlrev_b32_e32 v7, 16, v21
	v_and_b32_e32 v27, 0xffff0000, v25
	v_lshlrev_b32_e32 v26, 16, v25
	v_pk_add_f32 v[6:7], v[6:7], v[26:27]
	v_fma_f32 v6, v7, v23, v6
	v_cmp_nlt_f32_e64 s[20:21], |v6|, s37
                                        ; implicit-def: $vgpr21
	s_and_saveexec_b64 s[44:45], s[20:21]
	s_xor_b64 s[20:21], exec, s[44:45]
	s_cbranch_execz .LBB44_7
; %bb.6:                                ;   in Loop: Header=BB44_3 Depth=1
	v_add_f32_e64 v21, |v6|, |v6|
	v_mul_f32_e32 v24, 0x3fb8aa3b, v21
	v_rndne_f32_e32 v25, v24
	v_sub_f32_e32 v26, v24, v25
	v_fma_f32 v24, v21, s38, -v24
	v_fmac_f32_e32 v24, 0x32a5705f, v21
	v_add_f32_e32 v24, v26, v24
	v_cvt_i32_f32_e32 v25, v25
	v_exp_f32_e32 v24, v24
	v_cmp_ngt_f32_e32 vcc, s39, v21
	v_ldexp_f32 v24, v24, v25
	v_cndmask_b32_e32 v24, 0, v24, vcc
	v_cmp_nlt_f32_e32 vcc, s40, v21
	v_cndmask_b32_e32 v21, v14, v24, vcc
	v_add_f32_e32 v21, 1.0, v21
	v_rcp_f32_e32 v21, v21
	v_fma_f32 v21, v21, -2.0, 1.0
.LBB44_7:                               ;   in Loop: Header=BB44_3 Depth=1
	s_andn2_saveexec_b64 s[20:21], s[20:21]
	s_cbranch_execz .LBB44_2
; %bb.8:                                ;   in Loop: Header=BB44_3 Depth=1
	v_mul_f32_e32 v21, v6, v6
	v_mov_b32_e32 v24, 0x3ca908c9
	v_fmac_f32_e32 v24, 0xbbbac73d, v21
	v_fma_f32 v24, v21, v24, v11
	v_fma_f32 v24, v21, v24, v12
	;; [unrolled: 1-line block ×3, first 2 shown]
	v_mul_f32_e64 v24, |v6|, v24
	v_fma_f32 v21, v21, v24, |v6|
	s_branch .LBB44_2
.LBB44_9:
	s_endpgm
	.section	.rodata,"a",@progbits
	.p2align	6, 0x0
	.amdhsa_kernel _ZN2at6native12_GLOBAL__N_16kernel16gru_cell_forwardIN3c108BFloat16EfiLi1EEEvNS_4cuda6detail10TensorInfoIT_T1_EESB_SB_SB_SB_SB_SB_SA_SA_
		.amdhsa_group_segment_fixed_size 0
		.amdhsa_private_segment_fixed_size 0
		.amdhsa_kernarg_size 1776
		.amdhsa_user_sgpr_count 6
		.amdhsa_user_sgpr_private_segment_buffer 1
		.amdhsa_user_sgpr_dispatch_ptr 0
		.amdhsa_user_sgpr_queue_ptr 0
		.amdhsa_user_sgpr_kernarg_segment_ptr 1
		.amdhsa_user_sgpr_dispatch_id 0
		.amdhsa_user_sgpr_flat_scratch_init 0
		.amdhsa_user_sgpr_kernarg_preload_length 0
		.amdhsa_user_sgpr_kernarg_preload_offset 0
		.amdhsa_user_sgpr_private_segment_size 0
		.amdhsa_uses_dynamic_stack 0
		.amdhsa_system_sgpr_private_segment_wavefront_offset 0
		.amdhsa_system_sgpr_workgroup_id_x 1
		.amdhsa_system_sgpr_workgroup_id_y 0
		.amdhsa_system_sgpr_workgroup_id_z 0
		.amdhsa_system_sgpr_workgroup_info 0
		.amdhsa_system_vgpr_workitem_id 0
		.amdhsa_next_free_vgpr 37
		.amdhsa_next_free_sgpr 46
		.amdhsa_accum_offset 40
		.amdhsa_reserve_vcc 1
		.amdhsa_reserve_flat_scratch 0
		.amdhsa_float_round_mode_32 0
		.amdhsa_float_round_mode_16_64 0
		.amdhsa_float_denorm_mode_32 3
		.amdhsa_float_denorm_mode_16_64 3
		.amdhsa_dx10_clamp 1
		.amdhsa_ieee_mode 1
		.amdhsa_fp16_overflow 0
		.amdhsa_tg_split 0
		.amdhsa_exception_fp_ieee_invalid_op 0
		.amdhsa_exception_fp_denorm_src 0
		.amdhsa_exception_fp_ieee_div_zero 0
		.amdhsa_exception_fp_ieee_overflow 0
		.amdhsa_exception_fp_ieee_underflow 0
		.amdhsa_exception_fp_ieee_inexact 0
		.amdhsa_exception_int_div_zero 0
	.end_amdhsa_kernel
	.section	.text._ZN2at6native12_GLOBAL__N_16kernel16gru_cell_forwardIN3c108BFloat16EfiLi1EEEvNS_4cuda6detail10TensorInfoIT_T1_EESB_SB_SB_SB_SB_SB_SA_SA_,"axG",@progbits,_ZN2at6native12_GLOBAL__N_16kernel16gru_cell_forwardIN3c108BFloat16EfiLi1EEEvNS_4cuda6detail10TensorInfoIT_T1_EESB_SB_SB_SB_SB_SB_SA_SA_,comdat
.Lfunc_end44:
	.size	_ZN2at6native12_GLOBAL__N_16kernel16gru_cell_forwardIN3c108BFloat16EfiLi1EEEvNS_4cuda6detail10TensorInfoIT_T1_EESB_SB_SB_SB_SB_SB_SA_SA_, .Lfunc_end44-_ZN2at6native12_GLOBAL__N_16kernel16gru_cell_forwardIN3c108BFloat16EfiLi1EEEvNS_4cuda6detail10TensorInfoIT_T1_EESB_SB_SB_SB_SB_SB_SA_SA_
                                        ; -- End function
	.section	.AMDGPU.csdata,"",@progbits
; Kernel info:
; codeLenInByte = 2168
; NumSgprs: 50
; NumVgprs: 37
; NumAgprs: 0
; TotalNumVgprs: 37
; ScratchSize: 0
; MemoryBound: 0
; FloatMode: 240
; IeeeMode: 1
; LDSByteSize: 0 bytes/workgroup (compile time only)
; SGPRBlocks: 6
; VGPRBlocks: 4
; NumSGPRsForWavesPerEU: 50
; NumVGPRsForWavesPerEU: 37
; AccumOffset: 40
; Occupancy: 8
; WaveLimiterHint : 1
; COMPUTE_PGM_RSRC2:SCRATCH_EN: 0
; COMPUTE_PGM_RSRC2:USER_SGPR: 6
; COMPUTE_PGM_RSRC2:TRAP_HANDLER: 0
; COMPUTE_PGM_RSRC2:TGID_X_EN: 1
; COMPUTE_PGM_RSRC2:TGID_Y_EN: 0
; COMPUTE_PGM_RSRC2:TGID_Z_EN: 0
; COMPUTE_PGM_RSRC2:TIDIG_COMP_CNT: 0
; COMPUTE_PGM_RSRC3_GFX90A:ACCUM_OFFSET: 9
; COMPUTE_PGM_RSRC3_GFX90A:TG_SPLIT: 0
	.section	.text._ZN2at6native12_GLOBAL__N_16kernel16gru_cell_forwardIN3c108BFloat16EfiLi2EEEvNS_4cuda6detail10TensorInfoIT_T1_EESB_SB_SB_SB_SB_SB_SA_SA_,"axG",@progbits,_ZN2at6native12_GLOBAL__N_16kernel16gru_cell_forwardIN3c108BFloat16EfiLi2EEEvNS_4cuda6detail10TensorInfoIT_T1_EESB_SB_SB_SB_SB_SB_SA_SA_,comdat
	.globl	_ZN2at6native12_GLOBAL__N_16kernel16gru_cell_forwardIN3c108BFloat16EfiLi2EEEvNS_4cuda6detail10TensorInfoIT_T1_EESB_SB_SB_SB_SB_SB_SA_SA_ ; -- Begin function _ZN2at6native12_GLOBAL__N_16kernel16gru_cell_forwardIN3c108BFloat16EfiLi2EEEvNS_4cuda6detail10TensorInfoIT_T1_EESB_SB_SB_SB_SB_SB_SA_SA_
	.p2align	8
	.type	_ZN2at6native12_GLOBAL__N_16kernel16gru_cell_forwardIN3c108BFloat16EfiLi2EEEvNS_4cuda6detail10TensorInfoIT_T1_EESB_SB_SB_SB_SB_SB_SA_SA_,@function
_ZN2at6native12_GLOBAL__N_16kernel16gru_cell_forwardIN3c108BFloat16EfiLi2EEEvNS_4cuda6detail10TensorInfoIT_T1_EESB_SB_SB_SB_SB_SB_SA_SA_: ; @_ZN2at6native12_GLOBAL__N_16kernel16gru_cell_forwardIN3c108BFloat16EfiLi2EEEvNS_4cuda6detail10TensorInfoIT_T1_EESB_SB_SB_SB_SB_SB_SA_SA_
; %bb.0:
	s_load_dword s0, s[4:5], 0x5fc
	s_load_dwordx2 s[2:3], s[4:5], 0x5e8
	s_add_u32 s26, s4, 0x5f0
	s_addc_u32 s27, s5, 0
	s_waitcnt lgkmcnt(0)
	s_and_b32 s30, s0, 0xffff
	s_mul_i32 s6, s6, s30
	v_add_u32_e32 v0, s6, v0
	v_cmp_gt_i32_e32 vcc, s3, v0
	s_and_saveexec_b64 s[0:1], vcc
	s_cbranch_execz .LBB45_9
; %bb.1:
	s_load_dwordx2 s[6:7], s[4:5], 0x0
	s_load_dword s33, s[4:5], 0xc
	s_load_dwordx2 s[8:9], s[4:5], 0x6c
	s_load_dwordx2 s[10:11], s[4:5], 0xd8
	s_load_dword s34, s[4:5], 0xe4
	s_load_dwordx2 s[12:13], s[4:5], 0x144
	;; [unrolled: 3-line block ×3, first 2 shown]
	s_load_dword s36, s[4:5], 0x2f4
	s_load_dwordx2 s[18:19], s[4:5], 0x360
	s_load_dword s31, s[4:5], 0x36c
	s_waitcnt lgkmcnt(0)
	s_cmp_lg_u64 s[14:15], 0
	s_cselect_b64 s[0:1], -1, 0
	s_abs_i32 s37, s2
	v_cvt_f32_u32_e32 v1, s37
	s_load_dwordx2 s[20:21], s[4:5], 0x3cc
	s_load_dwordx2 s[22:23], s[4:5], 0x438
	s_load_dword s55, s[4:5], 0x444
	s_load_dwordx2 s[24:25], s[4:5], 0x4a4
	s_load_dword s39, s[26:27], 0x0
	s_abs_i32 s40, s33
	v_cvt_f32_u32_e32 v2, s40
	v_rcp_iflag_f32_e32 v1, v1
	s_abs_i32 s42, s34
	s_waitcnt lgkmcnt(0)
	s_mul_i32 s39, s39, s30
	s_sub_i32 s30, 0, s37
	v_mul_f32_e32 v1, 0x4f7ffffe, v1
	v_cvt_u32_f32_e32 v1, v1
	v_rcp_iflag_f32_e32 v2, v2
	s_abs_i32 s44, s31
	s_load_dwordx2 s[26:27], s[4:5], 0x510
	s_load_dword s38, s[4:5], 0x51c
	s_load_dwordx2 s[28:29], s[4:5], 0x57c
	v_mul_lo_u32 v3, s30, v1
	v_mul_hi_u32 v3, v1, v3
	v_add_u32_e32 v1, v1, v3
	v_cvt_f32_u32_e32 v3, s42
	v_mul_f32_e32 v2, 0x4f7ffffe, v2
	v_cvt_u32_f32_e32 v2, v2
	s_sub_i32 s30, 0, s40
	v_rcp_iflag_f32_e32 v3, v3
	s_abs_i32 s47, s55
	v_mul_lo_u32 v4, s30, v2
	v_mul_hi_u32 v4, v2, v4
	v_add_u32_e32 v4, v2, v4
	v_mul_f32_e32 v2, 0x4f7ffffe, v3
	v_cvt_f32_u32_e32 v3, s44
	v_cvt_u32_f32_e32 v2, v2
	s_sub_i32 s30, 0, s42
	s_waitcnt lgkmcnt(0)
	s_abs_i32 s48, s38
	v_rcp_iflag_f32_e32 v3, v3
	v_mul_lo_u32 v5, s30, v2
	v_mul_hi_u32 v5, v2, v5
	v_add_u32_e32 v5, v2, v5
	v_mul_f32_e32 v2, 0x4f7ffffe, v3
	v_cvt_u32_f32_e32 v2, v2
	s_sub_i32 s30, 0, s44
	v_cvt_f32_u32_e32 v3, s47
	s_mov_b64 s[4:5], 0
	v_mul_lo_u32 v6, s30, v2
	v_mul_hi_u32 v6, v2, v6
	v_add_u32_e32 v6, v2, v6
	v_cvt_f32_u32_e32 v2, s48
	v_rcp_iflag_f32_e32 v3, v3
	s_sub_i32 s30, 0, s47
	s_ashr_i32 s41, s2, 31
	v_rcp_iflag_f32_e32 v2, v2
	v_mul_f32_e32 v3, 0x4f7ffffe, v3
	v_cvt_u32_f32_e32 v3, v3
	s_ashr_i32 s43, s33, 31
	v_mul_f32_e32 v2, 0x4f7ffffe, v2
	v_cvt_u32_f32_e32 v2, v2
	v_mul_lo_u32 v7, s30, v3
	v_mul_hi_u32 v7, v3, v7
	s_sub_i32 s30, 0, s48
	v_add_u32_e32 v7, v3, v7
	v_mul_lo_u32 v3, s30, v2
	v_mul_hi_u32 v3, v2, v3
	v_add_u32_e32 v8, v2, v3
	v_cndmask_b32_e64 v2, 0, 1, s[0:1]
	s_ashr_i32 s45, s34, 31
	s_ashr_i32 s46, s31, 31
	;; [unrolled: 1-line block ×4, first 2 shown]
	s_lshl_b32 s51, s2, 1
	s_lshl_b32 s52, s2, 2
	s_sub_i32 s53, 0, s2
	s_sub_i32 s54, 0, s31
	;; [unrolled: 1-line block ×3, first 2 shown]
	v_mov_b32_e32 v9, s7
	v_mov_b32_e32 v10, s11
	;; [unrolled: 1-line block ×3, first 2 shown]
	v_cmp_ne_u32_e64 s[0:1], 1, v2
	s_mov_b32 s7, 0x5040100
	s_mov_b32 s11, 0xbfb8aa3b
	;; [unrolled: 1-line block ×8, first 2 shown]
	v_mov_b32_e32 v12, 0xbd5c1c4e
	v_mov_b32_e32 v13, 0x3e088382
	;; [unrolled: 1-line block ×3, first 2 shown]
	s_brev_b32 s61, -2
	s_movk_i32 s62, 0x7fff
	v_mov_b32_e32 v15, 0x7f800000
	v_mov_b32_e32 v16, 0x7fc0
	s_branch .LBB45_3
.LBB45_2:                               ;   in Loop: Header=BB45_3 Depth=1
	s_or_b64 exec, exec, s[30:31]
	v_lshlrev_b32_e32 v23, 16, v23
	v_lshlrev_b32_e32 v24, 16, v24
	v_add_f32_e32 v23, v23, v24
	v_lshlrev_b32_e32 v24, 16, v26
	v_add_f32_e32 v23, v23, v24
	s_waitcnt vmcnt(0)
	v_lshlrev_b32_e32 v24, 16, v28
	v_add_f32_e32 v23, v23, v24
	v_mul_f32_e32 v24, 0xbfb8aa3b, v23
	v_fma_f32 v26, v23, s11, -v24
	v_rndne_f32_e32 v28, v24
	v_fmac_f32_e32 v26, 0xb2a5705f, v23
	v_sub_f32_e32 v24, v24, v28
	v_add_f32_e32 v24, v24, v26
	v_exp_f32_e32 v24, v24
	v_cvt_i32_f32_e32 v26, v28
	v_cmp_nlt_f32_e32 vcc, s19, v23
	v_mul_lo_u32 v28, s52, v21
	v_xor_b32_e32 v19, s49, v19
	v_ldexp_f32 v24, v24, v26
	v_cndmask_b32_e32 v24, 0, v24, vcc
	v_cmp_ngt_f32_e32 vcc, s56, v23
	v_cndmask_b32_e32 v23, v15, v24, vcc
	v_add_f32_e32 v23, 1.0, v23
	v_div_scale_f32 v24, s[30:31], v23, v23, 1.0
	v_rcp_f32_e32 v26, v24
	v_add_u32_e32 v29, v0, v28
	v_lshlrev_b32_e32 v17, 2, v17
	v_fma_f32 v21, -v24, v26, 1.0
	v_fmac_f32_e32 v26, v21, v26
	v_div_scale_f32 v21, vcc, 1.0, v23, 1.0
	v_mul_f32_e32 v30, v21, v26
	v_fma_f32 v31, -v24, v30, v21
	v_fmac_f32_e32 v30, v31, v26
	v_fma_f32 v21, -v24, v30, v21
	v_div_fmas_f32 v21, v21, v26, v30
	v_div_fixup_f32 v23, v21, v23, 1.0
	v_mul_hi_u32 v21, v20, v7
	v_mul_lo_u32 v24, v21, s47
	v_sub_u32_e32 v20, v20, v24
	v_add_u32_e32 v24, 1, v21
	v_cmp_le_u32_e32 vcc, s47, v20
	v_cndmask_b32_e32 v21, v21, v24, vcc
	v_subrev_u32_e32 v24, s47, v20
	v_cndmask_b32_e32 v20, v20, v24, vcc
	v_add_u32_e32 v24, 1, v21
	v_cmp_le_u32_e32 vcc, s47, v20
	v_cndmask_b32_e32 v20, v21, v24, vcc
	v_xor_b32_e32 v20, v20, v19
	v_sub_u32_e32 v19, v20, v19
	v_mad_u64_u32 v[20:21], s[30:31], s55, v19, v[0:1]
	v_mul_lo_u32 v20, v20, s25
	v_mad_u64_u32 v[20:21], s[30:31], v19, s24, v[20:21]
	v_ashrrev_i32_e32 v21, 31, v20
	v_bfi_b32 v24, s61, v25, v2
	v_lshlrev_b32_e32 v2, 16, v22
	v_lshlrev_b64 v[20:21], 1, v[20:21]
	v_sub_f32_e32 v2, v2, v24
	v_mov_b32_e32 v19, s23
	v_add_co_u32_e32 v20, vcc, s22, v20
	v_fma_f32 v2, v23, v2, v24
	v_addc_co_u32_e32 v21, vcc, v19, v21, vcc
	v_bfe_u32 v19, v2, 16, 1
	v_add3_u32 v19, v2, v19, s62
	v_lshrrev_b32_e32 v19, 16, v19
	v_cmp_o_f32_e32 vcc, v2, v2
	v_cndmask_b32_e32 v2, v16, v19, vcc
	global_store_short v[20:21], v2, off
	v_bfe_u32 v2, v27, 16, 1
	v_add3_u32 v2, v27, v2, s62
	v_lshrrev_b32_e32 v2, 16, v2
	v_cmp_o_f32_e32 vcc, v27, v27
	v_cndmask_b32_e32 v19, v16, v2, vcc
	v_ashrrev_i32_e32 v2, 31, v29
	v_add3_u32 v21, v2, v28, v0
	v_xor_b32_e32 v20, s50, v2
	v_xor_b32_e32 v2, v21, v2
	v_mul_hi_u32 v21, v2, v8
	v_mul_lo_u32 v25, v21, s48
	v_sub_u32_e32 v2, v2, v25
	v_add_u32_e32 v25, 1, v21
	v_cmp_le_u32_e32 vcc, s48, v2
	v_cndmask_b32_e32 v21, v21, v25, vcc
	v_subrev_u32_e32 v25, s48, v2
	v_cndmask_b32_e32 v2, v2, v25, vcc
	v_add_u32_e32 v25, 1, v21
	v_cmp_le_u32_e32 vcc, s48, v2
	v_cndmask_b32_e32 v2, v21, v25, vcc
	v_xor_b32_e32 v2, v2, v20
	v_sub_u32_e32 v20, v2, v20
	v_mul_lo_u32 v2, v20, s38
	v_sub_u32_e32 v2, v28, v2
	v_add_u32_e32 v2, v0, v2
	v_mul_lo_u32 v2, v2, s29
	v_mad_u64_u32 v[20:21], s[30:31], v20, s28, v[2:3]
	v_ashrrev_i32_e32 v21, 31, v20
	v_lshlrev_b64 v[20:21], 1, v[20:21]
	v_mov_b32_e32 v25, s27
	v_add_co_u32_e32 v20, vcc, s26, v20
	v_bfe_u32 v2, v23, 16, 1
	v_addc_co_u32_e32 v21, vcc, v25, v21, vcc
	v_add3_u32 v2, v23, v2, s62
	v_lshrrev_b32_e32 v2, 16, v2
	v_cmp_o_f32_e32 vcc, v23, v23
	global_store_short v[20:21], v19, off
	v_cndmask_b32_e32 v20, v16, v2, vcc
	v_lshlrev_b32_e32 v2, 2, v18
	v_sub_u32_e32 v17, v2, v17
	v_or_b32_e32 v2, 1, v17
	v_mul_lo_u32 v2, s2, v2
	v_add_u32_e32 v18, v0, v2
	v_ashrrev_i32_e32 v18, 31, v18
	v_add3_u32 v21, v18, v2, v0
	v_xor_b32_e32 v19, s50, v18
	v_xor_b32_e32 v18, v21, v18
	v_mul_hi_u32 v21, v18, v8
	v_mul_lo_u32 v23, v21, s48
	v_sub_u32_e32 v18, v18, v23
	v_add_u32_e32 v23, 1, v21
	v_cmp_le_u32_e32 vcc, s48, v18
	v_cndmask_b32_e32 v21, v21, v23, vcc
	v_subrev_u32_e32 v23, s48, v18
	v_cndmask_b32_e32 v18, v18, v23, vcc
	v_add_u32_e32 v23, 1, v21
	v_cmp_le_u32_e32 vcc, s48, v18
	v_cndmask_b32_e32 v18, v21, v23, vcc
	v_xor_b32_e32 v18, v18, v19
	v_sub_u32_e32 v18, v18, v19
	v_mul_lo_u32 v19, v18, s38
	v_sub_u32_e32 v2, v2, v19
	v_add_u32_e32 v2, v0, v2
	v_mul_lo_u32 v2, v2, s29
	v_mad_u64_u32 v[18:19], s[30:31], v18, s28, v[2:3]
	v_ashrrev_i32_e32 v19, 31, v18
	v_lshlrev_b64 v[18:19], 1, v[18:19]
	v_add_co_u32_e32 v18, vcc, s26, v18
	v_bfe_u32 v2, v24, 16, 1
	v_addc_co_u32_e32 v19, vcc, v25, v19, vcc
	v_add3_u32 v2, v24, v2, s62
	v_lshrrev_b32_e32 v2, 16, v2
	v_cmp_o_f32_e32 vcc, v24, v24
	global_store_short v[18:19], v20, off
	v_cndmask_b32_e32 v20, v16, v2, vcc
	v_or_b32_e32 v2, 2, v17
	v_mul_lo_u32 v2, s2, v2
	v_add_u32_e32 v18, v0, v2
	v_ashrrev_i32_e32 v18, 31, v18
	v_add3_u32 v21, v18, v2, v0
	v_xor_b32_e32 v19, s50, v18
	v_xor_b32_e32 v18, v21, v18
	v_mul_hi_u32 v21, v18, v8
	v_mul_lo_u32 v23, v21, s48
	v_sub_u32_e32 v18, v18, v23
	v_add_u32_e32 v23, 1, v21
	v_cmp_le_u32_e32 vcc, s48, v18
	v_cndmask_b32_e32 v21, v21, v23, vcc
	v_subrev_u32_e32 v23, s48, v18
	v_cndmask_b32_e32 v18, v18, v23, vcc
	v_add_u32_e32 v23, 1, v21
	v_cmp_le_u32_e32 vcc, s48, v18
	v_cndmask_b32_e32 v18, v21, v23, vcc
	v_xor_b32_e32 v18, v18, v19
	v_sub_u32_e32 v18, v18, v19
	v_mul_lo_u32 v19, v18, s38
	v_sub_u32_e32 v2, v2, v19
	v_add_u32_e32 v2, v0, v2
	v_mul_lo_u32 v2, v2, s29
	v_mad_u64_u32 v[18:19], s[30:31], v18, s28, v[2:3]
	v_ashrrev_i32_e32 v19, 31, v18
	v_lshlrev_b64 v[18:19], 1, v[18:19]
	v_add_co_u32_e32 v18, vcc, s26, v18
	v_or_b32_e32 v2, 3, v17
	v_addc_co_u32_e32 v19, vcc, v25, v19, vcc
	v_mul_lo_u32 v2, s2, v2
	global_store_short v[18:19], v20, off
	v_add_u32_e32 v18, v0, v2
	v_ashrrev_i32_e32 v18, 31, v18
	v_add3_u32 v20, v18, v2, v0
	v_xor_b32_e32 v19, s50, v18
	v_xor_b32_e32 v18, v20, v18
	v_mul_hi_u32 v20, v18, v8
	v_mul_lo_u32 v21, v20, s48
	v_sub_u32_e32 v18, v18, v21
	v_add_u32_e32 v21, 1, v20
	v_cmp_le_u32_e32 vcc, s48, v18
	v_cndmask_b32_e32 v20, v20, v21, vcc
	v_subrev_u32_e32 v21, s48, v18
	v_cndmask_b32_e32 v18, v18, v21, vcc
	v_add_u32_e32 v21, 1, v20
	v_cmp_le_u32_e32 vcc, s48, v18
	v_cndmask_b32_e32 v18, v20, v21, vcc
	v_xor_b32_e32 v18, v18, v19
	v_sub_u32_e32 v18, v18, v19
	v_mul_lo_u32 v19, v18, s38
	v_sub_u32_e32 v2, v2, v19
	v_add_u32_e32 v2, v0, v2
	v_mul_lo_u32 v2, v2, s29
	v_mad_u64_u32 v[18:19], s[30:31], v18, s28, v[2:3]
	v_ashrrev_i32_e32 v19, 31, v18
	v_lshlrev_b64 v[18:19], 1, v[18:19]
	v_add_co_u32_e32 v18, vcc, s26, v18
	v_bfe_u32 v2, v3, 16, 1
	v_addc_co_u32_e32 v19, vcc, v25, v19, vcc
	v_add3_u32 v2, v3, v2, s62
	v_lshrrev_b32_e32 v2, 16, v2
	v_cmp_o_f32_e32 vcc, v3, v3
	global_store_short v[18:19], v22, off
	v_cndmask_b32_e32 v18, v16, v2, vcc
	v_add_u32_e32 v2, 4, v17
	v_mul_lo_u32 v2, s2, v2
	v_add_u32_e32 v3, v0, v2
	v_ashrrev_i32_e32 v3, 31, v3
	v_add3_u32 v19, v3, v2, v0
	v_xor_b32_e32 v17, s50, v3
	v_xor_b32_e32 v3, v19, v3
	v_mul_hi_u32 v19, v3, v8
	v_mul_lo_u32 v20, v19, s48
	v_sub_u32_e32 v3, v3, v20
	v_add_u32_e32 v20, 1, v19
	v_cmp_le_u32_e32 vcc, s48, v3
	v_cndmask_b32_e32 v19, v19, v20, vcc
	v_subrev_u32_e32 v20, s48, v3
	v_cndmask_b32_e32 v3, v3, v20, vcc
	v_add_u32_e32 v20, 1, v19
	v_cmp_le_u32_e32 vcc, s48, v3
	v_cndmask_b32_e32 v3, v19, v20, vcc
	v_xor_b32_e32 v3, v3, v17
	v_sub_u32_e32 v3, v3, v17
	v_mul_lo_u32 v17, v3, s38
	v_sub_u32_e32 v2, v2, v17
	v_add_u32_e32 v2, v0, v2
	v_mul_lo_u32 v2, v2, s29
	v_mad_u64_u32 v[2:3], s[30:31], v3, s28, v[2:3]
	v_ashrrev_i32_e32 v3, 31, v2
	v_lshlrev_b64 v[2:3], 1, v[2:3]
	v_add_co_u32_e32 v2, vcc, s26, v2
	v_addc_co_u32_e32 v3, vcc, v25, v3, vcc
	v_add_u32_e32 v0, s39, v0
	v_cmp_le_i32_e32 vcc, s3, v0
	s_or_b64 s[4:5], vcc, s[4:5]
	global_store_short v[2:3], v18, off
	s_andn2_b64 exec, exec, s[4:5]
	s_cbranch_execz .LBB45_9
.LBB45_3:                               ; =>This Inner Loop Header: Depth=1
	v_sub_u32_e32 v2, 0, v0
	v_max_i32_e32 v20, v0, v2
	v_mul_hi_u32 v2, v20, v1
	v_mul_lo_u32 v3, v2, s37
	v_sub_u32_e32 v3, v20, v3
	v_add_u32_e32 v18, 1, v2
	v_cmp_le_u32_e32 vcc, s37, v3
	v_cndmask_b32_e32 v2, v2, v18, vcc
	v_subrev_u32_e32 v18, s37, v3
	v_cndmask_b32_e32 v3, v3, v18, vcc
	v_ashrrev_i32_e32 v19, 31, v0
	v_add_u32_e32 v18, 1, v2
	v_cmp_le_u32_e32 vcc, s37, v3
	v_xor_b32_e32 v17, s41, v19
	v_cndmask_b32_e32 v2, v2, v18, vcc
	v_xor_b32_e32 v18, v2, v17
	v_sub_u32_e32 v21, v18, v17
	v_mul_lo_u32 v26, s51, v21
	v_add_u32_e32 v2, v0, v26
	v_ashrrev_i32_e32 v27, 31, v2
	v_add3_u32 v3, v27, v26, v0
	v_xor_b32_e32 v28, v3, v27
	v_mul_hi_u32 v3, v28, v4
	v_mul_lo_u32 v22, v3, s40
	v_sub_u32_e32 v22, v28, v22
	v_add_u32_e32 v23, 1, v3
	v_cmp_le_u32_e32 vcc, s40, v22
	v_cndmask_b32_e32 v3, v3, v23, vcc
	v_subrev_u32_e32 v23, s40, v22
	v_cndmask_b32_e32 v22, v22, v23, vcc
	v_add_u32_e32 v23, 1, v3
	v_cmp_le_u32_e32 vcc, s40, v22
	v_xor_b32_e32 v2, s43, v27
	v_cndmask_b32_e32 v3, v3, v23, vcc
	v_xor_b32_e32 v3, v3, v2
	v_lshlrev_b32_e32 v22, 1, v18
	v_lshlrev_b32_e32 v23, 1, v17
	v_sub_u32_e32 v3, v3, v2
	v_sub_u32_e32 v24, v22, v23
	v_mul_lo_u32 v2, v3, s33
	v_or_b32_e32 v22, 1, v24
	v_sub_u32_e32 v2, v26, v2
	v_mul_lo_u32 v29, s2, v22
	v_add_u32_e32 v2, v0, v2
	v_add_u32_e32 v22, v0, v29
	v_mul_lo_u32 v2, v2, s9
	v_ashrrev_i32_e32 v30, 31, v22
	v_mad_u64_u32 v[2:3], s[30:31], v3, s8, v[2:3]
	v_add3_u32 v23, v30, v29, v0
	v_ashrrev_i32_e32 v3, 31, v2
	v_xor_b32_e32 v31, v23, v30
	v_lshlrev_b64 v[2:3], 1, v[2:3]
	v_mul_hi_u32 v23, v31, v4
	v_add_co_u32_e32 v2, vcc, s6, v2
	v_mul_lo_u32 v25, v23, s40
	v_addc_co_u32_e32 v3, vcc, v9, v3, vcc
	v_sub_u32_e32 v25, v31, v25
	v_add_u32_e32 v32, 1, v23
	v_cmp_le_u32_e32 vcc, s40, v25
	v_cndmask_b32_e32 v23, v23, v32, vcc
	v_subrev_u32_e32 v32, s40, v25
	v_cndmask_b32_e32 v25, v25, v32, vcc
	v_add_u32_e32 v32, 1, v23
	v_cmp_le_u32_e32 vcc, s40, v25
	v_xor_b32_e32 v22, s43, v30
	v_cndmask_b32_e32 v23, v23, v32, vcc
	v_xor_b32_e32 v23, v23, v22
	v_sub_u32_e32 v23, v23, v22
	v_mul_lo_u32 v22, v23, s33
	v_add_u32_e32 v24, 2, v24
	v_sub_u32_e32 v22, v29, v22
	v_mul_lo_u32 v32, s2, v24
	v_add_u32_e32 v22, v0, v22
	v_add_u32_e32 v24, v0, v32
	v_mul_lo_u32 v22, v22, s9
	v_ashrrev_i32_e32 v33, 31, v24
	v_mad_u64_u32 v[22:23], s[30:31], v23, s8, v[22:23]
	v_add3_u32 v25, v33, v32, v0
	v_ashrrev_i32_e32 v23, 31, v22
	v_xor_b32_e32 v34, v25, v33
	v_lshlrev_b64 v[22:23], 1, v[22:23]
	v_mul_hi_u32 v25, v34, v4
	v_add_co_u32_e32 v22, vcc, s6, v22
	v_mul_lo_u32 v35, v25, s40
	v_addc_co_u32_e32 v23, vcc, v9, v23, vcc
	v_sub_u32_e32 v35, v34, v35
	v_add_u32_e32 v36, 1, v25
	v_cmp_le_u32_e32 vcc, s40, v35
	v_cndmask_b32_e32 v25, v25, v36, vcc
	v_subrev_u32_e32 v36, s40, v35
	v_cndmask_b32_e32 v35, v35, v36, vcc
	v_add_u32_e32 v36, 1, v25
	v_cmp_le_u32_e32 vcc, s40, v35
	v_xor_b32_e32 v24, s43, v33
	v_cndmask_b32_e32 v25, v25, v36, vcc
	v_xor_b32_e32 v25, v25, v24
	v_sub_u32_e32 v25, v25, v24
	v_mul_lo_u32 v24, v25, s33
	v_sub_u32_e32 v24, v32, v24
	v_add_u32_e32 v24, v0, v24
	v_mul_lo_u32 v24, v24, s9
	v_mad_u64_u32 v[24:25], s[30:31], v25, s8, v[24:25]
	v_ashrrev_i32_e32 v25, 31, v24
	v_lshlrev_b64 v[24:25], 1, v[24:25]
	v_add_co_u32_e32 v24, vcc, s6, v24
	v_addc_co_u32_e32 v25, vcc, v9, v25, vcc
	global_load_ushort v3, v[2:3], off
	s_nop 0
	global_load_ushort v23, v[22:23], off
	s_nop 0
	global_load_ushort v2, v[24:25], off
	v_mul_hi_u32 v24, v28, v5
	v_mul_lo_u32 v25, v24, s42
	v_sub_u32_e32 v25, v28, v25
	v_xor_b32_e32 v22, s45, v27
	v_add_u32_e32 v27, 1, v24
	v_cmp_le_u32_e32 vcc, s42, v25
	v_cndmask_b32_e32 v24, v24, v27, vcc
	v_subrev_u32_e32 v27, s42, v25
	v_cndmask_b32_e32 v25, v25, v27, vcc
	v_add_u32_e32 v27, 1, v24
	v_cmp_le_u32_e32 vcc, s42, v25
	v_cndmask_b32_e32 v24, v24, v27, vcc
	v_xor_b32_e32 v24, v24, v22
	v_sub_u32_e32 v24, v24, v22
	v_mul_lo_u32 v22, v24, s34
	v_sub_u32_e32 v22, v26, v22
	v_add_u32_e32 v22, v0, v22
	v_mul_lo_u32 v22, v22, s13
	v_mul_hi_u32 v26, v31, v5
	v_mul_lo_u32 v27, v26, s42
	v_sub_u32_e32 v27, v31, v27
	v_add_u32_e32 v28, 1, v26
	s_waitcnt vmcnt(1)
	v_mad_u64_u32 v[24:25], s[30:31], v24, s12, v[22:23]
	v_ashrrev_i32_e32 v25, 31, v24
	v_lshlrev_b64 v[24:25], 1, v[24:25]
	v_add_co_u32_e32 v24, vcc, s10, v24
	v_addc_co_u32_e32 v25, vcc, v10, v25, vcc
	v_cmp_le_u32_e32 vcc, s42, v27
	v_cndmask_b32_e32 v26, v26, v28, vcc
	v_subrev_u32_e32 v28, s42, v27
	v_cndmask_b32_e32 v27, v27, v28, vcc
	v_add_u32_e32 v28, 1, v26
	v_cmp_le_u32_e32 vcc, s42, v27
	v_xor_b32_e32 v22, s45, v30
	v_cndmask_b32_e32 v26, v26, v28, vcc
	v_xor_b32_e32 v26, v26, v22
	v_sub_u32_e32 v26, v26, v22
	v_mul_lo_u32 v22, v26, s34
	v_sub_u32_e32 v22, v29, v22
	v_add_u32_e32 v22, v0, v22
	v_mul_lo_u32 v22, v22, s13
	v_mad_u64_u32 v[26:27], s[30:31], v26, s12, v[22:23]
	v_ashrrev_i32_e32 v27, 31, v26
	v_lshlrev_b64 v[26:27], 1, v[26:27]
	v_add_co_u32_e32 v28, vcc, s10, v26
	v_mul_hi_u32 v26, v34, v5
	v_addc_co_u32_e32 v29, vcc, v10, v27, vcc
	v_mul_lo_u32 v27, v26, s42
	v_sub_u32_e32 v27, v34, v27
	v_add_u32_e32 v30, 1, v26
	v_cmp_le_u32_e32 vcc, s42, v27
	v_cndmask_b32_e32 v26, v26, v30, vcc
	v_subrev_u32_e32 v30, s42, v27
	v_cndmask_b32_e32 v27, v27, v30, vcc
	v_add_u32_e32 v30, 1, v26
	v_cmp_le_u32_e32 vcc, s42, v27
	v_xor_b32_e32 v22, s45, v33
	v_cndmask_b32_e32 v26, v26, v30, vcc
	v_xor_b32_e32 v26, v26, v22
	v_sub_u32_e32 v26, v26, v22
	v_mul_lo_u32 v22, v26, s34
	v_sub_u32_e32 v22, v32, v22
	v_add_u32_e32 v22, v0, v22
	v_mul_lo_u32 v22, v22, s13
	v_mad_u64_u32 v[26:27], s[30:31], v26, s12, v[22:23]
	v_ashrrev_i32_e32 v27, 31, v26
	v_lshlrev_b64 v[26:27], 1, v[26:27]
	v_add_co_u32_e32 v30, vcc, s10, v26
	v_mul_hi_u32 v26, v20, v6
	v_addc_co_u32_e32 v31, vcc, v10, v27, vcc
	global_load_ushort v27, v[24:25], off
	s_nop 0
	global_load_ushort v24, v[28:29], off
	global_load_ushort v25, v[30:31], off
	v_mul_lo_u32 v28, v26, s44
	v_sub_u32_e32 v28, v20, v28
	v_add_u32_e32 v29, 1, v26
	v_cmp_le_u32_e32 vcc, s44, v28
	v_cndmask_b32_e32 v26, v26, v29, vcc
	v_subrev_u32_e32 v29, s44, v28
	v_cndmask_b32_e32 v28, v28, v29, vcc
	v_add_u32_e32 v29, 1, v26
	v_cmp_le_u32_e32 vcc, s44, v28
	v_xor_b32_e32 v22, s46, v19
	v_cndmask_b32_e32 v26, v26, v29, vcc
	v_xor_b32_e32 v26, v26, v22
	v_sub_u32_e32 v26, v26, v22
	v_mad_u64_u32 v[28:29], s[30:31], s54, v26, v[0:1]
	v_mul_lo_u32 v22, v28, s21
	v_mad_u64_u32 v[28:29], s[30:31], v26, s20, v[22:23]
	v_ashrrev_i32_e32 v29, 31, v28
	v_lshlrev_b64 v[28:29], 1, v[28:29]
	v_add_co_u32_e32 v28, vcc, s18, v28
	v_addc_co_u32_e32 v29, vcc, v11, v29, vcc
	global_load_ushort v22, v[28:29], off
	s_and_b64 vcc, exec, s[0:1]
	v_mov_b32_e32 v28, 0
	v_mov_b32_e32 v31, 0
	;; [unrolled: 1-line block ×5, first 2 shown]
	s_cbranch_vccnz .LBB45_5
; %bb.4:                                ;   in Loop: Header=BB45_3 Depth=1
	v_mad_u64_u32 v[28:29], s[30:31], s53, v21, v[0:1]
	v_sub_u32_e32 v29, v17, v18
	v_mul_lo_u32 v30, v28, s35
	v_mul_lo_u32 v32, s2, v29
	v_ashrrev_i32_e32 v31, 31, v30
	v_add3_u32 v38, v32, s2, v0
	v_lshlrev_b64 v[30:31], 1, v[30:31]
	v_mul_lo_u32 v32, v38, s35
	v_add_u32_e32 v29, 2, v29
	v_mov_b32_e32 v26, s15
	v_add_co_u32_e32 v30, vcc, s14, v30
	v_ashrrev_i32_e32 v33, 31, v32
	v_mad_u64_u32 v[34:35], s[30:31], s2, v29, v[0:1]
	v_addc_co_u32_e32 v31, vcc, v26, v31, vcc
	v_lshlrev_b64 v[32:33], 1, v[32:33]
	v_mul_lo_u32 v36, v34, s35
	v_add_co_u32_e32 v32, vcc, s14, v32
	v_ashrrev_i32_e32 v37, 31, v36
	v_addc_co_u32_e32 v33, vcc, v26, v33, vcc
	v_lshlrev_b64 v[36:37], 1, v[36:37]
	v_add_co_u32_e32 v36, vcc, s14, v36
	v_addc_co_u32_e32 v37, vcc, v26, v37, vcc
	global_load_ushort v29, v[30:31], off
	global_load_ushort v26, v[32:33], off
	s_nop 0
	global_load_ushort v36, v[36:37], off
	v_mul_lo_u32 v30, v28, s36
	v_ashrrev_i32_e32 v31, 31, v30
	v_lshlrev_b64 v[30:31], 1, v[30:31]
	v_mul_lo_u32 v32, v38, s36
	v_mov_b32_e32 v28, s17
	v_add_co_u32_e32 v30, vcc, s16, v30
	v_ashrrev_i32_e32 v33, 31, v32
	v_addc_co_u32_e32 v31, vcc, v28, v31, vcc
	v_lshlrev_b64 v[32:33], 1, v[32:33]
	v_mul_lo_u32 v34, v34, s36
	v_add_co_u32_e32 v32, vcc, s16, v32
	v_ashrrev_i32_e32 v35, 31, v34
	v_addc_co_u32_e32 v33, vcc, v28, v33, vcc
	v_lshlrev_b64 v[34:35], 1, v[34:35]
	v_add_co_u32_e32 v34, vcc, s16, v34
	v_addc_co_u32_e32 v35, vcc, v28, v35, vcc
	global_load_ushort v34, v[34:35], off
	s_nop 0
	global_load_ushort v31, v[30:31], off
	s_nop 0
	global_load_ushort v28, v[32:33], off
	s_waitcnt vmcnt(2)
	v_perm_b32 v30, v34, v36, s7
.LBB45_5:                               ;   in Loop: Header=BB45_3 Depth=1
	v_lshlrev_b32_e32 v3, 16, v3
	s_waitcnt vmcnt(3)
	v_lshlrev_b32_e32 v27, 16, v27
	v_add_f32_e32 v3, v27, v3
	v_lshlrev_b32_e32 v27, 16, v29
	v_add_f32_e32 v3, v3, v27
	s_waitcnt vmcnt(1)
	v_lshlrev_b32_e32 v27, 16, v31
	v_add_f32_e32 v3, v3, v27
	v_mul_f32_e32 v27, 0xbfb8aa3b, v3
	v_fma_f32 v29, v3, s11, -v27
	v_rndne_f32_e32 v31, v27
	v_fmac_f32_e32 v29, 0xb2a5705f, v3
	v_sub_f32_e32 v27, v27, v31
	v_add_f32_e32 v27, v27, v29
	v_exp_f32_e32 v27, v27
	v_cvt_i32_f32_e32 v29, v31
	v_cmp_nlt_f32_e32 vcc, s19, v3
	v_lshlrev_b32_e32 v2, 16, v2
	v_ldexp_f32 v27, v27, v29
	v_cndmask_b32_e32 v27, 0, v27, vcc
	v_cmp_ngt_f32_e32 vcc, s56, v3
	v_cndmask_b32_e32 v3, v15, v27, vcc
	v_add_f32_e32 v3, 1.0, v3
	v_div_scale_f32 v27, s[30:31], v3, v3, 1.0
	v_rcp_f32_e32 v29, v27
	v_fma_f32 v31, -v27, v29, 1.0
	v_fmac_f32_e32 v29, v31, v29
	v_div_scale_f32 v31, vcc, 1.0, v3, 1.0
	v_mul_f32_e32 v32, v31, v29
	v_fma_f32 v33, -v27, v32, v31
	v_fmac_f32_e32 v32, v33, v29
	v_fma_f32 v27, -v27, v32, v31
	v_div_fmas_f32 v27, v27, v29, v32
	v_div_fixup_f32 v27, v27, v3, 1.0
	v_lshlrev_b32_e32 v3, 16, v25
	v_and_b32_e32 v31, 0xffff0000, v30
	v_lshlrev_b32_e32 v30, 16, v30
	v_pk_add_f32 v[2:3], v[2:3], v[30:31]
	v_fma_f32 v2, v3, v27, v2
	v_cmp_nlt_f32_e64 s[30:31], |v2|, s57
                                        ; implicit-def: $vgpr25
	s_and_saveexec_b64 s[64:65], s[30:31]
	s_xor_b64 s[30:31], exec, s[64:65]
	s_cbranch_execz .LBB45_7
; %bb.6:                                ;   in Loop: Header=BB45_3 Depth=1
	v_add_f32_e64 v25, |v2|, |v2|
	v_mul_f32_e32 v29, 0x3fb8aa3b, v25
	v_rndne_f32_e32 v30, v29
	v_sub_f32_e32 v31, v29, v30
	v_fma_f32 v29, v25, s58, -v29
	v_fmac_f32_e32 v29, 0x32a5705f, v25
	v_add_f32_e32 v29, v31, v29
	v_cvt_i32_f32_e32 v30, v30
	v_exp_f32_e32 v29, v29
	v_cmp_ngt_f32_e32 vcc, s59, v25
	v_ldexp_f32 v29, v29, v30
	v_cndmask_b32_e32 v29, 0, v29, vcc
	v_cmp_nlt_f32_e32 vcc, s60, v25
	v_cndmask_b32_e32 v25, v15, v29, vcc
	v_add_f32_e32 v25, 1.0, v25
	v_rcp_f32_e32 v25, v25
	v_fma_f32 v25, v25, -2.0, 1.0
.LBB45_7:                               ;   in Loop: Header=BB45_3 Depth=1
	s_andn2_saveexec_b64 s[30:31], s[30:31]
	s_cbranch_execz .LBB45_2
; %bb.8:                                ;   in Loop: Header=BB45_3 Depth=1
	v_mul_f32_e32 v25, v2, v2
	v_mov_b32_e32 v29, 0x3ca908c9
	v_fmac_f32_e32 v29, 0xbbbac73d, v25
	v_fma_f32 v29, v25, v29, v12
	v_fma_f32 v29, v25, v29, v13
	;; [unrolled: 1-line block ×3, first 2 shown]
	v_mul_f32_e64 v29, |v2|, v29
	v_fma_f32 v25, v25, v29, |v2|
	s_branch .LBB45_2
.LBB45_9:
	s_endpgm
	.section	.rodata,"a",@progbits
	.p2align	6, 0x0
	.amdhsa_kernel _ZN2at6native12_GLOBAL__N_16kernel16gru_cell_forwardIN3c108BFloat16EfiLi2EEEvNS_4cuda6detail10TensorInfoIT_T1_EESB_SB_SB_SB_SB_SB_SA_SA_
		.amdhsa_group_segment_fixed_size 0
		.amdhsa_private_segment_fixed_size 0
		.amdhsa_kernarg_size 1776
		.amdhsa_user_sgpr_count 6
		.amdhsa_user_sgpr_private_segment_buffer 1
		.amdhsa_user_sgpr_dispatch_ptr 0
		.amdhsa_user_sgpr_queue_ptr 0
		.amdhsa_user_sgpr_kernarg_segment_ptr 1
		.amdhsa_user_sgpr_dispatch_id 0
		.amdhsa_user_sgpr_flat_scratch_init 0
		.amdhsa_user_sgpr_kernarg_preload_length 0
		.amdhsa_user_sgpr_kernarg_preload_offset 0
		.amdhsa_user_sgpr_private_segment_size 0
		.amdhsa_uses_dynamic_stack 0
		.amdhsa_system_sgpr_private_segment_wavefront_offset 0
		.amdhsa_system_sgpr_workgroup_id_x 1
		.amdhsa_system_sgpr_workgroup_id_y 0
		.amdhsa_system_sgpr_workgroup_id_z 0
		.amdhsa_system_sgpr_workgroup_info 0
		.amdhsa_system_vgpr_workitem_id 0
		.amdhsa_next_free_vgpr 39
		.amdhsa_next_free_sgpr 66
		.amdhsa_accum_offset 40
		.amdhsa_reserve_vcc 1
		.amdhsa_reserve_flat_scratch 0
		.amdhsa_float_round_mode_32 0
		.amdhsa_float_round_mode_16_64 0
		.amdhsa_float_denorm_mode_32 3
		.amdhsa_float_denorm_mode_16_64 3
		.amdhsa_dx10_clamp 1
		.amdhsa_ieee_mode 1
		.amdhsa_fp16_overflow 0
		.amdhsa_tg_split 0
		.amdhsa_exception_fp_ieee_invalid_op 0
		.amdhsa_exception_fp_denorm_src 0
		.amdhsa_exception_fp_ieee_div_zero 0
		.amdhsa_exception_fp_ieee_overflow 0
		.amdhsa_exception_fp_ieee_underflow 0
		.amdhsa_exception_fp_ieee_inexact 0
		.amdhsa_exception_int_div_zero 0
	.end_amdhsa_kernel
	.section	.text._ZN2at6native12_GLOBAL__N_16kernel16gru_cell_forwardIN3c108BFloat16EfiLi2EEEvNS_4cuda6detail10TensorInfoIT_T1_EESB_SB_SB_SB_SB_SB_SA_SA_,"axG",@progbits,_ZN2at6native12_GLOBAL__N_16kernel16gru_cell_forwardIN3c108BFloat16EfiLi2EEEvNS_4cuda6detail10TensorInfoIT_T1_EESB_SB_SB_SB_SB_SB_SA_SA_,comdat
.Lfunc_end45:
	.size	_ZN2at6native12_GLOBAL__N_16kernel16gru_cell_forwardIN3c108BFloat16EfiLi2EEEvNS_4cuda6detail10TensorInfoIT_T1_EESB_SB_SB_SB_SB_SB_SA_SA_, .Lfunc_end45-_ZN2at6native12_GLOBAL__N_16kernel16gru_cell_forwardIN3c108BFloat16EfiLi2EEEvNS_4cuda6detail10TensorInfoIT_T1_EESB_SB_SB_SB_SB_SB_SA_SA_
                                        ; -- End function
	.section	.AMDGPU.csdata,"",@progbits
; Kernel info:
; codeLenInByte = 3776
; NumSgprs: 70
; NumVgprs: 39
; NumAgprs: 0
; TotalNumVgprs: 39
; ScratchSize: 0
; MemoryBound: 0
; FloatMode: 240
; IeeeMode: 1
; LDSByteSize: 0 bytes/workgroup (compile time only)
; SGPRBlocks: 8
; VGPRBlocks: 4
; NumSGPRsForWavesPerEU: 70
; NumVGPRsForWavesPerEU: 39
; AccumOffset: 40
; Occupancy: 8
; WaveLimiterHint : 1
; COMPUTE_PGM_RSRC2:SCRATCH_EN: 0
; COMPUTE_PGM_RSRC2:USER_SGPR: 6
; COMPUTE_PGM_RSRC2:TRAP_HANDLER: 0
; COMPUTE_PGM_RSRC2:TGID_X_EN: 1
; COMPUTE_PGM_RSRC2:TGID_Y_EN: 0
; COMPUTE_PGM_RSRC2:TGID_Z_EN: 0
; COMPUTE_PGM_RSRC2:TIDIG_COMP_CNT: 0
; COMPUTE_PGM_RSRC3_GFX90A:ACCUM_OFFSET: 9
; COMPUTE_PGM_RSRC3_GFX90A:TG_SPLIT: 0
	.section	.text._ZN2at6native12_GLOBAL__N_16kernel16gru_cell_forwardIN3c108BFloat16EflLi1EEEvNS_4cuda6detail10TensorInfoIT_T1_EESB_SB_SB_SB_SB_SB_SA_SA_,"axG",@progbits,_ZN2at6native12_GLOBAL__N_16kernel16gru_cell_forwardIN3c108BFloat16EflLi1EEEvNS_4cuda6detail10TensorInfoIT_T1_EESB_SB_SB_SB_SB_SB_SA_SA_,comdat
	.globl	_ZN2at6native12_GLOBAL__N_16kernel16gru_cell_forwardIN3c108BFloat16EflLi1EEEvNS_4cuda6detail10TensorInfoIT_T1_EESB_SB_SB_SB_SB_SB_SA_SA_ ; -- Begin function _ZN2at6native12_GLOBAL__N_16kernel16gru_cell_forwardIN3c108BFloat16EflLi1EEEvNS_4cuda6detail10TensorInfoIT_T1_EESB_SB_SB_SB_SB_SB_SA_SA_
	.p2align	8
	.type	_ZN2at6native12_GLOBAL__N_16kernel16gru_cell_forwardIN3c108BFloat16EflLi1EEEvNS_4cuda6detail10TensorInfoIT_T1_EESB_SB_SB_SB_SB_SB_SA_SA_,@function
_ZN2at6native12_GLOBAL__N_16kernel16gru_cell_forwardIN3c108BFloat16EflLi1EEEvNS_4cuda6detail10TensorInfoIT_T1_EESB_SB_SB_SB_SB_SB_SA_SA_: ; @_ZN2at6native12_GLOBAL__N_16kernel16gru_cell_forwardIN3c108BFloat16EflLi1EEEvNS_4cuda6detail10TensorInfoIT_T1_EESB_SB_SB_SB_SB_SB_SA_SA_
; %bb.0:
	s_load_dword s2, s[4:5], 0xb7c
	s_load_dwordx4 s[8:11], s[4:5], 0xb60
	s_add_u32 s0, s4, 0xb70
	s_addc_u32 s1, s5, 0
	v_mov_b32_e32 v2, 0
	s_waitcnt lgkmcnt(0)
	s_and_b32 s30, s2, 0xffff
	s_mul_i32 s6, s6, s30
	v_add_u32_e32 v0, s6, v0
	v_mov_b32_e32 v1, v2
	v_cmp_gt_i64_e32 vcc, s[10:11], v[0:1]
	s_and_saveexec_b64 s[2:3], vcc
	s_cbranch_execz .LBB46_14
; %bb.1:
	s_load_dwordx2 s[2:3], s[4:5], 0x0
	s_load_dwordx2 s[6:7], s[4:5], 0xd0
	;; [unrolled: 1-line block ×12, first 2 shown]
	s_load_dword s31, s[0:1], 0x0
	s_load_dwordx2 s[24:25], s[4:5], 0x9c0
	s_load_dwordx2 s[26:27], s[4:5], 0xa90
	s_waitcnt lgkmcnt(0)
	s_cmp_lg_u64 s[16:17], 0
	v_mul_lo_u32 v3, 0, s38
	v_mul_lo_u32 v6, v0, s39
	v_mad_u64_u32 v[4:5], s[0:1], v0, s38, 0
	s_cselect_b64 s[28:29], -1, 0
	s_mul_i32 s33, s31, s30
	s_lshl_b64 s[30:31], s[8:9], 1
	s_lshl_b64 s[34:35], s[8:9], 2
	v_add3_u32 v5, v5, v6, v3
	s_sub_u32 s47, 0, s8
	v_lshlrev_b64 v[4:5], 1, v[4:5]
	s_mul_i32 s0, s33, s39
	s_mul_hi_u32 s1, s33, s38
	s_subb_u32 s48, 0, s9
	v_mov_b32_e32 v3, s37
	v_add_co_u32_e32 v4, vcc, s36, v4
	s_add_i32 s1, s1, s0
	s_mul_i32 s0, s33, s38
	v_addc_co_u32_e32 v5, vcc, v3, v5, vcc
	s_lshl_b64 s[36:37], s[0:1], 1
	v_mul_lo_u32 v3, 0, s42
	v_mul_lo_u32 v8, v0, s43
	v_mad_u64_u32 v[6:7], s[0:1], v0, s42, 0
	v_add3_u32 v7, v7, v8, v3
	v_lshlrev_b64 v[6:7], 1, v[6:7]
	s_mul_i32 s0, s33, s43
	s_mul_hi_u32 s1, s33, s42
	v_mov_b32_e32 v3, s41
	v_add_co_u32_e32 v6, vcc, s40, v6
	s_add_i32 s1, s1, s0
	s_mul_i32 s0, s33, s42
	s_mov_b64 s[4:5], 0
	s_mov_b32 s46, 0
	v_addc_co_u32_e32 v7, vcc, v3, v7, vcc
	s_lshl_b64 s[38:39], s[0:1], 1
	s_mov_b32 s49, 0x5040100
	s_mov_b32 s50, 0xbfb8aa3b
	;; [unrolled: 1-line block ×8, first 2 shown]
	v_mov_b32_e32 v12, 0xbd5c1c4e
	v_mov_b32_e32 v13, 0x3e088382
	;; [unrolled: 1-line block ×3, first 2 shown]
	s_brev_b32 s57, -2
	s_movk_i32 s58, 0x7fff
	v_mov_b32_e32 v15, 0x7f800000
	v_mov_b32_e32 v16, 0x7fc0
	s_branch .LBB46_3
.LBB46_2:                               ;   in Loop: Header=BB46_3 Depth=1
	s_or_b64 exec, exec, s[0:1]
	v_lshlrev_b32_e32 v17, 16, v17
	v_lshlrev_b32_e32 v18, 16, v18
	v_add_f32_e32 v17, v17, v18
	v_lshlrev_b32_e32 v18, 16, v19
	v_add_f32_e32 v17, v17, v18
	s_waitcnt vmcnt(0)
	v_lshlrev_b32_e32 v18, 16, v21
	v_add_f32_e32 v17, v17, v18
	v_mul_f32_e32 v18, 0xbfb8aa3b, v17
	v_fma_f32 v19, v17, s50, -v18
	v_rndne_f32_e32 v21, v18
	v_fmac_f32_e32 v19, 0xb2a5705f, v17
	v_sub_f32_e32 v18, v18, v21
	v_add_f32_e32 v18, v18, v19
	v_exp_f32_e32 v23, v18
	v_cvt_i32_f32_e32 v21, v21
	v_cmp_nlt_f32_e32 vcc, s51, v17
	v_mad_u64_u32 v[18:19], s[0:1], s34, v8, v[0:1]
	v_ldexp_f32 v21, v23, v21
	v_cndmask_b32_e32 v21, 0, v21, vcc
	v_cmp_ngt_f32_e32 vcc, s52, v17
	v_cndmask_b32_e32 v17, v15, v21, vcc
	v_add_f32_e32 v17, 1.0, v17
	v_div_scale_f32 v21, s[0:1], v17, v17, 1.0
	v_rcp_f32_e32 v23, v21
	v_mul_lo_u32 v24, s34, v9
	v_mul_lo_u32 v25, s35, v8
	v_add3_u32 v19, v25, v19, v24
	v_fma_f32 v24, -v21, v23, 1.0
	v_fmac_f32_e32 v23, v24, v23
	v_div_scale_f32 v24, vcc, 1.0, v17, 1.0
	v_mul_f32_e32 v25, v24, v23
	v_fma_f32 v26, -v21, v25, v24
	v_fmac_f32_e32 v25, v26, v23
	v_fma_f32 v21, -v21, v25, v24
	v_div_fmas_f32 v21, v21, v23, v25
	v_bfi_b32 v10, s57, v20, v10
	v_lshlrev_b32_e32 v20, 16, v3
	v_div_fixup_f32 v17, v21, v17, 1.0
	v_sub_f32_e32 v20, v20, v10
	v_fma_f32 v20, v17, v20, v10
	v_bfe_u32 v21, v20, 16, 1
	v_add3_u32 v21, v20, v21, s58
	v_lshrrev_b32_e32 v21, 16, v21
	v_cmp_o_f32_e32 vcc, v20, v20
	v_cndmask_b32_e32 v20, v16, v21, vcc
	global_store_short v[6:7], v20, off
	v_bfe_u32 v20, v22, 16, 1
	v_add3_u32 v20, v22, v20, s58
	v_cmp_o_f32_e32 vcc, v22, v22
	v_mul_lo_u32 v21, v18, s27
	v_mul_lo_u32 v22, v19, s26
	v_mad_u64_u32 v[18:19], s[0:1], v18, s26, 0
	v_add3_u32 v19, v19, v21, v22
	v_lshrrev_b32_e32 v20, 16, v20
	v_lshlrev_b64 v[18:19], 1, v[18:19]
	v_cndmask_b32_e32 v20, v16, v20, vcc
	v_mov_b32_e32 v21, s25
	v_add_co_u32_e32 v18, vcc, s24, v18
	v_addc_co_u32_e32 v19, vcc, v21, v19, vcc
	global_store_short v[18:19], v20, off
	v_bfe_u32 v18, v17, 16, 1
	v_add3_u32 v18, v17, v18, s58
	v_lshrrev_b32_e32 v18, 16, v18
	v_cmp_o_f32_e32 vcc, v17, v17
	v_lshlrev_b64 v[8:9], 2, v[8:9]
	v_cndmask_b32_e32 v17, v16, v18, vcc
	v_or_b32_e32 v18, 1, v8
	v_mul_lo_u32 v20, s8, v9
	v_mul_lo_u32 v22, s9, v18
	v_mad_u64_u32 v[18:19], s[0:1], s8, v18, v[0:1]
	v_add3_u32 v19, v22, v19, v20
	v_mul_lo_u32 v22, v19, s26
	v_mul_lo_u32 v23, v18, s27
	v_mad_u64_u32 v[18:19], s[0:1], v18, s26, 0
	v_add3_u32 v19, v19, v23, v22
	v_lshlrev_b64 v[18:19], 1, v[18:19]
	v_add_co_u32_e32 v18, vcc, s24, v18
	v_addc_co_u32_e32 v19, vcc, v21, v19, vcc
	global_store_short v[18:19], v17, off
	v_bfe_u32 v17, v10, 16, 1
	v_add3_u32 v17, v10, v17, s58
	v_lshrrev_b32_e32 v17, 16, v17
	v_cmp_o_f32_e32 vcc, v10, v10
	v_cndmask_b32_e32 v10, v16, v17, vcc
	v_or_b32_e32 v17, 2, v8
	v_mul_lo_u32 v22, s9, v17
	v_mad_u64_u32 v[18:19], s[0:1], s8, v17, v[0:1]
	v_add3_u32 v17, v22, v19, v20
	v_mul_lo_u32 v17, v17, s26
	v_mul_lo_u32 v22, v18, s27
	v_mad_u64_u32 v[18:19], s[0:1], v18, s26, 0
	v_add3_u32 v19, v19, v22, v17
	v_lshlrev_b64 v[18:19], 1, v[18:19]
	v_add_co_u32_e32 v18, vcc, s24, v18
	v_addc_co_u32_e32 v19, vcc, v21, v19, vcc
	global_store_short v[18:19], v10, off
	v_or_b32_e32 v10, 3, v8
	v_mul_lo_u32 v17, s9, v10
	v_mad_u64_u32 v[18:19], s[0:1], s8, v10, v[0:1]
	v_add3_u32 v10, v17, v19, v20
	v_mul_lo_u32 v10, v10, s26
	v_mul_lo_u32 v17, v18, s27
	v_mad_u64_u32 v[18:19], s[0:1], v18, s26, 0
	v_add3_u32 v19, v19, v17, v10
	v_lshlrev_b64 v[18:19], 1, v[18:19]
	v_add_co_u32_e32 v18, vcc, s24, v18
	v_addc_co_u32_e32 v19, vcc, v21, v19, vcc
	global_store_short v[18:19], v3, off
	v_bfe_u32 v3, v11, 16, 1
	v_add3_u32 v3, v11, v3, s58
	v_lshrrev_b32_e32 v3, 16, v3
	v_cmp_o_f32_e32 vcc, v11, v11
	v_cndmask_b32_e32 v3, v16, v3, vcc
	v_add_co_u32_e32 v8, vcc, 4, v8
	v_addc_co_u32_e32 v9, vcc, 0, v9, vcc
	v_mul_lo_u32 v10, s8, v9
	v_mul_lo_u32 v11, s9, v8
	v_mad_u64_u32 v[8:9], s[0:1], s8, v8, v[0:1]
	v_add3_u32 v9, v11, v9, v10
	v_mul_lo_u32 v10, v9, s26
	v_mul_lo_u32 v11, v8, s27
	v_mad_u64_u32 v[8:9], s[0:1], v8, s26, 0
	v_add3_u32 v9, v9, v11, v10
	v_lshlrev_b64 v[8:9], 1, v[8:9]
	v_add_co_u32_e32 v8, vcc, s24, v8
	v_addc_co_u32_e32 v9, vcc, v21, v9, vcc
	global_store_short v[8:9], v3, off
	v_mov_b32_e32 v3, s46
	v_add_co_u32_e32 v0, vcc, s33, v0
	v_addc_co_u32_e32 v1, vcc, v1, v3, vcc
	v_mov_b32_e32 v3, s37
	v_add_co_u32_e32 v4, vcc, s36, v4
	v_addc_co_u32_e32 v5, vcc, v5, v3, vcc
	v_cmp_le_i64_e32 vcc, s[10:11], v[0:1]
	v_mov_b32_e32 v3, s39
	s_or_b64 s[4:5], vcc, s[4:5]
	v_add_co_u32_e32 v6, vcc, s38, v6
	v_addc_co_u32_e32 v7, vcc, v7, v3, vcc
	s_andn2_b64 exec, exec, s[4:5]
	s_cbranch_execz .LBB46_14
.LBB46_3:                               ; =>This Inner Loop Header: Depth=1
	v_or_b32_e32 v3, s9, v1
	v_cmp_ne_u64_e32 vcc, 0, v[2:3]
                                        ; implicit-def: $vgpr8_vgpr9
	s_and_saveexec_b64 s[0:1], vcc
	s_xor_b64 s[40:41], exec, s[0:1]
	s_cbranch_execz .LBB46_5
; %bb.4:                                ;   in Loop: Header=BB46_3 Depth=1
	s_ashr_i32 s42, s9, 31
	s_add_u32 s0, s8, s42
	s_mov_b32 s43, s42
	s_addc_u32 s1, s9, s42
	s_xor_b64 s[44:45], s[0:1], s[42:43]
	v_cvt_f32_u32_e32 v3, s44
	v_cvt_f32_u32_e32 v8, s45
	s_sub_u32 s0, 0, s44
	s_subb_u32 s1, 0, s45
	v_mac_f32_e32 v3, 0x4f800000, v8
	v_rcp_f32_e32 v3, v3
	v_mul_f32_e32 v3, 0x5f7ffffc, v3
	v_mul_f32_e32 v8, 0x2f800000, v3
	v_trunc_f32_e32 v8, v8
	v_mac_f32_e32 v3, 0xcf800000, v8
	v_cvt_u32_f32_e32 v8, v8
	v_cvt_u32_f32_e32 v3, v3
	v_mul_lo_u32 v9, s0, v8
	v_mul_hi_u32 v11, s0, v3
	v_mul_lo_u32 v10, s1, v3
	v_add_u32_e32 v9, v11, v9
	v_mul_lo_u32 v17, s0, v3
	v_add_u32_e32 v9, v9, v10
	v_mul_lo_u32 v11, v3, v9
	v_mul_hi_u32 v18, v3, v17
	v_mul_hi_u32 v10, v3, v9
	v_add_co_u32_e32 v11, vcc, v18, v11
	v_addc_co_u32_e32 v10, vcc, 0, v10, vcc
	v_mul_hi_u32 v19, v8, v17
	v_mul_lo_u32 v17, v8, v17
	v_add_co_u32_e32 v11, vcc, v11, v17
	v_mul_hi_u32 v18, v8, v9
	v_addc_co_u32_e32 v10, vcc, v10, v19, vcc
	v_addc_co_u32_e32 v11, vcc, 0, v18, vcc
	v_mul_lo_u32 v9, v8, v9
	v_add_co_u32_e32 v9, vcc, v10, v9
	v_addc_co_u32_e32 v10, vcc, 0, v11, vcc
	v_add_co_u32_e32 v3, vcc, v3, v9
	v_addc_co_u32_e32 v8, vcc, v8, v10, vcc
	v_mul_lo_u32 v9, s0, v8
	v_mul_hi_u32 v10, s0, v3
	v_add_u32_e32 v9, v10, v9
	v_mul_lo_u32 v10, s1, v3
	v_add_u32_e32 v9, v9, v10
	v_mul_lo_u32 v11, s0, v3
	v_mul_hi_u32 v17, v8, v11
	v_mul_lo_u32 v18, v8, v11
	v_mul_lo_u32 v20, v3, v9
	v_mul_hi_u32 v11, v3, v11
	v_mul_hi_u32 v19, v3, v9
	v_add_co_u32_e32 v11, vcc, v11, v20
	v_addc_co_u32_e32 v19, vcc, 0, v19, vcc
	v_add_co_u32_e32 v11, vcc, v11, v18
	v_mul_hi_u32 v10, v8, v9
	v_addc_co_u32_e32 v11, vcc, v19, v17, vcc
	v_addc_co_u32_e32 v10, vcc, 0, v10, vcc
	v_mul_lo_u32 v9, v8, v9
	v_add_co_u32_e32 v9, vcc, v11, v9
	v_addc_co_u32_e32 v10, vcc, 0, v10, vcc
	v_add_co_u32_e32 v3, vcc, v3, v9
	v_addc_co_u32_e32 v10, vcc, v8, v10, vcc
	v_ashrrev_i32_e32 v17, 31, v1
	v_add_co_u32_e32 v8, vcc, v0, v17
	v_addc_co_u32_e32 v9, vcc, v1, v17, vcc
	v_xor_b32_e32 v19, v8, v17
	v_xor_b32_e32 v18, v9, v17
	v_mad_u64_u32 v[8:9], s[0:1], v19, v10, 0
	v_mul_hi_u32 v11, v19, v3
	v_add_co_u32_e32 v20, vcc, v11, v8
	v_addc_co_u32_e32 v21, vcc, 0, v9, vcc
	v_mad_u64_u32 v[8:9], s[0:1], v18, v10, 0
	v_mad_u64_u32 v[10:11], s[0:1], v18, v3, 0
	v_add_co_u32_e32 v3, vcc, v20, v10
	v_addc_co_u32_e32 v3, vcc, v21, v11, vcc
	v_addc_co_u32_e32 v9, vcc, 0, v9, vcc
	v_add_co_u32_e32 v3, vcc, v3, v8
	v_addc_co_u32_e32 v10, vcc, 0, v9, vcc
	v_mul_lo_u32 v11, s45, v3
	v_mul_lo_u32 v20, s44, v10
	v_mad_u64_u32 v[8:9], s[0:1], s44, v3, 0
	v_add3_u32 v9, v9, v20, v11
	v_sub_u32_e32 v11, v18, v9
	v_mov_b32_e32 v20, s45
	v_sub_co_u32_e32 v8, vcc, v19, v8
	v_subb_co_u32_e64 v11, s[0:1], v11, v20, vcc
	v_subrev_co_u32_e64 v19, s[0:1], s44, v8
	v_subbrev_co_u32_e64 v11, s[0:1], 0, v11, s[0:1]
	v_cmp_le_u32_e64 s[0:1], s45, v11
	v_cndmask_b32_e64 v20, 0, -1, s[0:1]
	v_cmp_le_u32_e64 s[0:1], s44, v19
	v_cndmask_b32_e64 v19, 0, -1, s[0:1]
	v_cmp_eq_u32_e64 s[0:1], s45, v11
	v_cndmask_b32_e64 v11, v20, v19, s[0:1]
	v_add_co_u32_e64 v19, s[0:1], 2, v3
	v_subb_co_u32_e32 v9, vcc, v18, v9, vcc
	v_addc_co_u32_e64 v20, s[0:1], 0, v10, s[0:1]
	v_cmp_le_u32_e32 vcc, s45, v9
	v_add_co_u32_e64 v21, s[0:1], 1, v3
	v_cndmask_b32_e64 v18, 0, -1, vcc
	v_cmp_le_u32_e32 vcc, s44, v8
	v_addc_co_u32_e64 v22, s[0:1], 0, v10, s[0:1]
	v_cndmask_b32_e64 v8, 0, -1, vcc
	v_cmp_eq_u32_e32 vcc, s45, v9
	v_cmp_ne_u32_e64 s[0:1], 0, v11
	v_cndmask_b32_e32 v8, v18, v8, vcc
	v_cmp_ne_u32_e32 vcc, 0, v8
	v_cndmask_b32_e64 v9, v21, v19, s[0:1]
	v_cndmask_b32_e64 v11, v22, v20, s[0:1]
	v_cndmask_b32_e32 v3, v3, v9, vcc
	v_xor_b32_e32 v9, s42, v17
	v_cndmask_b32_e32 v8, v10, v11, vcc
	v_xor_b32_e32 v3, v3, v9
	v_xor_b32_e32 v10, v8, v9
	v_sub_co_u32_e32 v8, vcc, v3, v9
	v_subb_co_u32_e32 v9, vcc, v10, v9, vcc
.LBB46_5:                               ;   in Loop: Header=BB46_3 Depth=1
	s_andn2_saveexec_b64 s[0:1], s[40:41]
	s_cbranch_execz .LBB46_7
; %bb.6:                                ;   in Loop: Header=BB46_3 Depth=1
	v_cvt_f32_u32_e32 v3, s8
	s_sub_i32 s40, 0, s8
	v_rcp_iflag_f32_e32 v3, v3
	v_mul_f32_e32 v3, 0x4f7ffffe, v3
	v_cvt_u32_f32_e32 v3, v3
	v_mul_lo_u32 v8, s40, v3
	v_mul_hi_u32 v8, v3, v8
	v_add_u32_e32 v3, v3, v8
	v_mul_hi_u32 v3, v0, v3
	v_mul_lo_u32 v8, v3, s8
	v_sub_u32_e32 v8, v0, v8
	v_add_u32_e32 v9, 1, v3
	v_subrev_u32_e32 v10, s8, v8
	v_cmp_le_u32_e32 vcc, s8, v8
	v_cndmask_b32_e32 v8, v8, v10, vcc
	v_cndmask_b32_e32 v3, v3, v9, vcc
	v_add_u32_e32 v9, 1, v3
	v_cmp_le_u32_e32 vcc, s8, v8
	v_cndmask_b32_e32 v8, v3, v9, vcc
	v_mov_b32_e32 v9, v2
.LBB46_7:                               ;   in Loop: Header=BB46_3 Depth=1
	s_or_b64 exec, exec, s[0:1]
	v_mad_u64_u32 v[18:19], s[0:1], s30, v8, v[0:1]
	v_mul_lo_u32 v3, s30, v9
	v_mul_lo_u32 v10, s31, v8
	v_add3_u32 v3, v10, v19, v3
	v_mul_lo_u32 v17, v18, s7
	v_mul_lo_u32 v19, v3, s6
	v_mad_u64_u32 v[10:11], s[0:1], v18, s6, 0
	v_lshlrev_b64 v[20:21], 1, v[8:9]
	v_add3_u32 v11, v11, v17, v19
	v_or_b32_e32 v19, 1, v20
	v_mul_lo_u32 v24, s8, v21
	v_mul_lo_u32 v25, s9, v19
	v_mad_u64_u32 v[22:23], s[0:1], s8, v19, v[0:1]
	v_add3_u32 v23, v25, v23, v24
	v_lshlrev_b64 v[10:11], 1, v[10:11]
	v_mul_lo_u32 v19, v23, s6
	v_mul_lo_u32 v26, v22, s7
	v_mad_u64_u32 v[24:25], s[0:1], v22, s6, 0
	v_mov_b32_e32 v17, s3
	v_add_co_u32_e32 v10, vcc, s2, v10
	v_add3_u32 v25, v25, v26, v19
	v_addc_co_u32_e32 v11, vcc, v17, v11, vcc
	v_lshlrev_b64 v[24:25], 1, v[24:25]
	v_add_co_u32_e32 v24, vcc, s2, v24
	v_addc_co_u32_e32 v25, vcc, v17, v25, vcc
	v_add_co_u32_e32 v19, vcc, 2, v20
	v_addc_co_u32_e32 v20, vcc, 0, v21, vcc
	v_mul_lo_u32 v26, s8, v20
	v_mul_lo_u32 v27, s9, v19
	v_mad_u64_u32 v[20:21], s[0:1], s8, v19, v[0:1]
	v_add3_u32 v21, v27, v21, v26
	v_mul_lo_u32 v19, v21, s6
	v_mul_lo_u32 v28, v20, s7
	v_mad_u64_u32 v[26:27], s[0:1], v20, s6, 0
	v_add3_u32 v27, v27, v28, v19
	v_lshlrev_b64 v[26:27], 1, v[26:27]
	v_add_co_u32_e32 v26, vcc, s2, v26
	v_addc_co_u32_e32 v27, vcc, v17, v27, vcc
	global_load_ushort v11, v[10:11], off
	s_nop 0
	global_load_ushort v17, v[24:25], off
	global_load_ushort v10, v[26:27], off
	v_mul_lo_u32 v24, v18, s15
	v_mul_lo_u32 v3, v3, s14
	v_mad_u64_u32 v[18:19], s[0:1], v18, s14, 0
	v_add3_u32 v19, v19, v24, v3
	v_lshlrev_b64 v[18:19], 1, v[18:19]
	v_mul_lo_u32 v24, v23, s14
	v_mul_lo_u32 v25, v22, s15
	v_mad_u64_u32 v[22:23], s[0:1], v22, s14, 0
	v_mov_b32_e32 v3, s13
	v_add_co_u32_e32 v18, vcc, s12, v18
	v_add3_u32 v23, v23, v25, v24
	v_addc_co_u32_e32 v19, vcc, v3, v19, vcc
	v_lshlrev_b64 v[22:23], 1, v[22:23]
	v_add_co_u32_e32 v24, vcc, s12, v22
	v_addc_co_u32_e32 v25, vcc, v3, v23, vcc
	v_mul_lo_u32 v22, v21, s14
	v_mul_lo_u32 v23, v20, s15
	v_mad_u64_u32 v[20:21], s[0:1], v20, s14, 0
	v_add3_u32 v21, v21, v23, v22
	v_lshlrev_b64 v[20:21], 1, v[20:21]
	v_add_co_u32_e32 v20, vcc, s12, v20
	v_addc_co_u32_e32 v21, vcc, v3, v21, vcc
	global_load_ushort v22, v[18:19], off
	s_nop 0
	global_load_ushort v18, v[24:25], off
	s_nop 0
	;; [unrolled: 2-line block ×3, first 2 shown]
	global_load_ushort v3, v[4:5], off
	s_andn2_b64 vcc, exec, s[28:29]
	v_mov_b32_e32 v21, 0
	s_cbranch_vccnz .LBB46_9
; %bb.8:                                ;   in Loop: Header=BB46_3 Depth=1
	v_mad_u64_u32 v[24:25], s[0:1], s47, v8, v[0:1]
	v_mul_lo_u32 v19, s47, v9
	v_mul_lo_u32 v21, s48, v8
	v_add3_u32 v21, v21, v25, v19
	v_mul_lo_u32 v19, v24, s19
	v_mul_lo_u32 v23, v21, s18
	v_mad_u64_u32 v[26:27], s[0:1], v24, s18, 0
	v_add3_u32 v27, v27, v19, v23
	v_lshlrev_b64 v[26:27], 1, v[26:27]
	v_mov_b32_e32 v19, s17
	v_add_co_u32_e32 v26, vcc, s16, v26
	v_addc_co_u32_e32 v27, vcc, v19, v27, vcc
	v_sub_co_u32_e32 v23, vcc, 1, v8
	v_subb_co_u32_e32 v25, vcc, 0, v9, vcc
	v_mul_lo_u32 v25, s8, v25
	v_mul_lo_u32 v30, s9, v23
	v_mad_u64_u32 v[28:29], s[0:1], s8, v23, v[0:1]
	v_add3_u32 v29, v30, v29, v25
	v_mul_lo_u32 v23, v29, s18
	v_mul_lo_u32 v25, v28, s19
	v_mad_u64_u32 v[30:31], s[0:1], v28, s18, 0
	v_add3_u32 v31, v31, v25, v23
	v_lshlrev_b64 v[30:31], 1, v[30:31]
	v_add_co_u32_e32 v30, vcc, s16, v30
	v_addc_co_u32_e32 v31, vcc, v19, v31, vcc
	v_sub_co_u32_e32 v23, vcc, 2, v8
	v_subb_co_u32_e32 v25, vcc, 0, v9, vcc
	v_mul_lo_u32 v25, s8, v25
	v_mul_lo_u32 v34, s9, v23
	v_mad_u64_u32 v[32:33], s[0:1], s8, v23, v[0:1]
	v_add3_u32 v33, v34, v33, v25
	v_mul_lo_u32 v23, v33, s18
	v_mul_lo_u32 v25, v32, s19
	v_mad_u64_u32 v[34:35], s[0:1], v32, s18, 0
	v_add3_u32 v35, v35, v25, v23
	v_lshlrev_b64 v[34:35], 1, v[34:35]
	v_add_co_u32_e32 v34, vcc, s16, v34
	v_addc_co_u32_e32 v35, vcc, v19, v35, vcc
	global_load_ushort v23, v[26:27], off
	global_load_ushort v19, v[30:31], off
	s_nop 0
	global_load_ushort v30, v[34:35], off
	v_mul_lo_u32 v26, v24, s23
	v_mul_lo_u32 v21, v21, s22
	v_mad_u64_u32 v[24:25], s[0:1], v24, s22, 0
	v_add3_u32 v25, v25, v26, v21
	v_lshlrev_b64 v[24:25], 1, v[24:25]
	v_mul_lo_u32 v29, v29, s22
	v_mul_lo_u32 v31, v28, s23
	v_mad_u64_u32 v[26:27], s[0:1], v28, s22, 0
	v_mov_b32_e32 v21, s21
	v_add_co_u32_e32 v24, vcc, s20, v24
	v_add3_u32 v27, v27, v31, v29
	v_addc_co_u32_e32 v25, vcc, v21, v25, vcc
	v_lshlrev_b64 v[26:27], 1, v[26:27]
	v_mul_lo_u32 v31, v33, s22
	v_mul_lo_u32 v33, v32, s23
	v_mad_u64_u32 v[28:29], s[0:1], v32, s22, 0
	v_add_co_u32_e32 v26, vcc, s20, v26
	v_add3_u32 v29, v29, v33, v31
	v_addc_co_u32_e32 v27, vcc, v21, v27, vcc
	v_lshlrev_b64 v[28:29], 1, v[28:29]
	v_add_co_u32_e32 v28, vcc, s20, v28
	v_addc_co_u32_e32 v29, vcc, v21, v29, vcc
	global_load_ushort v28, v[28:29], off
	s_nop 0
	global_load_ushort v25, v[24:25], off
	s_nop 0
	global_load_ushort v21, v[26:27], off
	s_waitcnt vmcnt(2)
	v_perm_b32 v24, v28, v30, s49
	s_branch .LBB46_10
.LBB46_9:                               ;   in Loop: Header=BB46_3 Depth=1
	v_mov_b32_e32 v24, 0
	v_mov_b32_e32 v25, 0
	v_mov_b32_e32 v19, 0
	v_mov_b32_e32 v23, 0
.LBB46_10:                              ;   in Loop: Header=BB46_3 Depth=1
	s_waitcnt vmcnt(6)
	v_lshlrev_b32_e32 v11, 16, v11
	s_waitcnt vmcnt(3)
	v_lshlrev_b32_e32 v22, 16, v22
	v_add_f32_e32 v11, v22, v11
	v_lshlrev_b32_e32 v22, 16, v23
	v_add_f32_e32 v11, v11, v22
	s_waitcnt vmcnt(1)
	v_lshlrev_b32_e32 v22, 16, v25
	v_add_f32_e32 v11, v11, v22
	v_mul_f32_e32 v22, 0xbfb8aa3b, v11
	v_fma_f32 v23, v11, s50, -v22
	v_rndne_f32_e32 v25, v22
	v_fmac_f32_e32 v23, 0xb2a5705f, v11
	v_sub_f32_e32 v22, v22, v25
	v_add_f32_e32 v22, v22, v23
	v_exp_f32_e32 v22, v22
	v_cvt_i32_f32_e32 v23, v25
	v_cmp_nlt_f32_e32 vcc, s51, v11
	v_lshlrev_b32_e32 v10, 16, v10
	v_ldexp_f32 v22, v22, v23
	v_cndmask_b32_e32 v22, 0, v22, vcc
	v_cmp_ngt_f32_e32 vcc, s52, v11
	v_cndmask_b32_e32 v11, v15, v22, vcc
	v_add_f32_e32 v11, 1.0, v11
	v_div_scale_f32 v22, s[0:1], v11, v11, 1.0
	v_rcp_f32_e32 v23, v22
	v_fma_f32 v25, -v22, v23, 1.0
	v_fmac_f32_e32 v23, v25, v23
	v_div_scale_f32 v25, vcc, 1.0, v11, 1.0
	v_mul_f32_e32 v26, v25, v23
	v_fma_f32 v27, -v22, v26, v25
	v_fmac_f32_e32 v26, v27, v23
	v_fma_f32 v22, -v22, v26, v25
	v_div_fmas_f32 v22, v22, v23, v26
	v_div_fixup_f32 v22, v22, v11, 1.0
	v_lshlrev_b32_e32 v11, 16, v20
	v_and_b32_e32 v25, 0xffff0000, v24
	v_lshlrev_b32_e32 v24, 16, v24
	v_pk_add_f32 v[10:11], v[10:11], v[24:25]
	v_fma_f32 v10, v11, v22, v10
	v_cmp_nlt_f32_e64 s[0:1], |v10|, s53
                                        ; implicit-def: $vgpr20
	s_and_saveexec_b64 s[40:41], s[0:1]
	s_xor_b64 s[0:1], exec, s[40:41]
	s_cbranch_execz .LBB46_12
; %bb.11:                               ;   in Loop: Header=BB46_3 Depth=1
	v_add_f32_e64 v20, |v10|, |v10|
	v_mul_f32_e32 v23, 0x3fb8aa3b, v20
	v_rndne_f32_e32 v24, v23
	v_sub_f32_e32 v25, v23, v24
	v_fma_f32 v23, v20, s54, -v23
	v_fmac_f32_e32 v23, 0x32a5705f, v20
	v_add_f32_e32 v23, v25, v23
	v_cvt_i32_f32_e32 v24, v24
	v_exp_f32_e32 v23, v23
	v_cmp_ngt_f32_e32 vcc, s55, v20
	v_ldexp_f32 v23, v23, v24
	v_cndmask_b32_e32 v23, 0, v23, vcc
	v_cmp_nlt_f32_e32 vcc, s56, v20
	v_cndmask_b32_e32 v20, v15, v23, vcc
	v_add_f32_e32 v20, 1.0, v20
	v_rcp_f32_e32 v20, v20
	v_fma_f32 v20, v20, -2.0, 1.0
.LBB46_12:                              ;   in Loop: Header=BB46_3 Depth=1
	s_andn2_saveexec_b64 s[0:1], s[0:1]
	s_cbranch_execz .LBB46_2
; %bb.13:                               ;   in Loop: Header=BB46_3 Depth=1
	v_mul_f32_e32 v20, v10, v10
	v_mov_b32_e32 v23, 0x3ca908c9
	v_fmac_f32_e32 v23, 0xbbbac73d, v20
	v_fma_f32 v23, v20, v23, v12
	v_fma_f32 v23, v20, v23, v13
	;; [unrolled: 1-line block ×3, first 2 shown]
	v_mul_f32_e64 v23, |v10|, v23
	v_fma_f32 v20, v20, v23, |v10|
	s_branch .LBB46_2
.LBB46_14:
	s_endpgm
	.section	.rodata,"a",@progbits
	.p2align	6, 0x0
	.amdhsa_kernel _ZN2at6native12_GLOBAL__N_16kernel16gru_cell_forwardIN3c108BFloat16EflLi1EEEvNS_4cuda6detail10TensorInfoIT_T1_EESB_SB_SB_SB_SB_SB_SA_SA_
		.amdhsa_group_segment_fixed_size 0
		.amdhsa_private_segment_fixed_size 0
		.amdhsa_kernarg_size 3184
		.amdhsa_user_sgpr_count 6
		.amdhsa_user_sgpr_private_segment_buffer 1
		.amdhsa_user_sgpr_dispatch_ptr 0
		.amdhsa_user_sgpr_queue_ptr 0
		.amdhsa_user_sgpr_kernarg_segment_ptr 1
		.amdhsa_user_sgpr_dispatch_id 0
		.amdhsa_user_sgpr_flat_scratch_init 0
		.amdhsa_user_sgpr_kernarg_preload_length 0
		.amdhsa_user_sgpr_kernarg_preload_offset 0
		.amdhsa_user_sgpr_private_segment_size 0
		.amdhsa_uses_dynamic_stack 0
		.amdhsa_system_sgpr_private_segment_wavefront_offset 0
		.amdhsa_system_sgpr_workgroup_id_x 1
		.amdhsa_system_sgpr_workgroup_id_y 0
		.amdhsa_system_sgpr_workgroup_id_z 0
		.amdhsa_system_sgpr_workgroup_info 0
		.amdhsa_system_vgpr_workitem_id 0
		.amdhsa_next_free_vgpr 36
		.amdhsa_next_free_sgpr 59
		.amdhsa_accum_offset 36
		.amdhsa_reserve_vcc 1
		.amdhsa_reserve_flat_scratch 0
		.amdhsa_float_round_mode_32 0
		.amdhsa_float_round_mode_16_64 0
		.amdhsa_float_denorm_mode_32 3
		.amdhsa_float_denorm_mode_16_64 3
		.amdhsa_dx10_clamp 1
		.amdhsa_ieee_mode 1
		.amdhsa_fp16_overflow 0
		.amdhsa_tg_split 0
		.amdhsa_exception_fp_ieee_invalid_op 0
		.amdhsa_exception_fp_denorm_src 0
		.amdhsa_exception_fp_ieee_div_zero 0
		.amdhsa_exception_fp_ieee_overflow 0
		.amdhsa_exception_fp_ieee_underflow 0
		.amdhsa_exception_fp_ieee_inexact 0
		.amdhsa_exception_int_div_zero 0
	.end_amdhsa_kernel
	.section	.text._ZN2at6native12_GLOBAL__N_16kernel16gru_cell_forwardIN3c108BFloat16EflLi1EEEvNS_4cuda6detail10TensorInfoIT_T1_EESB_SB_SB_SB_SB_SB_SA_SA_,"axG",@progbits,_ZN2at6native12_GLOBAL__N_16kernel16gru_cell_forwardIN3c108BFloat16EflLi1EEEvNS_4cuda6detail10TensorInfoIT_T1_EESB_SB_SB_SB_SB_SB_SA_SA_,comdat
.Lfunc_end46:
	.size	_ZN2at6native12_GLOBAL__N_16kernel16gru_cell_forwardIN3c108BFloat16EflLi1EEEvNS_4cuda6detail10TensorInfoIT_T1_EESB_SB_SB_SB_SB_SB_SA_SA_, .Lfunc_end46-_ZN2at6native12_GLOBAL__N_16kernel16gru_cell_forwardIN3c108BFloat16EflLi1EEEvNS_4cuda6detail10TensorInfoIT_T1_EESB_SB_SB_SB_SB_SB_SA_SA_
                                        ; -- End function
	.section	.AMDGPU.csdata,"",@progbits
; Kernel info:
; codeLenInByte = 3552
; NumSgprs: 63
; NumVgprs: 36
; NumAgprs: 0
; TotalNumVgprs: 36
; ScratchSize: 0
; MemoryBound: 0
; FloatMode: 240
; IeeeMode: 1
; LDSByteSize: 0 bytes/workgroup (compile time only)
; SGPRBlocks: 7
; VGPRBlocks: 4
; NumSGPRsForWavesPerEU: 63
; NumVGPRsForWavesPerEU: 36
; AccumOffset: 36
; Occupancy: 8
; WaveLimiterHint : 1
; COMPUTE_PGM_RSRC2:SCRATCH_EN: 0
; COMPUTE_PGM_RSRC2:USER_SGPR: 6
; COMPUTE_PGM_RSRC2:TRAP_HANDLER: 0
; COMPUTE_PGM_RSRC2:TGID_X_EN: 1
; COMPUTE_PGM_RSRC2:TGID_Y_EN: 0
; COMPUTE_PGM_RSRC2:TGID_Z_EN: 0
; COMPUTE_PGM_RSRC2:TIDIG_COMP_CNT: 0
; COMPUTE_PGM_RSRC3_GFX90A:ACCUM_OFFSET: 8
; COMPUTE_PGM_RSRC3_GFX90A:TG_SPLIT: 0
	.section	.text._ZN2at6native12_GLOBAL__N_16kernel16gru_cell_forwardIN3c108BFloat16EflLi2EEEvNS_4cuda6detail10TensorInfoIT_T1_EESB_SB_SB_SB_SB_SB_SA_SA_,"axG",@progbits,_ZN2at6native12_GLOBAL__N_16kernel16gru_cell_forwardIN3c108BFloat16EflLi2EEEvNS_4cuda6detail10TensorInfoIT_T1_EESB_SB_SB_SB_SB_SB_SA_SA_,comdat
	.globl	_ZN2at6native12_GLOBAL__N_16kernel16gru_cell_forwardIN3c108BFloat16EflLi2EEEvNS_4cuda6detail10TensorInfoIT_T1_EESB_SB_SB_SB_SB_SB_SA_SA_ ; -- Begin function _ZN2at6native12_GLOBAL__N_16kernel16gru_cell_forwardIN3c108BFloat16EflLi2EEEvNS_4cuda6detail10TensorInfoIT_T1_EESB_SB_SB_SB_SB_SB_SA_SA_
	.p2align	8
	.type	_ZN2at6native12_GLOBAL__N_16kernel16gru_cell_forwardIN3c108BFloat16EflLi2EEEvNS_4cuda6detail10TensorInfoIT_T1_EESB_SB_SB_SB_SB_SB_SA_SA_,@function
_ZN2at6native12_GLOBAL__N_16kernel16gru_cell_forwardIN3c108BFloat16EflLi2EEEvNS_4cuda6detail10TensorInfoIT_T1_EESB_SB_SB_SB_SB_SB_SA_SA_: ; @_ZN2at6native12_GLOBAL__N_16kernel16gru_cell_forwardIN3c108BFloat16EflLi2EEEvNS_4cuda6detail10TensorInfoIT_T1_EESB_SB_SB_SB_SB_SB_SA_SA_
; %bb.0:
	s_load_dword s2, s[4:5], 0xb7c
	s_load_dwordx4 s[8:11], s[4:5], 0xb60
	s_add_u32 s0, s4, 0xb70
	s_addc_u32 s1, s5, 0
	v_mov_b32_e32 v2, 0
	s_waitcnt lgkmcnt(0)
	s_and_b32 s33, s2, 0xffff
	s_mul_i32 s6, s6, s33
	v_add_u32_e32 v0, s6, v0
	v_mov_b32_e32 v1, v2
	v_cmp_gt_i64_e32 vcc, s[10:11], v[0:1]
	s_and_saveexec_b64 s[2:3], vcc
	s_cbranch_execz .LBB47_66
; %bb.1:
	v_cvt_f32_u32_e32 v3, s8
	s_load_dwordx2 s[2:3], s[4:5], 0x0
	s_load_dwordx2 s[28:29], s[4:5], 0x10
	s_load_dwordx4 s[12:15], s[4:5], 0xd0
	s_load_dwordx2 s[30:31], s[4:5], 0x1a0
	s_load_dwordx2 s[34:35], s[4:5], 0x1b0
	s_load_dwordx4 s[16:19], s[4:5], 0x270
	s_load_dwordx2 s[36:37], s[4:5], 0x340
	s_load_dwordx2 s[38:39], s[4:5], 0x410
	s_load_dwordx2 s[40:41], s[4:5], 0x4e0
	s_load_dwordx2 s[42:43], s[4:5], 0x5b0
	s_load_dwordx2 s[44:45], s[4:5], 0x680
	s_load_dwordx2 s[46:47], s[4:5], 0x690
	s_load_dwordx4 s[20:23], s[4:5], 0x750
	s_load_dwordx2 s[48:49], s[4:5], 0x820
	s_load_dwordx2 s[50:51], s[4:5], 0x830
	s_load_dwordx4 s[24:27], s[4:5], 0x8f0
	s_nop 0
	s_load_dword s0, s[0:1], 0x0
	s_nop 0
	s_load_dwordx2 s[52:53], s[4:5], 0x9c0
	s_load_dwordx2 s[54:55], s[4:5], 0x9d0
	s_nop 0
	s_load_dwordx4 s[4:7], s[4:5], 0xa90
	s_waitcnt lgkmcnt(0)
	s_cmp_lg_u64 s[36:37], 0
	s_cselect_b64 s[56:57], -1, 0
	v_rcp_iflag_f32_e32 v3, v3
	s_lshl_b64 s[58:59], s[8:9], 1
	s_lshl_b64 s[60:61], s[8:9], 2
	s_sub_u32 s71, 0, s8
	s_subb_u32 s72, 0, s9
	v_mul_f32_e32 v3, 0x4f7ffffe, v3
	s_sub_u32 s73, 0, s46
	v_cvt_u32_f32_e32 v23, v3
	s_subb_u32 s74, 0, s47
	s_sub_u32 s75, 0, s50
	s_mul_i32 s33, s0, s33
	s_mov_b32 s70, 0
	s_subb_u32 s76, 0, s51
	s_mov_b32 s77, 0x5040100
	s_mov_b32 s78, 0xbfb8aa3b
	s_mov_b32 s79, 0x42ce8ed0
	s_mov_b32 s80, 0xc2b17218
	s_mov_b32 s81, 0x3f200000
	s_mov_b32 s82, 0x3fb8aa3b
	s_mov_b32 s83, 0xc2ce8ed0
	s_mov_b32 s84, 0x42b17218
	v_mov_b32_e32 v20, 0xbd5c1c4e
	v_mov_b32_e32 v21, 0x3e088382
	;; [unrolled: 1-line block ×3, first 2 shown]
	s_brev_b32 s85, -2
	s_movk_i32 s86, 0x7fff
	v_mov_b32_e32 v24, 0x7f800000
	v_mov_b32_e32 v25, 0x7fc0
	s_mov_b64 s[62:63], 0
	s_branch .LBB47_3
.LBB47_2:                               ;   in Loop: Header=BB47_3 Depth=1
	s_or_b64 exec, exec, s[0:1]
	v_mad_u64_u32 v[4:5], s[0:1], s8, v10, 0
	v_add3_u32 v3, v5, v12, v11
	v_bfe_u32 v5, v7, 16, 1
	v_add3_u32 v5, v7, v5, s86
	v_lshrrev_b32_e32 v5, 16, v5
	v_cmp_o_f32_e32 vcc, v7, v7
	v_cndmask_b32_e32 v10, v25, v5, vcc
	v_mul_lo_u32 v5, v9, s54
	v_mul_lo_u32 v11, v8, s55
	v_mad_u64_u32 v[6:7], s[0:1], v8, s54, 0
	v_add3_u32 v5, v7, v11, v5
	v_sub_co_u32_e32 v4, vcc, v4, v6
	v_subb_co_u32_e32 v3, vcc, v3, v5, vcc
	v_add_co_u32_e32 v4, vcc, v0, v4
	v_addc_co_u32_e32 v3, vcc, v1, v3, vcc
	v_mul_lo_u32 v3, v3, s6
	v_mul_lo_u32 v6, v4, s7
	v_mad_u64_u32 v[4:5], s[0:1], v4, s6, 0
	v_add3_u32 v5, v5, v6, v3
	v_mul_lo_u32 v3, v9, s4
	v_mul_lo_u32 v9, v8, s5
	v_mad_u64_u32 v[6:7], s[0:1], v8, s4, 0
	v_add3_u32 v7, v7, v9, v3
	v_lshlrev_b64 v[6:7], 1, v[6:7]
	v_mov_b32_e32 v3, s53
	v_add_co_u32_e32 v6, vcc, s52, v6
	v_addc_co_u32_e32 v3, vcc, v3, v7, vcc
	v_lshlrev_b64 v[4:5], 1, v[4:5]
	v_add_co_u32_e32 v4, vcc, v6, v4
	v_addc_co_u32_e32 v5, vcc, v3, v5, vcc
	v_mov_b32_e32 v3, s70
	v_add_co_u32_e32 v0, vcc, s33, v0
	v_addc_co_u32_e32 v1, vcc, v1, v3, vcc
	v_cmp_le_i64_e32 vcc, s[10:11], v[0:1]
	s_or_b64 s[62:63], vcc, s[62:63]
	global_store_short v[4:5], v10, off
	s_andn2_b64 exec, exec, s[62:63]
	s_cbranch_execz .LBB47_66
.LBB47_3:                               ; =>This Inner Loop Header: Depth=1
	v_or_b32_e32 v3, s9, v1
	v_cmp_ne_u64_e32 vcc, 0, v[2:3]
	v_ashrrev_i32_e32 v26, 31, v1
                                        ; implicit-def: $vgpr4_vgpr5
	s_and_saveexec_b64 s[0:1], vcc
	s_xor_b64 s[64:65], exec, s[0:1]
	s_cbranch_execz .LBB47_5
; %bb.4:                                ;   in Loop: Header=BB47_3 Depth=1
	s_ashr_i32 s66, s9, 31
	s_add_u32 s0, s8, s66
	s_mov_b32 s67, s66
	s_addc_u32 s1, s9, s66
	s_xor_b64 s[68:69], s[0:1], s[66:67]
	v_cvt_f32_u32_e32 v3, s68
	v_cvt_f32_u32_e32 v4, s69
	s_sub_u32 s0, 0, s68
	s_subb_u32 s1, 0, s69
	v_mac_f32_e32 v3, 0x4f800000, v4
	v_rcp_f32_e32 v3, v3
	v_mul_f32_e32 v3, 0x5f7ffffc, v3
	v_mul_f32_e32 v4, 0x2f800000, v3
	v_trunc_f32_e32 v4, v4
	v_mac_f32_e32 v3, 0xcf800000, v4
	v_cvt_u32_f32_e32 v4, v4
	v_cvt_u32_f32_e32 v3, v3
	v_mul_lo_u32 v5, s0, v4
	v_mul_hi_u32 v7, s0, v3
	v_mul_lo_u32 v6, s1, v3
	v_add_u32_e32 v5, v7, v5
	v_mul_lo_u32 v8, s0, v3
	v_add_u32_e32 v5, v5, v6
	v_mul_lo_u32 v7, v3, v5
	v_mul_hi_u32 v9, v3, v8
	v_mul_hi_u32 v6, v3, v5
	v_add_co_u32_e32 v7, vcc, v9, v7
	v_addc_co_u32_e32 v6, vcc, 0, v6, vcc
	v_mul_hi_u32 v10, v4, v8
	v_mul_lo_u32 v8, v4, v8
	v_add_co_u32_e32 v7, vcc, v7, v8
	v_mul_hi_u32 v9, v4, v5
	v_addc_co_u32_e32 v6, vcc, v6, v10, vcc
	v_addc_co_u32_e32 v7, vcc, 0, v9, vcc
	v_mul_lo_u32 v5, v4, v5
	v_add_co_u32_e32 v5, vcc, v6, v5
	v_addc_co_u32_e32 v6, vcc, 0, v7, vcc
	v_add_co_u32_e32 v3, vcc, v3, v5
	v_addc_co_u32_e32 v4, vcc, v4, v6, vcc
	v_mul_lo_u32 v5, s0, v4
	v_mul_hi_u32 v6, s0, v3
	v_add_u32_e32 v5, v6, v5
	v_mul_lo_u32 v6, s1, v3
	v_add_u32_e32 v5, v5, v6
	v_mul_lo_u32 v7, s0, v3
	v_mul_hi_u32 v8, v4, v7
	v_mul_lo_u32 v9, v4, v7
	v_mul_lo_u32 v11, v3, v5
	v_mul_hi_u32 v7, v3, v7
	v_mul_hi_u32 v10, v3, v5
	v_add_co_u32_e32 v7, vcc, v7, v11
	v_addc_co_u32_e32 v10, vcc, 0, v10, vcc
	v_add_co_u32_e32 v7, vcc, v7, v9
	v_mul_hi_u32 v6, v4, v5
	v_addc_co_u32_e32 v7, vcc, v10, v8, vcc
	v_addc_co_u32_e32 v6, vcc, 0, v6, vcc
	v_mul_lo_u32 v5, v4, v5
	v_add_co_u32_e32 v5, vcc, v7, v5
	v_addc_co_u32_e32 v6, vcc, 0, v6, vcc
	v_add_co_u32_e32 v3, vcc, v3, v5
	v_addc_co_u32_e32 v6, vcc, v4, v6, vcc
	;; [unrolled: 2-line block ×3, first 2 shown]
	v_xor_b32_e32 v9, v4, v26
	v_xor_b32_e32 v8, v5, v26
	v_mad_u64_u32 v[4:5], s[0:1], v9, v6, 0
	v_mul_hi_u32 v7, v9, v3
	v_add_co_u32_e32 v10, vcc, v7, v4
	v_addc_co_u32_e32 v11, vcc, 0, v5, vcc
	v_mad_u64_u32 v[4:5], s[0:1], v8, v6, 0
	v_mad_u64_u32 v[6:7], s[0:1], v8, v3, 0
	v_add_co_u32_e32 v3, vcc, v10, v6
	v_addc_co_u32_e32 v3, vcc, v11, v7, vcc
	v_addc_co_u32_e32 v5, vcc, 0, v5, vcc
	v_add_co_u32_e32 v3, vcc, v3, v4
	v_addc_co_u32_e32 v6, vcc, 0, v5, vcc
	v_mul_lo_u32 v7, s69, v3
	v_mul_lo_u32 v10, s68, v6
	v_mad_u64_u32 v[4:5], s[0:1], s68, v3, 0
	v_add3_u32 v5, v5, v10, v7
	v_sub_u32_e32 v7, v8, v5
	v_mov_b32_e32 v10, s69
	v_sub_co_u32_e32 v4, vcc, v9, v4
	v_subb_co_u32_e64 v7, s[0:1], v7, v10, vcc
	v_subrev_co_u32_e64 v9, s[0:1], s68, v4
	v_subbrev_co_u32_e64 v7, s[0:1], 0, v7, s[0:1]
	v_cmp_le_u32_e64 s[0:1], s69, v7
	v_cndmask_b32_e64 v10, 0, -1, s[0:1]
	v_cmp_le_u32_e64 s[0:1], s68, v9
	v_cndmask_b32_e64 v9, 0, -1, s[0:1]
	v_cmp_eq_u32_e64 s[0:1], s69, v7
	v_cndmask_b32_e64 v7, v10, v9, s[0:1]
	v_add_co_u32_e64 v9, s[0:1], 2, v3
	v_subb_co_u32_e32 v5, vcc, v8, v5, vcc
	v_addc_co_u32_e64 v10, s[0:1], 0, v6, s[0:1]
	v_cmp_le_u32_e32 vcc, s69, v5
	v_add_co_u32_e64 v11, s[0:1], 1, v3
	v_cndmask_b32_e64 v8, 0, -1, vcc
	v_cmp_le_u32_e32 vcc, s68, v4
	v_addc_co_u32_e64 v12, s[0:1], 0, v6, s[0:1]
	v_cndmask_b32_e64 v4, 0, -1, vcc
	v_cmp_eq_u32_e32 vcc, s69, v5
	v_cmp_ne_u32_e64 s[0:1], 0, v7
	v_cndmask_b32_e32 v4, v8, v4, vcc
	v_cmp_ne_u32_e32 vcc, 0, v4
	v_cndmask_b32_e64 v5, v11, v9, s[0:1]
	v_cndmask_b32_e64 v7, v12, v10, s[0:1]
	v_cndmask_b32_e32 v3, v3, v5, vcc
	v_xor_b32_e32 v5, s66, v26
	v_cndmask_b32_e32 v4, v6, v7, vcc
	v_xor_b32_e32 v3, v3, v5
	v_xor_b32_e32 v6, v4, v5
	v_sub_co_u32_e32 v4, vcc, v3, v5
	v_subb_co_u32_e32 v5, vcc, v6, v5, vcc
.LBB47_5:                               ;   in Loop: Header=BB47_3 Depth=1
	s_andn2_saveexec_b64 s[0:1], s[64:65]
	s_cbranch_execz .LBB47_7
; %bb.6:                                ;   in Loop: Header=BB47_3 Depth=1
	s_sub_i32 s64, 0, s8
	v_mul_lo_u32 v3, s64, v23
	v_mul_hi_u32 v3, v23, v3
	v_add_u32_e32 v3, v23, v3
	v_mul_hi_u32 v3, v0, v3
	v_mul_lo_u32 v4, v3, s8
	v_sub_u32_e32 v4, v0, v4
	v_subrev_u32_e32 v5, s8, v4
	v_cmp_le_u32_e32 vcc, s8, v4
	v_cndmask_b32_e32 v4, v4, v5, vcc
	v_add_u32_e32 v5, 1, v3
	v_cndmask_b32_e32 v3, v3, v5, vcc
	v_add_u32_e32 v5, 1, v3
	v_cmp_le_u32_e32 vcc, s8, v4
	v_cndmask_b32_e32 v4, v3, v5, vcc
	v_mov_b32_e32 v5, v2
.LBB47_7:                               ;   in Loop: Header=BB47_3 Depth=1
	s_or_b64 exec, exec, s[0:1]
	v_mul_lo_u32 v10, s59, v4
	v_mul_lo_u32 v11, s58, v5
	v_mad_u64_u32 v[6:7], s[0:1], s58, v4, v[0:1]
	v_add3_u32 v7, v10, v7, v11
	v_or_b32_e32 v3, s29, v7
	v_cmp_ne_u64_e32 vcc, 0, v[2:3]
	v_ashrrev_i32_e32 v27, 31, v7
                                        ; implicit-def: $vgpr8_vgpr9
	s_and_saveexec_b64 s[0:1], vcc
	s_xor_b64 s[64:65], exec, s[0:1]
	s_cbranch_execz .LBB47_9
; %bb.8:                                ;   in Loop: Header=BB47_3 Depth=1
	s_ashr_i32 s66, s29, 31
	s_add_u32 s0, s28, s66
	s_mov_b32 s67, s66
	s_addc_u32 s1, s29, s66
	s_xor_b64 s[68:69], s[0:1], s[66:67]
	v_cvt_f32_u32_e32 v3, s68
	v_cvt_f32_u32_e32 v8, s69
	s_sub_u32 s0, 0, s68
	s_subb_u32 s1, 0, s69
	v_mac_f32_e32 v3, 0x4f800000, v8
	v_rcp_f32_e32 v3, v3
	v_mul_f32_e32 v3, 0x5f7ffffc, v3
	v_mul_f32_e32 v8, 0x2f800000, v3
	v_trunc_f32_e32 v8, v8
	v_mac_f32_e32 v3, 0xcf800000, v8
	v_cvt_u32_f32_e32 v8, v8
	v_cvt_u32_f32_e32 v3, v3
	v_mul_lo_u32 v9, s0, v8
	v_mul_hi_u32 v13, s0, v3
	v_mul_lo_u32 v12, s1, v3
	v_add_u32_e32 v9, v13, v9
	v_mul_lo_u32 v14, s0, v3
	v_add_u32_e32 v9, v9, v12
	v_mul_lo_u32 v13, v3, v9
	v_mul_hi_u32 v15, v3, v14
	v_mul_hi_u32 v12, v3, v9
	v_add_co_u32_e32 v13, vcc, v15, v13
	v_addc_co_u32_e32 v12, vcc, 0, v12, vcc
	v_mul_hi_u32 v16, v8, v14
	v_mul_lo_u32 v14, v8, v14
	v_add_co_u32_e32 v13, vcc, v13, v14
	v_mul_hi_u32 v15, v8, v9
	v_addc_co_u32_e32 v12, vcc, v12, v16, vcc
	v_addc_co_u32_e32 v13, vcc, 0, v15, vcc
	v_mul_lo_u32 v9, v8, v9
	v_add_co_u32_e32 v9, vcc, v12, v9
	v_addc_co_u32_e32 v12, vcc, 0, v13, vcc
	v_add_co_u32_e32 v3, vcc, v3, v9
	v_addc_co_u32_e32 v8, vcc, v8, v12, vcc
	v_mul_lo_u32 v9, s0, v8
	v_mul_hi_u32 v12, s0, v3
	v_add_u32_e32 v9, v12, v9
	v_mul_lo_u32 v12, s1, v3
	v_add_u32_e32 v9, v9, v12
	v_mul_lo_u32 v13, s0, v3
	v_mul_hi_u32 v14, v8, v13
	v_mul_lo_u32 v15, v8, v13
	v_mul_lo_u32 v17, v3, v9
	v_mul_hi_u32 v13, v3, v13
	v_mul_hi_u32 v16, v3, v9
	v_add_co_u32_e32 v13, vcc, v13, v17
	v_addc_co_u32_e32 v16, vcc, 0, v16, vcc
	v_add_co_u32_e32 v13, vcc, v13, v15
	v_mul_hi_u32 v12, v8, v9
	v_addc_co_u32_e32 v13, vcc, v16, v14, vcc
	v_addc_co_u32_e32 v12, vcc, 0, v12, vcc
	v_mul_lo_u32 v9, v8, v9
	v_add_co_u32_e32 v9, vcc, v13, v9
	v_addc_co_u32_e32 v12, vcc, 0, v12, vcc
	v_add_co_u32_e32 v3, vcc, v3, v9
	v_addc_co_u32_e32 v12, vcc, v8, v12, vcc
	;; [unrolled: 2-line block ×3, first 2 shown]
	v_xor_b32_e32 v15, v8, v27
	v_xor_b32_e32 v14, v9, v27
	v_mad_u64_u32 v[8:9], s[0:1], v15, v12, 0
	v_mul_hi_u32 v13, v15, v3
	v_add_co_u32_e32 v16, vcc, v13, v8
	v_addc_co_u32_e32 v17, vcc, 0, v9, vcc
	v_mad_u64_u32 v[8:9], s[0:1], v14, v12, 0
	v_mad_u64_u32 v[12:13], s[0:1], v14, v3, 0
	v_add_co_u32_e32 v3, vcc, v16, v12
	v_addc_co_u32_e32 v3, vcc, v17, v13, vcc
	v_addc_co_u32_e32 v9, vcc, 0, v9, vcc
	v_add_co_u32_e32 v3, vcc, v3, v8
	v_addc_co_u32_e32 v12, vcc, 0, v9, vcc
	v_mul_lo_u32 v13, s69, v3
	v_mul_lo_u32 v16, s68, v12
	v_mad_u64_u32 v[8:9], s[0:1], s68, v3, 0
	v_add3_u32 v9, v9, v16, v13
	v_sub_u32_e32 v13, v14, v9
	v_mov_b32_e32 v16, s69
	v_sub_co_u32_e32 v8, vcc, v15, v8
	v_subb_co_u32_e64 v13, s[0:1], v13, v16, vcc
	v_subrev_co_u32_e64 v15, s[0:1], s68, v8
	v_subbrev_co_u32_e64 v13, s[0:1], 0, v13, s[0:1]
	v_cmp_le_u32_e64 s[0:1], s69, v13
	v_cndmask_b32_e64 v16, 0, -1, s[0:1]
	v_cmp_le_u32_e64 s[0:1], s68, v15
	v_cndmask_b32_e64 v15, 0, -1, s[0:1]
	v_cmp_eq_u32_e64 s[0:1], s69, v13
	v_cndmask_b32_e64 v13, v16, v15, s[0:1]
	v_add_co_u32_e64 v15, s[0:1], 2, v3
	v_subb_co_u32_e32 v9, vcc, v14, v9, vcc
	v_addc_co_u32_e64 v16, s[0:1], 0, v12, s[0:1]
	v_cmp_le_u32_e32 vcc, s69, v9
	v_add_co_u32_e64 v17, s[0:1], 1, v3
	v_cndmask_b32_e64 v14, 0, -1, vcc
	v_cmp_le_u32_e32 vcc, s68, v8
	v_addc_co_u32_e64 v18, s[0:1], 0, v12, s[0:1]
	v_cndmask_b32_e64 v8, 0, -1, vcc
	v_cmp_eq_u32_e32 vcc, s69, v9
	v_cmp_ne_u32_e64 s[0:1], 0, v13
	v_cndmask_b32_e32 v8, v14, v8, vcc
	v_cmp_ne_u32_e32 vcc, 0, v8
	v_cndmask_b32_e64 v9, v17, v15, s[0:1]
	v_cndmask_b32_e64 v13, v18, v16, s[0:1]
	v_cndmask_b32_e32 v3, v3, v9, vcc
	v_xor_b32_e32 v9, s66, v27
	v_cndmask_b32_e32 v8, v12, v13, vcc
	v_xor_b32_e32 v3, v3, v9
	v_xor_b32_e32 v12, v8, v9
	v_sub_co_u32_e32 v8, vcc, v3, v9
	v_subb_co_u32_e32 v9, vcc, v12, v9, vcc
.LBB47_9:                               ;   in Loop: Header=BB47_3 Depth=1
	s_or_saveexec_b64 s[0:1], s[64:65]
	v_cvt_f32_u32_e32 v32, s28
	s_xor_b64 exec, exec, s[0:1]
	s_cbranch_execz .LBB47_11
; %bb.10:                               ;   in Loop: Header=BB47_3 Depth=1
	v_rcp_iflag_f32_e32 v3, v32
	s_sub_i32 s64, 0, s28
	v_mul_f32_e32 v3, 0x4f7ffffe, v3
	v_cvt_u32_f32_e32 v3, v3
	v_mul_lo_u32 v8, s64, v3
	v_mul_hi_u32 v8, v3, v8
	v_add_u32_e32 v3, v3, v8
	v_mul_hi_u32 v3, v6, v3
	v_mul_lo_u32 v8, v3, s28
	v_sub_u32_e32 v8, v6, v8
	v_add_u32_e32 v9, 1, v3
	v_subrev_u32_e32 v12, s28, v8
	v_cmp_le_u32_e32 vcc, s28, v8
	v_cndmask_b32_e32 v8, v8, v12, vcc
	v_cndmask_b32_e32 v3, v3, v9, vcc
	v_add_u32_e32 v9, 1, v3
	v_cmp_le_u32_e32 vcc, s28, v8
	v_cndmask_b32_e32 v8, v3, v9, vcc
	v_mov_b32_e32 v9, v2
.LBB47_11:                              ;   in Loop: Header=BB47_3 Depth=1
	s_or_b64 exec, exec, s[0:1]
	v_mad_u64_u32 v[12:13], s[0:1], s58, v4, 0
	v_add3_u32 v30, v13, v11, v10
	v_mul_lo_u32 v3, v9, s28
	v_mul_lo_u32 v13, v8, s29
	v_mad_u64_u32 v[10:11], s[0:1], v8, s28, 0
	v_add3_u32 v3, v11, v13, v3
	v_sub_co_u32_e32 v10, vcc, v12, v10
	v_subb_co_u32_e32 v3, vcc, v30, v3, vcc
	v_add_co_u32_e32 v10, vcc, v0, v10
	v_addc_co_u32_e32 v3, vcc, v1, v3, vcc
	v_mul_lo_u32 v3, v3, s14
	v_mul_lo_u32 v13, v10, s15
	v_mad_u64_u32 v[10:11], s[0:1], v10, s14, 0
	v_add3_u32 v11, v11, v13, v3
	v_mul_lo_u32 v3, v9, s12
	v_mul_lo_u32 v13, v8, s13
	v_mad_u64_u32 v[8:9], s[0:1], v8, s12, 0
	v_add3_u32 v9, v9, v13, v3
	v_lshlrev_b64 v[8:9], 1, v[8:9]
	v_mov_b32_e32 v3, s3
	v_add_co_u32_e32 v13, vcc, s2, v8
	v_addc_co_u32_e32 v3, vcc, v3, v9, vcc
	v_lshlrev_b64 v[8:9], 1, v[10:11]
	v_add_co_u32_e32 v8, vcc, v13, v8
	v_addc_co_u32_e32 v9, vcc, v3, v9, vcc
	global_load_ushort v13, v[8:9], off
	v_lshlrev_b64 v[10:11], 1, v[4:5]
	v_or_b32_e32 v14, 1, v10
	v_mul_lo_u32 v18, s9, v14
	v_mul_lo_u32 v19, s8, v11
	v_mad_u64_u32 v[8:9], s[0:1], s8, v14, v[0:1]
	v_add3_u32 v9, v18, v9, v19
	v_or_b32_e32 v3, s29, v9
	v_cmp_ne_u64_e32 vcc, 0, v[2:3]
	v_ashrrev_i32_e32 v28, 31, v9
                                        ; implicit-def: $vgpr16_vgpr17
	s_and_saveexec_b64 s[0:1], vcc
	s_xor_b64 s[64:65], exec, s[0:1]
	s_cbranch_execz .LBB47_13
; %bb.12:                               ;   in Loop: Header=BB47_3 Depth=1
	s_ashr_i32 s66, s29, 31
	s_add_u32 s0, s28, s66
	s_mov_b32 s67, s66
	s_addc_u32 s1, s29, s66
	s_xor_b64 s[68:69], s[0:1], s[66:67]
	v_cvt_f32_u32_e32 v3, s68
	v_cvt_f32_u32_e32 v15, s69
	s_sub_u32 s0, 0, s68
	s_subb_u32 s1, 0, s69
	v_mac_f32_e32 v3, 0x4f800000, v15
	v_rcp_f32_e32 v3, v3
	v_mul_f32_e32 v3, 0x5f7ffffc, v3
	v_mul_f32_e32 v15, 0x2f800000, v3
	v_trunc_f32_e32 v15, v15
	v_mac_f32_e32 v3, 0xcf800000, v15
	v_cvt_u32_f32_e32 v15, v15
	v_cvt_u32_f32_e32 v3, v3
	v_mul_lo_u32 v16, s0, v15
	v_mul_hi_u32 v29, s0, v3
	v_mul_lo_u32 v17, s1, v3
	v_add_u32_e32 v16, v29, v16
	v_mul_lo_u32 v31, s0, v3
	v_add_u32_e32 v16, v16, v17
	v_mul_lo_u32 v29, v3, v16
	v_mul_hi_u32 v33, v3, v31
	v_mul_hi_u32 v17, v3, v16
	v_add_co_u32_e32 v29, vcc, v33, v29
	v_addc_co_u32_e32 v17, vcc, 0, v17, vcc
	v_mul_hi_u32 v34, v15, v31
	v_mul_lo_u32 v31, v15, v31
	v_add_co_u32_e32 v29, vcc, v29, v31
	v_mul_hi_u32 v33, v15, v16
	v_addc_co_u32_e32 v17, vcc, v17, v34, vcc
	v_addc_co_u32_e32 v29, vcc, 0, v33, vcc
	v_mul_lo_u32 v16, v15, v16
	v_add_co_u32_e32 v16, vcc, v17, v16
	v_addc_co_u32_e32 v17, vcc, 0, v29, vcc
	v_add_co_u32_e32 v3, vcc, v3, v16
	v_addc_co_u32_e32 v15, vcc, v15, v17, vcc
	v_mul_lo_u32 v16, s0, v15
	v_mul_hi_u32 v17, s0, v3
	v_add_u32_e32 v16, v17, v16
	v_mul_lo_u32 v17, s1, v3
	v_add_u32_e32 v16, v16, v17
	v_mul_lo_u32 v29, s0, v3
	v_mul_hi_u32 v31, v15, v29
	v_mul_lo_u32 v33, v15, v29
	v_mul_lo_u32 v35, v3, v16
	v_mul_hi_u32 v29, v3, v29
	v_mul_hi_u32 v34, v3, v16
	v_add_co_u32_e32 v29, vcc, v29, v35
	v_addc_co_u32_e32 v34, vcc, 0, v34, vcc
	v_add_co_u32_e32 v29, vcc, v29, v33
	v_mul_hi_u32 v17, v15, v16
	v_addc_co_u32_e32 v29, vcc, v34, v31, vcc
	v_addc_co_u32_e32 v17, vcc, 0, v17, vcc
	v_mul_lo_u32 v16, v15, v16
	v_add_co_u32_e32 v16, vcc, v29, v16
	v_addc_co_u32_e32 v17, vcc, 0, v17, vcc
	v_add_co_u32_e32 v3, vcc, v3, v16
	v_addc_co_u32_e32 v15, vcc, v15, v17, vcc
	;; [unrolled: 2-line block ×3, first 2 shown]
	v_xor_b32_e32 v31, v16, v28
	v_xor_b32_e32 v29, v17, v28
	v_mad_u64_u32 v[16:17], s[0:1], v31, v15, 0
	v_mul_hi_u32 v33, v31, v3
	v_add_co_u32_e32 v33, vcc, v33, v16
	v_addc_co_u32_e32 v36, vcc, 0, v17, vcc
	v_mad_u64_u32 v[34:35], s[0:1], v29, v3, 0
	v_add_co_u32_e32 v3, vcc, v33, v34
	v_mad_u64_u32 v[16:17], s[0:1], v29, v15, 0
	v_addc_co_u32_e32 v3, vcc, v36, v35, vcc
	v_addc_co_u32_e32 v15, vcc, 0, v17, vcc
	v_add_co_u32_e32 v3, vcc, v3, v16
	v_addc_co_u32_e32 v15, vcc, 0, v15, vcc
	v_mul_lo_u32 v33, s69, v3
	v_mul_lo_u32 v34, s68, v15
	v_mad_u64_u32 v[16:17], s[0:1], s68, v3, 0
	v_add3_u32 v17, v17, v34, v33
	v_sub_u32_e32 v33, v29, v17
	v_mov_b32_e32 v34, s69
	v_sub_co_u32_e32 v16, vcc, v31, v16
	v_subb_co_u32_e64 v31, s[0:1], v33, v34, vcc
	v_subrev_co_u32_e64 v33, s[0:1], s68, v16
	v_subbrev_co_u32_e64 v31, s[0:1], 0, v31, s[0:1]
	v_cmp_le_u32_e64 s[0:1], s69, v31
	v_cndmask_b32_e64 v34, 0, -1, s[0:1]
	v_cmp_le_u32_e64 s[0:1], s68, v33
	v_cndmask_b32_e64 v33, 0, -1, s[0:1]
	v_cmp_eq_u32_e64 s[0:1], s69, v31
	v_cndmask_b32_e64 v31, v34, v33, s[0:1]
	v_add_co_u32_e64 v33, s[0:1], 2, v3
	v_subb_co_u32_e32 v17, vcc, v29, v17, vcc
	v_addc_co_u32_e64 v34, s[0:1], 0, v15, s[0:1]
	v_cmp_le_u32_e32 vcc, s69, v17
	v_add_co_u32_e64 v35, s[0:1], 1, v3
	v_cndmask_b32_e64 v29, 0, -1, vcc
	v_cmp_le_u32_e32 vcc, s68, v16
	v_addc_co_u32_e64 v36, s[0:1], 0, v15, s[0:1]
	v_cndmask_b32_e64 v16, 0, -1, vcc
	v_cmp_eq_u32_e32 vcc, s69, v17
	v_cmp_ne_u32_e64 s[0:1], 0, v31
	v_cndmask_b32_e32 v16, v29, v16, vcc
	v_cmp_ne_u32_e32 vcc, 0, v16
	v_cndmask_b32_e64 v16, v35, v33, s[0:1]
	v_cndmask_b32_e64 v31, v36, v34, s[0:1]
	v_cndmask_b32_e32 v3, v3, v16, vcc
	v_xor_b32_e32 v17, s66, v28
	v_cndmask_b32_e32 v15, v15, v31, vcc
	v_xor_b32_e32 v3, v3, v17
	v_xor_b32_e32 v15, v15, v17
	v_sub_co_u32_e32 v16, vcc, v3, v17
	v_subb_co_u32_e32 v17, vcc, v15, v17, vcc
.LBB47_13:                              ;   in Loop: Header=BB47_3 Depth=1
	s_andn2_saveexec_b64 s[0:1], s[64:65]
	s_cbranch_execz .LBB47_15
; %bb.14:                               ;   in Loop: Header=BB47_3 Depth=1
	v_rcp_iflag_f32_e32 v3, v32
	s_sub_i32 s64, 0, s28
	v_mul_f32_e32 v3, 0x4f7ffffe, v3
	v_cvt_u32_f32_e32 v3, v3
	v_mul_lo_u32 v15, s64, v3
	v_mul_hi_u32 v15, v3, v15
	v_add_u32_e32 v3, v3, v15
	v_mul_hi_u32 v3, v8, v3
	v_mul_lo_u32 v15, v3, s28
	v_sub_u32_e32 v15, v8, v15
	v_add_u32_e32 v16, 1, v3
	v_subrev_u32_e32 v17, s28, v15
	v_cmp_le_u32_e32 vcc, s28, v15
	v_cndmask_b32_e32 v15, v15, v17, vcc
	v_cndmask_b32_e32 v3, v3, v16, vcc
	v_add_u32_e32 v16, 1, v3
	v_cmp_le_u32_e32 vcc, s28, v15
	v_cndmask_b32_e32 v16, v3, v16, vcc
	v_mov_b32_e32 v17, v2
.LBB47_15:                              ;   in Loop: Header=BB47_3 Depth=1
	s_or_b64 exec, exec, s[0:1]
	v_mad_u64_u32 v[14:15], s[0:1], s8, v14, 0
	v_add3_u32 v31, v15, v19, v18
	v_mul_lo_u32 v3, v17, s28
	v_mul_lo_u32 v15, v16, s29
	v_mad_u64_u32 v[18:19], s[0:1], v16, s28, 0
	v_add3_u32 v3, v19, v15, v3
	v_sub_co_u32_e32 v15, vcc, v14, v18
	v_subb_co_u32_e32 v3, vcc, v31, v3, vcc
	v_add_co_u32_e32 v15, vcc, v0, v15
	v_addc_co_u32_e32 v3, vcc, v1, v3, vcc
	v_mul_lo_u32 v3, v3, s14
	v_mul_lo_u32 v29, v15, s15
	v_mad_u64_u32 v[18:19], s[0:1], v15, s14, 0
	v_add3_u32 v19, v19, v29, v3
	v_mul_lo_u32 v3, v17, s12
	v_mul_lo_u32 v15, v16, s13
	v_mad_u64_u32 v[16:17], s[0:1], v16, s12, 0
	v_add3_u32 v17, v17, v15, v3
	v_lshlrev_b64 v[16:17], 1, v[16:17]
	v_mov_b32_e32 v3, s3
	v_add_co_u32_e32 v15, vcc, s2, v16
	v_addc_co_u32_e32 v3, vcc, v3, v17, vcc
	v_lshlrev_b64 v[16:17], 1, v[18:19]
	v_add_co_u32_e32 v16, vcc, v15, v16
	v_addc_co_u32_e32 v17, vcc, v3, v17, vcc
	global_load_ushort v15, v[16:17], off
	v_add_co_u32_e32 v16, vcc, 2, v10
	v_addc_co_u32_e32 v3, vcc, 0, v11, vcc
	v_mul_lo_u32 v33, s9, v16
	v_mul_lo_u32 v34, s8, v3
	v_mad_u64_u32 v[10:11], s[0:1], s8, v16, v[0:1]
	v_add3_u32 v11, v33, v11, v34
	v_or_b32_e32 v3, s29, v11
	v_cmp_ne_u64_e32 vcc, 0, v[2:3]
	v_ashrrev_i32_e32 v29, 31, v11
                                        ; implicit-def: $vgpr18_vgpr19
	s_and_saveexec_b64 s[0:1], vcc
	s_xor_b64 s[64:65], exec, s[0:1]
	s_cbranch_execz .LBB47_17
; %bb.16:                               ;   in Loop: Header=BB47_3 Depth=1
	s_ashr_i32 s66, s29, 31
	s_add_u32 s0, s28, s66
	s_mov_b32 s67, s66
	s_addc_u32 s1, s29, s66
	s_xor_b64 s[68:69], s[0:1], s[66:67]
	v_cvt_f32_u32_e32 v3, s68
	v_cvt_f32_u32_e32 v17, s69
	s_sub_u32 s0, 0, s68
	s_subb_u32 s1, 0, s69
	v_mac_f32_e32 v3, 0x4f800000, v17
	v_rcp_f32_e32 v3, v3
	v_mul_f32_e32 v3, 0x5f7ffffc, v3
	v_mul_f32_e32 v17, 0x2f800000, v3
	v_trunc_f32_e32 v17, v17
	v_mac_f32_e32 v3, 0xcf800000, v17
	v_cvt_u32_f32_e32 v17, v17
	v_cvt_u32_f32_e32 v3, v3
	v_mul_lo_u32 v18, s0, v17
	v_mul_hi_u32 v32, s0, v3
	v_mul_lo_u32 v19, s1, v3
	v_add_u32_e32 v18, v32, v18
	v_mul_lo_u32 v35, s0, v3
	v_add_u32_e32 v18, v18, v19
	v_mul_lo_u32 v32, v3, v18
	v_mul_hi_u32 v36, v3, v35
	v_mul_hi_u32 v19, v3, v18
	v_add_co_u32_e32 v32, vcc, v36, v32
	v_addc_co_u32_e32 v19, vcc, 0, v19, vcc
	v_mul_hi_u32 v37, v17, v35
	v_mul_lo_u32 v35, v17, v35
	v_add_co_u32_e32 v32, vcc, v32, v35
	v_mul_hi_u32 v36, v17, v18
	v_addc_co_u32_e32 v19, vcc, v19, v37, vcc
	v_addc_co_u32_e32 v32, vcc, 0, v36, vcc
	v_mul_lo_u32 v18, v17, v18
	v_add_co_u32_e32 v18, vcc, v19, v18
	v_addc_co_u32_e32 v19, vcc, 0, v32, vcc
	v_add_co_u32_e32 v3, vcc, v3, v18
	v_addc_co_u32_e32 v17, vcc, v17, v19, vcc
	v_mul_lo_u32 v18, s0, v17
	v_mul_hi_u32 v19, s0, v3
	v_add_u32_e32 v18, v19, v18
	v_mul_lo_u32 v19, s1, v3
	v_add_u32_e32 v18, v18, v19
	v_mul_lo_u32 v32, s0, v3
	v_mul_hi_u32 v35, v17, v32
	v_mul_lo_u32 v36, v17, v32
	v_mul_lo_u32 v38, v3, v18
	v_mul_hi_u32 v32, v3, v32
	v_mul_hi_u32 v37, v3, v18
	v_add_co_u32_e32 v32, vcc, v32, v38
	v_addc_co_u32_e32 v37, vcc, 0, v37, vcc
	v_add_co_u32_e32 v32, vcc, v32, v36
	v_mul_hi_u32 v19, v17, v18
	v_addc_co_u32_e32 v32, vcc, v37, v35, vcc
	v_addc_co_u32_e32 v19, vcc, 0, v19, vcc
	v_mul_lo_u32 v18, v17, v18
	v_add_co_u32_e32 v18, vcc, v32, v18
	v_addc_co_u32_e32 v19, vcc, 0, v19, vcc
	v_add_co_u32_e32 v3, vcc, v3, v18
	v_addc_co_u32_e32 v17, vcc, v17, v19, vcc
	;; [unrolled: 2-line block ×3, first 2 shown]
	v_xor_b32_e32 v35, v18, v29
	v_xor_b32_e32 v32, v19, v29
	v_mad_u64_u32 v[18:19], s[0:1], v35, v17, 0
	v_mul_hi_u32 v36, v35, v3
	v_add_co_u32_e32 v38, vcc, v36, v18
	v_addc_co_u32_e32 v39, vcc, 0, v19, vcc
	v_mad_u64_u32 v[36:37], s[0:1], v32, v3, 0
	v_add_co_u32_e32 v3, vcc, v38, v36
	v_mad_u64_u32 v[18:19], s[0:1], v32, v17, 0
	v_addc_co_u32_e32 v3, vcc, v39, v37, vcc
	v_addc_co_u32_e32 v17, vcc, 0, v19, vcc
	v_add_co_u32_e32 v3, vcc, v3, v18
	v_addc_co_u32_e32 v17, vcc, 0, v17, vcc
	v_mul_lo_u32 v36, s69, v3
	v_mul_lo_u32 v37, s68, v17
	v_mad_u64_u32 v[18:19], s[0:1], s68, v3, 0
	v_add3_u32 v19, v19, v37, v36
	v_sub_u32_e32 v36, v32, v19
	v_mov_b32_e32 v37, s69
	v_sub_co_u32_e32 v18, vcc, v35, v18
	v_subb_co_u32_e64 v35, s[0:1], v36, v37, vcc
	v_subrev_co_u32_e64 v36, s[0:1], s68, v18
	v_subbrev_co_u32_e64 v35, s[0:1], 0, v35, s[0:1]
	v_cmp_le_u32_e64 s[0:1], s69, v35
	v_cndmask_b32_e64 v37, 0, -1, s[0:1]
	v_cmp_le_u32_e64 s[0:1], s68, v36
	v_cndmask_b32_e64 v36, 0, -1, s[0:1]
	v_cmp_eq_u32_e64 s[0:1], s69, v35
	v_cndmask_b32_e64 v35, v37, v36, s[0:1]
	v_add_co_u32_e64 v36, s[0:1], 2, v3
	v_subb_co_u32_e32 v19, vcc, v32, v19, vcc
	v_addc_co_u32_e64 v37, s[0:1], 0, v17, s[0:1]
	v_cmp_le_u32_e32 vcc, s69, v19
	v_add_co_u32_e64 v38, s[0:1], 1, v3
	v_cndmask_b32_e64 v32, 0, -1, vcc
	v_cmp_le_u32_e32 vcc, s68, v18
	v_addc_co_u32_e64 v39, s[0:1], 0, v17, s[0:1]
	v_cndmask_b32_e64 v18, 0, -1, vcc
	v_cmp_eq_u32_e32 vcc, s69, v19
	v_cmp_ne_u32_e64 s[0:1], 0, v35
	v_cndmask_b32_e32 v18, v32, v18, vcc
	v_cmp_ne_u32_e32 vcc, 0, v18
	v_cndmask_b32_e64 v18, v38, v36, s[0:1]
	v_cndmask_b32_e64 v35, v39, v37, s[0:1]
	v_cndmask_b32_e32 v3, v3, v18, vcc
	v_xor_b32_e32 v19, s66, v29
	v_cndmask_b32_e32 v17, v17, v35, vcc
	v_xor_b32_e32 v3, v3, v19
	v_xor_b32_e32 v17, v17, v19
	v_sub_co_u32_e32 v18, vcc, v3, v19
	v_subb_co_u32_e32 v19, vcc, v17, v19, vcc
                                        ; implicit-def: $vgpr32
.LBB47_17:                              ;   in Loop: Header=BB47_3 Depth=1
	s_andn2_saveexec_b64 s[0:1], s[64:65]
	s_cbranch_execz .LBB47_19
; %bb.18:                               ;   in Loop: Header=BB47_3 Depth=1
	v_rcp_iflag_f32_e32 v3, v32
	s_sub_i32 s64, 0, s28
	v_mul_f32_e32 v3, 0x4f7ffffe, v3
	v_cvt_u32_f32_e32 v3, v3
	v_mul_lo_u32 v17, s64, v3
	v_mul_hi_u32 v17, v3, v17
	v_add_u32_e32 v3, v3, v17
	v_mul_hi_u32 v3, v10, v3
	v_mul_lo_u32 v17, v3, s28
	v_sub_u32_e32 v17, v10, v17
	v_add_u32_e32 v18, 1, v3
	v_subrev_u32_e32 v19, s28, v17
	v_cmp_le_u32_e32 vcc, s28, v17
	v_cndmask_b32_e32 v17, v17, v19, vcc
	v_cndmask_b32_e32 v3, v3, v18, vcc
	v_add_u32_e32 v18, 1, v3
	v_cmp_le_u32_e32 vcc, s28, v17
	v_cndmask_b32_e32 v18, v3, v18, vcc
	v_mov_b32_e32 v19, v2
.LBB47_19:                              ;   in Loop: Header=BB47_3 Depth=1
	s_or_b64 exec, exec, s[0:1]
	v_mad_u64_u32 v[16:17], s[0:1], s8, v16, 0
	v_add3_u32 v32, v17, v34, v33
	v_mul_lo_u32 v3, v19, s28
	v_mul_lo_u32 v17, v18, s29
	v_mad_u64_u32 v[34:35], s[0:1], v18, s28, 0
	v_add3_u32 v3, v35, v17, v3
	v_sub_co_u32_e32 v17, vcc, v16, v34
	v_subb_co_u32_e32 v3, vcc, v32, v3, vcc
	v_add_co_u32_e32 v17, vcc, v0, v17
	v_addc_co_u32_e32 v3, vcc, v1, v3, vcc
	v_mul_lo_u32 v3, v3, s14
	v_mul_lo_u32 v33, v17, s15
	v_mad_u64_u32 v[34:35], s[0:1], v17, s14, 0
	v_add3_u32 v35, v35, v33, v3
	v_mul_lo_u32 v3, v19, s12
	v_mul_lo_u32 v17, v18, s13
	v_mad_u64_u32 v[18:19], s[0:1], v18, s12, 0
	v_add3_u32 v19, v19, v17, v3
	v_lshlrev_b64 v[18:19], 1, v[18:19]
	v_mov_b32_e32 v3, s3
	v_add_co_u32_e32 v17, vcc, s2, v18
	v_addc_co_u32_e32 v3, vcc, v3, v19, vcc
	v_lshlrev_b64 v[18:19], 1, v[34:35]
	v_add_co_u32_e32 v18, vcc, v17, v18
	v_addc_co_u32_e32 v19, vcc, v3, v19, vcc
	global_load_ushort v17, v[18:19], off
	v_or_b32_e32 v3, s35, v7
	v_cmp_ne_u64_e32 vcc, 0, v[2:3]
                                        ; implicit-def: $vgpr18_vgpr19
	s_and_saveexec_b64 s[0:1], vcc
	s_xor_b64 s[64:65], exec, s[0:1]
	s_cbranch_execz .LBB47_21
; %bb.20:                               ;   in Loop: Header=BB47_3 Depth=1
	s_ashr_i32 s66, s35, 31
	s_add_u32 s0, s34, s66
	s_mov_b32 s67, s66
	s_addc_u32 s1, s35, s66
	s_xor_b64 s[68:69], s[0:1], s[66:67]
	v_cvt_f32_u32_e32 v3, s68
	v_cvt_f32_u32_e32 v18, s69
	s_sub_u32 s0, 0, s68
	s_subb_u32 s1, 0, s69
	v_mac_f32_e32 v3, 0x4f800000, v18
	v_rcp_f32_e32 v3, v3
	v_mul_f32_e32 v3, 0x5f7ffffc, v3
	v_mul_f32_e32 v18, 0x2f800000, v3
	v_trunc_f32_e32 v18, v18
	v_mac_f32_e32 v3, 0xcf800000, v18
	v_cvt_u32_f32_e32 v18, v18
	v_cvt_u32_f32_e32 v3, v3
	v_mul_lo_u32 v19, s0, v18
	v_mul_hi_u32 v34, s0, v3
	v_mul_lo_u32 v33, s1, v3
	v_add_u32_e32 v19, v34, v19
	v_mul_lo_u32 v35, s0, v3
	v_add_u32_e32 v19, v19, v33
	v_mul_lo_u32 v34, v3, v19
	v_mul_hi_u32 v36, v3, v35
	v_mul_hi_u32 v33, v3, v19
	v_add_co_u32_e32 v34, vcc, v36, v34
	v_addc_co_u32_e32 v33, vcc, 0, v33, vcc
	v_mul_hi_u32 v37, v18, v35
	v_mul_lo_u32 v35, v18, v35
	v_add_co_u32_e32 v34, vcc, v34, v35
	v_mul_hi_u32 v36, v18, v19
	v_addc_co_u32_e32 v33, vcc, v33, v37, vcc
	v_addc_co_u32_e32 v34, vcc, 0, v36, vcc
	v_mul_lo_u32 v19, v18, v19
	v_add_co_u32_e32 v19, vcc, v33, v19
	v_addc_co_u32_e32 v33, vcc, 0, v34, vcc
	v_add_co_u32_e32 v3, vcc, v3, v19
	v_addc_co_u32_e32 v18, vcc, v18, v33, vcc
	v_mul_lo_u32 v19, s0, v18
	v_mul_hi_u32 v33, s0, v3
	v_add_u32_e32 v19, v33, v19
	v_mul_lo_u32 v33, s1, v3
	v_add_u32_e32 v19, v19, v33
	v_mul_lo_u32 v34, s0, v3
	v_mul_hi_u32 v35, v18, v34
	v_mul_lo_u32 v36, v18, v34
	v_mul_lo_u32 v38, v3, v19
	v_mul_hi_u32 v34, v3, v34
	v_mul_hi_u32 v37, v3, v19
	v_add_co_u32_e32 v34, vcc, v34, v38
	v_addc_co_u32_e32 v37, vcc, 0, v37, vcc
	v_add_co_u32_e32 v34, vcc, v34, v36
	v_mul_hi_u32 v33, v18, v19
	v_addc_co_u32_e32 v34, vcc, v37, v35, vcc
	v_addc_co_u32_e32 v33, vcc, 0, v33, vcc
	v_mul_lo_u32 v19, v18, v19
	v_add_co_u32_e32 v19, vcc, v34, v19
	v_addc_co_u32_e32 v33, vcc, 0, v33, vcc
	v_add_co_u32_e32 v3, vcc, v3, v19
	v_addc_co_u32_e32 v18, vcc, v18, v33, vcc
	;; [unrolled: 2-line block ×3, first 2 shown]
	v_xor_b32_e32 v34, v6, v27
	v_xor_b32_e32 v33, v7, v27
	v_mad_u64_u32 v[6:7], s[0:1], v34, v18, 0
	v_mul_hi_u32 v19, v34, v3
	v_add_co_u32_e32 v35, vcc, v19, v6
	v_addc_co_u32_e32 v36, vcc, 0, v7, vcc
	v_mad_u64_u32 v[6:7], s[0:1], v33, v18, 0
	v_mad_u64_u32 v[18:19], s[0:1], v33, v3, 0
	v_add_co_u32_e32 v3, vcc, v35, v18
	v_addc_co_u32_e32 v3, vcc, v36, v19, vcc
	v_addc_co_u32_e32 v7, vcc, 0, v7, vcc
	v_add_co_u32_e32 v3, vcc, v3, v6
	v_addc_co_u32_e32 v18, vcc, 0, v7, vcc
	v_mul_lo_u32 v19, s69, v3
	v_mul_lo_u32 v35, s68, v18
	v_mad_u64_u32 v[6:7], s[0:1], s68, v3, 0
	v_add3_u32 v7, v7, v35, v19
	v_sub_u32_e32 v19, v33, v7
	v_mov_b32_e32 v35, s69
	v_sub_co_u32_e32 v6, vcc, v34, v6
	v_subb_co_u32_e64 v19, s[0:1], v19, v35, vcc
	v_subrev_co_u32_e64 v34, s[0:1], s68, v6
	v_subbrev_co_u32_e64 v19, s[0:1], 0, v19, s[0:1]
	v_cmp_le_u32_e64 s[0:1], s69, v19
	v_cndmask_b32_e64 v35, 0, -1, s[0:1]
	v_cmp_le_u32_e64 s[0:1], s68, v34
	v_cndmask_b32_e64 v34, 0, -1, s[0:1]
	v_cmp_eq_u32_e64 s[0:1], s69, v19
	v_cndmask_b32_e64 v19, v35, v34, s[0:1]
	v_add_co_u32_e64 v34, s[0:1], 2, v3
	v_subb_co_u32_e32 v7, vcc, v33, v7, vcc
	v_addc_co_u32_e64 v35, s[0:1], 0, v18, s[0:1]
	v_cmp_le_u32_e32 vcc, s69, v7
	v_add_co_u32_e64 v36, s[0:1], 1, v3
	v_cndmask_b32_e64 v33, 0, -1, vcc
	v_cmp_le_u32_e32 vcc, s68, v6
	v_addc_co_u32_e64 v37, s[0:1], 0, v18, s[0:1]
	v_cndmask_b32_e64 v6, 0, -1, vcc
	v_cmp_eq_u32_e32 vcc, s69, v7
	v_cmp_ne_u32_e64 s[0:1], 0, v19
	v_cndmask_b32_e32 v6, v33, v6, vcc
	v_cmp_ne_u32_e32 vcc, 0, v6
	v_cndmask_b32_e64 v7, v36, v34, s[0:1]
	v_cndmask_b32_e64 v19, v37, v35, s[0:1]
	v_cndmask_b32_e32 v3, v3, v7, vcc
	v_xor_b32_e32 v7, s66, v27
	v_cndmask_b32_e32 v6, v18, v19, vcc
	v_xor_b32_e32 v3, v3, v7
	v_xor_b32_e32 v6, v6, v7
	v_sub_co_u32_e32 v18, vcc, v3, v7
	v_subb_co_u32_e32 v19, vcc, v6, v7, vcc
                                        ; implicit-def: $vgpr6_vgpr7
.LBB47_21:                              ;   in Loop: Header=BB47_3 Depth=1
	s_or_saveexec_b64 s[0:1], s[64:65]
	v_cvt_f32_u32_e32 v27, s34
	s_xor_b64 exec, exec, s[0:1]
	s_cbranch_execz .LBB47_23
; %bb.22:                               ;   in Loop: Header=BB47_3 Depth=1
	v_rcp_iflag_f32_e32 v3, v27
	s_sub_i32 s64, 0, s34
	v_mov_b32_e32 v19, v2
	v_mul_f32_e32 v3, 0x4f7ffffe, v3
	v_cvt_u32_f32_e32 v3, v3
	v_mul_lo_u32 v7, s64, v3
	v_mul_hi_u32 v7, v3, v7
	v_add_u32_e32 v3, v3, v7
	v_mul_hi_u32 v3, v6, v3
	v_mul_lo_u32 v7, v3, s34
	v_sub_u32_e32 v6, v6, v7
	v_add_u32_e32 v18, 1, v3
	v_subrev_u32_e32 v7, s34, v6
	v_cmp_le_u32_e32 vcc, s34, v6
	v_cndmask_b32_e32 v6, v6, v7, vcc
	v_cndmask_b32_e32 v3, v3, v18, vcc
	v_add_u32_e32 v7, 1, v3
	v_cmp_le_u32_e32 vcc, s34, v6
	v_cndmask_b32_e32 v18, v3, v7, vcc
.LBB47_23:                              ;   in Loop: Header=BB47_3 Depth=1
	s_or_b64 exec, exec, s[0:1]
	v_mul_lo_u32 v3, v19, s34
	v_mul_lo_u32 v33, v18, s35
	v_mad_u64_u32 v[6:7], s[0:1], v18, s34, 0
	v_add3_u32 v3, v7, v33, v3
	v_sub_co_u32_e32 v6, vcc, v12, v6
	v_subb_co_u32_e32 v3, vcc, v30, v3, vcc
	v_add_co_u32_e32 v6, vcc, v0, v6
	v_addc_co_u32_e32 v3, vcc, v1, v3, vcc
	v_mul_lo_u32 v3, v3, s18
	v_mul_lo_u32 v12, v6, s19
	v_mad_u64_u32 v[6:7], s[0:1], v6, s18, 0
	v_add3_u32 v7, v7, v12, v3
	v_mul_lo_u32 v3, v19, s16
	v_mul_lo_u32 v12, v18, s17
	v_mad_u64_u32 v[18:19], s[0:1], v18, s16, 0
	v_add3_u32 v19, v19, v12, v3
	v_lshlrev_b64 v[18:19], 1, v[18:19]
	v_mov_b32_e32 v3, s31
	v_add_co_u32_e32 v12, vcc, s30, v18
	v_addc_co_u32_e32 v3, vcc, v3, v19, vcc
	v_lshlrev_b64 v[6:7], 1, v[6:7]
	v_add_co_u32_e32 v6, vcc, v12, v6
	v_addc_co_u32_e32 v7, vcc, v3, v7, vcc
	global_load_ushort v18, v[6:7], off
	v_or_b32_e32 v3, s35, v9
	v_cmp_ne_u64_e32 vcc, 0, v[2:3]
                                        ; implicit-def: $vgpr6_vgpr7
	s_and_saveexec_b64 s[0:1], vcc
	s_xor_b64 s[64:65], exec, s[0:1]
	s_cbranch_execz .LBB47_25
; %bb.24:                               ;   in Loop: Header=BB47_3 Depth=1
	s_ashr_i32 s66, s35, 31
	s_add_u32 s0, s34, s66
	s_mov_b32 s67, s66
	s_addc_u32 s1, s35, s66
	s_xor_b64 s[68:69], s[0:1], s[66:67]
	v_cvt_f32_u32_e32 v3, s68
	v_cvt_f32_u32_e32 v6, s69
	s_sub_u32 s0, 0, s68
	s_subb_u32 s1, 0, s69
	v_mac_f32_e32 v3, 0x4f800000, v6
	v_rcp_f32_e32 v3, v3
	v_mul_f32_e32 v3, 0x5f7ffffc, v3
	v_mul_f32_e32 v6, 0x2f800000, v3
	v_trunc_f32_e32 v6, v6
	v_mac_f32_e32 v3, 0xcf800000, v6
	v_cvt_u32_f32_e32 v6, v6
	v_cvt_u32_f32_e32 v3, v3
	v_mul_lo_u32 v7, s0, v6
	v_mul_hi_u32 v19, s0, v3
	v_mul_lo_u32 v12, s1, v3
	v_add_u32_e32 v7, v19, v7
	v_mul_lo_u32 v30, s0, v3
	v_add_u32_e32 v7, v7, v12
	v_mul_lo_u32 v19, v3, v7
	v_mul_hi_u32 v33, v3, v30
	v_mul_hi_u32 v12, v3, v7
	v_add_co_u32_e32 v19, vcc, v33, v19
	v_addc_co_u32_e32 v12, vcc, 0, v12, vcc
	v_mul_hi_u32 v34, v6, v30
	v_mul_lo_u32 v30, v6, v30
	v_add_co_u32_e32 v19, vcc, v19, v30
	v_mul_hi_u32 v33, v6, v7
	v_addc_co_u32_e32 v12, vcc, v12, v34, vcc
	v_addc_co_u32_e32 v19, vcc, 0, v33, vcc
	v_mul_lo_u32 v7, v6, v7
	v_add_co_u32_e32 v7, vcc, v12, v7
	v_addc_co_u32_e32 v12, vcc, 0, v19, vcc
	v_add_co_u32_e32 v3, vcc, v3, v7
	v_addc_co_u32_e32 v6, vcc, v6, v12, vcc
	v_mul_lo_u32 v7, s0, v6
	v_mul_hi_u32 v12, s0, v3
	v_add_u32_e32 v7, v12, v7
	v_mul_lo_u32 v12, s1, v3
	v_add_u32_e32 v7, v7, v12
	v_mul_lo_u32 v19, s0, v3
	v_mul_hi_u32 v30, v6, v19
	v_mul_lo_u32 v33, v6, v19
	v_mul_lo_u32 v35, v3, v7
	v_mul_hi_u32 v19, v3, v19
	v_mul_hi_u32 v34, v3, v7
	v_add_co_u32_e32 v19, vcc, v19, v35
	v_addc_co_u32_e32 v34, vcc, 0, v34, vcc
	v_add_co_u32_e32 v19, vcc, v19, v33
	v_mul_hi_u32 v12, v6, v7
	v_addc_co_u32_e32 v19, vcc, v34, v30, vcc
	v_addc_co_u32_e32 v12, vcc, 0, v12, vcc
	v_mul_lo_u32 v7, v6, v7
	v_add_co_u32_e32 v7, vcc, v19, v7
	v_addc_co_u32_e32 v12, vcc, 0, v12, vcc
	v_add_co_u32_e32 v3, vcc, v3, v7
	v_addc_co_u32_e32 v12, vcc, v6, v12, vcc
	v_add_co_u32_e32 v6, vcc, v8, v28
	v_addc_co_u32_e32 v7, vcc, v9, v28, vcc
	v_xor_b32_e32 v30, v6, v28
	v_xor_b32_e32 v19, v7, v28
	v_mad_u64_u32 v[6:7], s[0:1], v30, v12, 0
	v_mul_hi_u32 v8, v30, v3
	v_add_co_u32_e32 v33, vcc, v8, v6
	v_addc_co_u32_e32 v34, vcc, 0, v7, vcc
	v_mad_u64_u32 v[8:9], s[0:1], v19, v3, 0
	v_add_co_u32_e32 v3, vcc, v33, v8
	v_mad_u64_u32 v[6:7], s[0:1], v19, v12, 0
	v_addc_co_u32_e32 v3, vcc, v34, v9, vcc
	v_addc_co_u32_e32 v7, vcc, 0, v7, vcc
	v_add_co_u32_e32 v3, vcc, v3, v6
	v_addc_co_u32_e32 v8, vcc, 0, v7, vcc
	v_mul_lo_u32 v9, s69, v3
	v_mul_lo_u32 v12, s68, v8
	v_mad_u64_u32 v[6:7], s[0:1], s68, v3, 0
	v_add3_u32 v7, v7, v12, v9
	v_sub_u32_e32 v9, v19, v7
	v_mov_b32_e32 v12, s69
	v_sub_co_u32_e32 v6, vcc, v30, v6
	v_subb_co_u32_e64 v9, s[0:1], v9, v12, vcc
	v_subrev_co_u32_e64 v12, s[0:1], s68, v6
	v_subbrev_co_u32_e64 v9, s[0:1], 0, v9, s[0:1]
	v_cmp_le_u32_e64 s[0:1], s69, v9
	v_cndmask_b32_e64 v30, 0, -1, s[0:1]
	v_cmp_le_u32_e64 s[0:1], s68, v12
	v_cndmask_b32_e64 v12, 0, -1, s[0:1]
	v_cmp_eq_u32_e64 s[0:1], s69, v9
	v_cndmask_b32_e64 v9, v30, v12, s[0:1]
	v_add_co_u32_e64 v12, s[0:1], 2, v3
	v_subb_co_u32_e32 v7, vcc, v19, v7, vcc
	v_addc_co_u32_e64 v30, s[0:1], 0, v8, s[0:1]
	v_cmp_le_u32_e32 vcc, s69, v7
	v_add_co_u32_e64 v33, s[0:1], 1, v3
	v_cndmask_b32_e64 v19, 0, -1, vcc
	v_cmp_le_u32_e32 vcc, s68, v6
	v_addc_co_u32_e64 v34, s[0:1], 0, v8, s[0:1]
	v_cndmask_b32_e64 v6, 0, -1, vcc
	v_cmp_eq_u32_e32 vcc, s69, v7
	v_cmp_ne_u32_e64 s[0:1], 0, v9
	v_cndmask_b32_e32 v6, v19, v6, vcc
	v_cmp_ne_u32_e32 vcc, 0, v6
	v_cndmask_b32_e64 v7, v33, v12, s[0:1]
	v_cndmask_b32_e64 v9, v34, v30, s[0:1]
	v_cndmask_b32_e32 v3, v3, v7, vcc
	v_xor_b32_e32 v7, s66, v28
	v_cndmask_b32_e32 v6, v8, v9, vcc
	v_xor_b32_e32 v3, v3, v7
	v_xor_b32_e32 v8, v6, v7
	v_sub_co_u32_e32 v6, vcc, v3, v7
	v_subb_co_u32_e32 v7, vcc, v8, v7, vcc
                                        ; implicit-def: $vgpr8_vgpr9
.LBB47_25:                              ;   in Loop: Header=BB47_3 Depth=1
	s_andn2_saveexec_b64 s[0:1], s[64:65]
	s_cbranch_execz .LBB47_27
; %bb.26:                               ;   in Loop: Header=BB47_3 Depth=1
	v_rcp_iflag_f32_e32 v3, v27
	s_sub_i32 s64, 0, s34
	v_mul_f32_e32 v3, 0x4f7ffffe, v3
	v_cvt_u32_f32_e32 v3, v3
	v_mul_lo_u32 v6, s64, v3
	v_mul_hi_u32 v6, v3, v6
	v_add_u32_e32 v3, v3, v6
	v_mul_hi_u32 v3, v8, v3
	v_mul_lo_u32 v6, v3, s34
	v_sub_u32_e32 v6, v8, v6
	v_add_u32_e32 v7, 1, v3
	v_subrev_u32_e32 v8, s34, v6
	v_cmp_le_u32_e32 vcc, s34, v6
	v_cndmask_b32_e32 v6, v6, v8, vcc
	v_cndmask_b32_e32 v3, v3, v7, vcc
	v_add_u32_e32 v7, 1, v3
	v_cmp_le_u32_e32 vcc, s34, v6
	v_cndmask_b32_e32 v6, v3, v7, vcc
	v_mov_b32_e32 v7, v2
.LBB47_27:                              ;   in Loop: Header=BB47_3 Depth=1
	s_or_b64 exec, exec, s[0:1]
	v_mul_lo_u32 v3, v7, s34
	v_mul_lo_u32 v12, v6, s35
	v_mad_u64_u32 v[8:9], s[0:1], v6, s34, 0
	v_add3_u32 v3, v9, v12, v3
	v_sub_co_u32_e32 v8, vcc, v14, v8
	v_subb_co_u32_e32 v3, vcc, v31, v3, vcc
	v_add_co_u32_e32 v8, vcc, v0, v8
	v_addc_co_u32_e32 v3, vcc, v1, v3, vcc
	v_mul_lo_u32 v3, v3, s18
	v_mul_lo_u32 v12, v8, s19
	v_mad_u64_u32 v[8:9], s[0:1], v8, s18, 0
	v_add3_u32 v9, v9, v12, v3
	v_mul_lo_u32 v3, v7, s16
	v_mul_lo_u32 v12, v6, s17
	v_mad_u64_u32 v[6:7], s[0:1], v6, s16, 0
	v_add3_u32 v7, v7, v12, v3
	v_lshlrev_b64 v[6:7], 1, v[6:7]
	v_mov_b32_e32 v3, s31
	v_add_co_u32_e32 v12, vcc, s30, v6
	v_addc_co_u32_e32 v3, vcc, v3, v7, vcc
	v_lshlrev_b64 v[6:7], 1, v[8:9]
	v_add_co_u32_e32 v6, vcc, v12, v6
	v_addc_co_u32_e32 v7, vcc, v3, v7, vcc
	global_load_ushort v14, v[6:7], off
	v_or_b32_e32 v3, s35, v11
	v_cmp_ne_u64_e32 vcc, 0, v[2:3]
                                        ; implicit-def: $vgpr6_vgpr7
	s_and_saveexec_b64 s[0:1], vcc
	s_xor_b64 s[64:65], exec, s[0:1]
	s_cbranch_execz .LBB47_29
; %bb.28:                               ;   in Loop: Header=BB47_3 Depth=1
	s_ashr_i32 s66, s35, 31
	s_add_u32 s0, s34, s66
	s_mov_b32 s67, s66
	s_addc_u32 s1, s35, s66
	s_xor_b64 s[68:69], s[0:1], s[66:67]
	v_cvt_f32_u32_e32 v3, s68
	v_cvt_f32_u32_e32 v6, s69
	s_sub_u32 s0, 0, s68
	s_subb_u32 s1, 0, s69
	v_mac_f32_e32 v3, 0x4f800000, v6
	v_rcp_f32_e32 v3, v3
	v_mul_f32_e32 v3, 0x5f7ffffc, v3
	v_mul_f32_e32 v6, 0x2f800000, v3
	v_trunc_f32_e32 v6, v6
	v_mac_f32_e32 v3, 0xcf800000, v6
	v_cvt_u32_f32_e32 v6, v6
	v_cvt_u32_f32_e32 v3, v3
	v_mul_lo_u32 v7, s0, v6
	v_mul_hi_u32 v9, s0, v3
	v_mul_lo_u32 v8, s1, v3
	v_add_u32_e32 v7, v9, v7
	v_mul_lo_u32 v12, s0, v3
	v_add_u32_e32 v7, v7, v8
	v_mul_lo_u32 v9, v3, v7
	v_mul_hi_u32 v19, v3, v12
	v_mul_hi_u32 v8, v3, v7
	v_add_co_u32_e32 v9, vcc, v19, v9
	v_addc_co_u32_e32 v8, vcc, 0, v8, vcc
	v_mul_hi_u32 v27, v6, v12
	v_mul_lo_u32 v12, v6, v12
	v_add_co_u32_e32 v9, vcc, v9, v12
	v_mul_hi_u32 v19, v6, v7
	v_addc_co_u32_e32 v8, vcc, v8, v27, vcc
	v_addc_co_u32_e32 v9, vcc, 0, v19, vcc
	v_mul_lo_u32 v7, v6, v7
	v_add_co_u32_e32 v7, vcc, v8, v7
	v_addc_co_u32_e32 v8, vcc, 0, v9, vcc
	v_add_co_u32_e32 v3, vcc, v3, v7
	v_addc_co_u32_e32 v6, vcc, v6, v8, vcc
	v_mul_lo_u32 v7, s0, v6
	v_mul_hi_u32 v8, s0, v3
	v_add_u32_e32 v7, v8, v7
	v_mul_lo_u32 v8, s1, v3
	v_add_u32_e32 v7, v7, v8
	v_mul_lo_u32 v9, s0, v3
	v_mul_hi_u32 v12, v6, v9
	v_mul_lo_u32 v19, v6, v9
	v_mul_lo_u32 v28, v3, v7
	v_mul_hi_u32 v9, v3, v9
	v_mul_hi_u32 v27, v3, v7
	v_add_co_u32_e32 v9, vcc, v9, v28
	v_addc_co_u32_e32 v27, vcc, 0, v27, vcc
	v_add_co_u32_e32 v9, vcc, v9, v19
	v_mul_hi_u32 v8, v6, v7
	v_addc_co_u32_e32 v9, vcc, v27, v12, vcc
	v_addc_co_u32_e32 v8, vcc, 0, v8, vcc
	v_mul_lo_u32 v7, v6, v7
	v_add_co_u32_e32 v7, vcc, v9, v7
	v_addc_co_u32_e32 v8, vcc, 0, v8, vcc
	v_add_co_u32_e32 v3, vcc, v3, v7
	v_addc_co_u32_e32 v8, vcc, v6, v8, vcc
	v_add_co_u32_e32 v6, vcc, v10, v29
	v_addc_co_u32_e32 v7, vcc, v11, v29, vcc
	v_xor_b32_e32 v11, v6, v29
	v_xor_b32_e32 v10, v7, v29
	v_mad_u64_u32 v[6:7], s[0:1], v11, v8, 0
	v_mul_hi_u32 v9, v11, v3
	v_add_co_u32_e32 v12, vcc, v9, v6
	v_addc_co_u32_e32 v19, vcc, 0, v7, vcc
	v_mad_u64_u32 v[6:7], s[0:1], v10, v8, 0
	v_mad_u64_u32 v[8:9], s[0:1], v10, v3, 0
	v_add_co_u32_e32 v3, vcc, v12, v8
	v_addc_co_u32_e32 v3, vcc, v19, v9, vcc
	v_addc_co_u32_e32 v7, vcc, 0, v7, vcc
	v_add_co_u32_e32 v3, vcc, v3, v6
	v_addc_co_u32_e32 v8, vcc, 0, v7, vcc
	v_mul_lo_u32 v9, s69, v3
	v_mul_lo_u32 v12, s68, v8
	v_mad_u64_u32 v[6:7], s[0:1], s68, v3, 0
	v_add3_u32 v7, v7, v12, v9
	v_sub_u32_e32 v9, v10, v7
	v_mov_b32_e32 v12, s69
	v_sub_co_u32_e32 v6, vcc, v11, v6
	v_subb_co_u32_e64 v9, s[0:1], v9, v12, vcc
	v_subrev_co_u32_e64 v11, s[0:1], s68, v6
	v_subbrev_co_u32_e64 v9, s[0:1], 0, v9, s[0:1]
	v_cmp_le_u32_e64 s[0:1], s69, v9
	v_cndmask_b32_e64 v12, 0, -1, s[0:1]
	v_cmp_le_u32_e64 s[0:1], s68, v11
	v_cndmask_b32_e64 v11, 0, -1, s[0:1]
	v_cmp_eq_u32_e64 s[0:1], s69, v9
	v_cndmask_b32_e64 v9, v12, v11, s[0:1]
	v_add_co_u32_e64 v11, s[0:1], 2, v3
	v_subb_co_u32_e32 v7, vcc, v10, v7, vcc
	v_addc_co_u32_e64 v12, s[0:1], 0, v8, s[0:1]
	v_cmp_le_u32_e32 vcc, s69, v7
	v_add_co_u32_e64 v19, s[0:1], 1, v3
	v_cndmask_b32_e64 v10, 0, -1, vcc
	v_cmp_le_u32_e32 vcc, s68, v6
	v_addc_co_u32_e64 v27, s[0:1], 0, v8, s[0:1]
	v_cndmask_b32_e64 v6, 0, -1, vcc
	v_cmp_eq_u32_e32 vcc, s69, v7
	v_cmp_ne_u32_e64 s[0:1], 0, v9
	v_cndmask_b32_e32 v6, v10, v6, vcc
	v_cmp_ne_u32_e32 vcc, 0, v6
	v_cndmask_b32_e64 v7, v19, v11, s[0:1]
	v_cndmask_b32_e64 v9, v27, v12, s[0:1]
	v_cndmask_b32_e32 v3, v3, v7, vcc
	v_xor_b32_e32 v7, s66, v29
	v_cndmask_b32_e32 v6, v8, v9, vcc
	v_xor_b32_e32 v3, v3, v7
	v_xor_b32_e32 v8, v6, v7
	v_sub_co_u32_e32 v6, vcc, v3, v7
	v_subb_co_u32_e32 v7, vcc, v8, v7, vcc
                                        ; implicit-def: $vgpr27
                                        ; implicit-def: $vgpr10_vgpr11
.LBB47_29:                              ;   in Loop: Header=BB47_3 Depth=1
	s_andn2_saveexec_b64 s[0:1], s[64:65]
	s_cbranch_execz .LBB47_31
; %bb.30:                               ;   in Loop: Header=BB47_3 Depth=1
	v_rcp_iflag_f32_e32 v3, v27
	s_sub_i32 s64, 0, s34
	v_mul_f32_e32 v3, 0x4f7ffffe, v3
	v_cvt_u32_f32_e32 v3, v3
	v_mul_lo_u32 v6, s64, v3
	v_mul_hi_u32 v6, v3, v6
	v_add_u32_e32 v3, v3, v6
	v_mul_hi_u32 v3, v10, v3
	v_mul_lo_u32 v6, v3, s34
	v_sub_u32_e32 v6, v10, v6
	v_add_u32_e32 v7, 1, v3
	v_subrev_u32_e32 v8, s34, v6
	v_cmp_le_u32_e32 vcc, s34, v6
	v_cndmask_b32_e32 v6, v6, v8, vcc
	v_cndmask_b32_e32 v3, v3, v7, vcc
	v_add_u32_e32 v7, 1, v3
	v_cmp_le_u32_e32 vcc, s34, v6
	v_cndmask_b32_e32 v6, v3, v7, vcc
	v_mov_b32_e32 v7, v2
.LBB47_31:                              ;   in Loop: Header=BB47_3 Depth=1
	s_or_b64 exec, exec, s[0:1]
	v_mul_lo_u32 v3, v7, s34
	v_mul_lo_u32 v10, v6, s35
	v_mad_u64_u32 v[8:9], s[0:1], v6, s34, 0
	v_add3_u32 v3, v9, v10, v3
	v_sub_co_u32_e32 v8, vcc, v16, v8
	v_subb_co_u32_e32 v3, vcc, v32, v3, vcc
	v_add_co_u32_e32 v8, vcc, v0, v8
	v_addc_co_u32_e32 v3, vcc, v1, v3, vcc
	v_mul_lo_u32 v3, v3, s18
	v_mul_lo_u32 v10, v8, s19
	v_mad_u64_u32 v[8:9], s[0:1], v8, s18, 0
	v_add3_u32 v9, v9, v10, v3
	v_mul_lo_u32 v3, v7, s16
	v_mul_lo_u32 v10, v6, s17
	v_mad_u64_u32 v[6:7], s[0:1], v6, s16, 0
	v_add3_u32 v7, v7, v10, v3
	v_lshlrev_b64 v[6:7], 1, v[6:7]
	v_mov_b32_e32 v3, s31
	v_add_co_u32_e32 v10, vcc, s30, v6
	v_addc_co_u32_e32 v3, vcc, v3, v7, vcc
	v_lshlrev_b64 v[6:7], 1, v[8:9]
	v_add_co_u32_e32 v6, vcc, v10, v6
	v_addc_co_u32_e32 v7, vcc, v3, v7, vcc
	global_load_ushort v10, v[6:7], off
	v_or_b32_e32 v3, s47, v1
	v_cmp_ne_u64_e32 vcc, 0, v[2:3]
                                        ; implicit-def: $vgpr6_vgpr7
	s_and_saveexec_b64 s[0:1], vcc
	s_xor_b64 s[64:65], exec, s[0:1]
	s_cbranch_execz .LBB47_33
; %bb.32:                               ;   in Loop: Header=BB47_3 Depth=1
	s_ashr_i32 s66, s47, 31
	s_add_u32 s0, s46, s66
	s_mov_b32 s67, s66
	s_addc_u32 s1, s47, s66
	s_xor_b64 s[68:69], s[0:1], s[66:67]
	v_cvt_f32_u32_e32 v3, s68
	v_cvt_f32_u32_e32 v6, s69
	s_sub_u32 s0, 0, s68
	s_subb_u32 s1, 0, s69
	v_mac_f32_e32 v3, 0x4f800000, v6
	v_rcp_f32_e32 v3, v3
	v_mul_f32_e32 v3, 0x5f7ffffc, v3
	v_mul_f32_e32 v6, 0x2f800000, v3
	v_trunc_f32_e32 v6, v6
	v_mac_f32_e32 v3, 0xcf800000, v6
	v_cvt_u32_f32_e32 v6, v6
	v_cvt_u32_f32_e32 v3, v3
	v_mul_lo_u32 v7, s0, v6
	v_mul_hi_u32 v9, s0, v3
	v_mul_lo_u32 v8, s1, v3
	v_add_u32_e32 v7, v9, v7
	v_mul_lo_u32 v11, s0, v3
	v_add_u32_e32 v7, v7, v8
	v_mul_lo_u32 v9, v3, v7
	v_mul_hi_u32 v12, v3, v11
	v_mul_hi_u32 v8, v3, v7
	v_add_co_u32_e32 v9, vcc, v12, v9
	v_addc_co_u32_e32 v8, vcc, 0, v8, vcc
	v_mul_hi_u32 v16, v6, v11
	v_mul_lo_u32 v11, v6, v11
	v_add_co_u32_e32 v9, vcc, v9, v11
	v_mul_hi_u32 v12, v6, v7
	v_addc_co_u32_e32 v8, vcc, v8, v16, vcc
	v_addc_co_u32_e32 v9, vcc, 0, v12, vcc
	v_mul_lo_u32 v7, v6, v7
	v_add_co_u32_e32 v7, vcc, v8, v7
	v_addc_co_u32_e32 v8, vcc, 0, v9, vcc
	v_add_co_u32_e32 v3, vcc, v3, v7
	v_addc_co_u32_e32 v6, vcc, v6, v8, vcc
	v_mul_lo_u32 v7, s0, v6
	v_mul_hi_u32 v8, s0, v3
	v_add_u32_e32 v7, v8, v7
	v_mul_lo_u32 v8, s1, v3
	v_add_u32_e32 v7, v7, v8
	v_mul_lo_u32 v9, s0, v3
	v_mul_hi_u32 v11, v6, v9
	v_mul_lo_u32 v12, v6, v9
	v_mul_lo_u32 v19, v3, v7
	v_mul_hi_u32 v9, v3, v9
	v_mul_hi_u32 v16, v3, v7
	v_add_co_u32_e32 v9, vcc, v9, v19
	v_addc_co_u32_e32 v16, vcc, 0, v16, vcc
	v_add_co_u32_e32 v9, vcc, v9, v12
	v_mul_hi_u32 v8, v6, v7
	v_addc_co_u32_e32 v9, vcc, v16, v11, vcc
	v_addc_co_u32_e32 v8, vcc, 0, v8, vcc
	v_mul_lo_u32 v7, v6, v7
	v_add_co_u32_e32 v7, vcc, v9, v7
	v_addc_co_u32_e32 v8, vcc, 0, v8, vcc
	v_add_co_u32_e32 v3, vcc, v3, v7
	v_addc_co_u32_e32 v8, vcc, v6, v8, vcc
	;; [unrolled: 2-line block ×3, first 2 shown]
	v_xor_b32_e32 v12, v6, v26
	v_xor_b32_e32 v11, v7, v26
	v_mad_u64_u32 v[6:7], s[0:1], v12, v8, 0
	v_mul_hi_u32 v9, v12, v3
	v_add_co_u32_e32 v16, vcc, v9, v6
	v_addc_co_u32_e32 v19, vcc, 0, v7, vcc
	v_mad_u64_u32 v[6:7], s[0:1], v11, v8, 0
	v_mad_u64_u32 v[8:9], s[0:1], v11, v3, 0
	v_add_co_u32_e32 v3, vcc, v16, v8
	v_addc_co_u32_e32 v3, vcc, v19, v9, vcc
	v_addc_co_u32_e32 v7, vcc, 0, v7, vcc
	v_add_co_u32_e32 v3, vcc, v3, v6
	v_addc_co_u32_e32 v8, vcc, 0, v7, vcc
	v_mul_lo_u32 v9, s69, v3
	v_mul_lo_u32 v16, s68, v8
	v_mad_u64_u32 v[6:7], s[0:1], s68, v3, 0
	v_add3_u32 v7, v7, v16, v9
	v_sub_u32_e32 v9, v11, v7
	v_mov_b32_e32 v16, s69
	v_sub_co_u32_e32 v6, vcc, v12, v6
	v_subb_co_u32_e64 v9, s[0:1], v9, v16, vcc
	v_subrev_co_u32_e64 v12, s[0:1], s68, v6
	v_subbrev_co_u32_e64 v9, s[0:1], 0, v9, s[0:1]
	v_cmp_le_u32_e64 s[0:1], s69, v9
	v_cndmask_b32_e64 v16, 0, -1, s[0:1]
	v_cmp_le_u32_e64 s[0:1], s68, v12
	v_cndmask_b32_e64 v12, 0, -1, s[0:1]
	v_cmp_eq_u32_e64 s[0:1], s69, v9
	v_cndmask_b32_e64 v9, v16, v12, s[0:1]
	v_add_co_u32_e64 v12, s[0:1], 2, v3
	v_subb_co_u32_e32 v7, vcc, v11, v7, vcc
	v_addc_co_u32_e64 v16, s[0:1], 0, v8, s[0:1]
	v_cmp_le_u32_e32 vcc, s69, v7
	v_add_co_u32_e64 v19, s[0:1], 1, v3
	v_cndmask_b32_e64 v11, 0, -1, vcc
	v_cmp_le_u32_e32 vcc, s68, v6
	v_addc_co_u32_e64 v27, s[0:1], 0, v8, s[0:1]
	v_cndmask_b32_e64 v6, 0, -1, vcc
	v_cmp_eq_u32_e32 vcc, s69, v7
	v_cmp_ne_u32_e64 s[0:1], 0, v9
	v_cndmask_b32_e32 v6, v11, v6, vcc
	v_cmp_ne_u32_e32 vcc, 0, v6
	v_cndmask_b32_e64 v7, v19, v12, s[0:1]
	v_cndmask_b32_e64 v9, v27, v16, s[0:1]
	v_cndmask_b32_e32 v3, v3, v7, vcc
	v_xor_b32_e32 v7, s66, v26
	v_cndmask_b32_e32 v6, v8, v9, vcc
	v_xor_b32_e32 v3, v3, v7
	v_xor_b32_e32 v8, v6, v7
	v_sub_co_u32_e32 v6, vcc, v3, v7
	v_subb_co_u32_e32 v7, vcc, v8, v7, vcc
.LBB47_33:                              ;   in Loop: Header=BB47_3 Depth=1
	s_andn2_saveexec_b64 s[0:1], s[64:65]
	s_cbranch_execz .LBB47_35
; %bb.34:                               ;   in Loop: Header=BB47_3 Depth=1
	v_cvt_f32_u32_e32 v3, s46
	s_sub_i32 s64, 0, s46
	v_rcp_iflag_f32_e32 v3, v3
	v_mul_f32_e32 v3, 0x4f7ffffe, v3
	v_cvt_u32_f32_e32 v3, v3
	v_mul_lo_u32 v6, s64, v3
	v_mul_hi_u32 v6, v3, v6
	v_add_u32_e32 v3, v3, v6
	v_mul_hi_u32 v3, v0, v3
	v_mul_lo_u32 v6, v3, s46
	v_sub_u32_e32 v6, v0, v6
	v_add_u32_e32 v7, 1, v3
	v_subrev_u32_e32 v8, s46, v6
	v_cmp_le_u32_e32 vcc, s46, v6
	v_cndmask_b32_e32 v6, v6, v8, vcc
	v_cndmask_b32_e32 v3, v3, v7, vcc
	v_add_u32_e32 v7, 1, v3
	v_cmp_le_u32_e32 vcc, s46, v6
	v_cndmask_b32_e32 v6, v3, v7, vcc
	v_mov_b32_e32 v7, v2
.LBB47_35:                              ;   in Loop: Header=BB47_3 Depth=1
	s_or_b64 exec, exec, s[0:1]
	v_mad_u64_u32 v[8:9], s[0:1], s73, v6, v[0:1]
	v_mul_lo_u32 v3, s73, v7
	v_mul_lo_u32 v11, s74, v6
	v_add3_u32 v3, v11, v9, v3
	v_mul_lo_u32 v11, v8, s23
	v_mul_lo_u32 v3, v3, s22
	v_mad_u64_u32 v[8:9], s[0:1], v8, s22, 0
	v_add3_u32 v9, v9, v11, v3
	v_mul_lo_u32 v3, v7, s20
	v_mul_lo_u32 v11, v6, s21
	v_mad_u64_u32 v[6:7], s[0:1], v6, s20, 0
	v_add3_u32 v7, v7, v11, v3
	v_lshlrev_b64 v[6:7], 1, v[6:7]
	v_mov_b32_e32 v3, s45
	v_add_co_u32_e32 v11, vcc, s44, v6
	v_addc_co_u32_e32 v3, vcc, v3, v7, vcc
	v_lshlrev_b64 v[6:7], 1, v[8:9]
	v_add_co_u32_e32 v6, vcc, v11, v6
	v_addc_co_u32_e32 v7, vcc, v3, v7, vcc
	global_load_ushort v12, v[6:7], off
	v_or_b32_e32 v3, s51, v1
	v_cmp_ne_u64_e32 vcc, 0, v[2:3]
                                        ; implicit-def: $vgpr8_vgpr9
	s_and_saveexec_b64 s[0:1], vcc
	s_xor_b64 s[64:65], exec, s[0:1]
	s_cbranch_execnz .LBB47_39
; %bb.36:                               ;   in Loop: Header=BB47_3 Depth=1
	s_andn2_saveexec_b64 s[0:1], s[64:65]
	s_cbranch_execnz .LBB47_40
.LBB47_37:                              ;   in Loop: Header=BB47_3 Depth=1
	s_or_b64 exec, exec, s[0:1]
	s_andn2_b64 vcc, exec, s[56:57]
	v_mov_b32_e32 v11, 0
	s_cbranch_vccnz .LBB47_41
.LBB47_38:                              ;   in Loop: Header=BB47_3 Depth=1
	v_mad_u64_u32 v[26:27], s[0:1], s71, v4, v[0:1]
	v_mul_lo_u32 v3, s71, v5
	v_mul_lo_u32 v6, s72, v4
	v_add3_u32 v11, v6, v27, v3
	v_mul_lo_u32 v3, v26, s39
	v_mul_lo_u32 v16, v11, s38
	v_mad_u64_u32 v[6:7], s[0:1], v26, s38, 0
	v_add3_u32 v7, v7, v3, v16
	v_lshlrev_b64 v[6:7], 1, v[6:7]
	v_mov_b32_e32 v3, s37
	v_add_co_u32_e32 v6, vcc, s36, v6
	v_addc_co_u32_e32 v7, vcc, v3, v7, vcc
	v_sub_co_u32_e32 v16, vcc, 1, v4
	v_subb_co_u32_e32 v19, vcc, 0, v5, vcc
	v_mul_lo_u32 v19, s8, v19
	v_mul_lo_u32 v27, s9, v16
	v_mad_u64_u32 v[28:29], s[0:1], s8, v16, v[0:1]
	v_add3_u32 v16, v27, v29, v19
	v_mul_lo_u32 v19, v16, s38
	v_mul_lo_u32 v27, v28, s39
	v_mad_u64_u32 v[30:31], s[0:1], v28, s38, 0
	v_add3_u32 v31, v31, v27, v19
	v_lshlrev_b64 v[30:31], 1, v[30:31]
	v_add_co_u32_e32 v30, vcc, s36, v30
	v_addc_co_u32_e32 v31, vcc, v3, v31, vcc
	v_sub_co_u32_e32 v19, vcc, 2, v4
	v_subb_co_u32_e32 v27, vcc, 0, v5, vcc
	v_mul_lo_u32 v27, s8, v27
	v_mul_lo_u32 v29, s9, v19
	v_mad_u64_u32 v[32:33], s[0:1], s8, v19, v[0:1]
	v_add3_u32 v19, v29, v33, v27
	v_mul_lo_u32 v27, v19, s38
	v_mul_lo_u32 v29, v32, s39
	v_mad_u64_u32 v[34:35], s[0:1], v32, s38, 0
	v_add3_u32 v35, v35, v29, v27
	v_lshlrev_b64 v[34:35], 1, v[34:35]
	v_mul_lo_u32 v29, v26, s43
	v_mul_lo_u32 v11, v11, s42
	v_mad_u64_u32 v[26:27], s[0:1], v26, s42, 0
	v_add_co_u32_e32 v34, vcc, s36, v34
	v_add3_u32 v27, v27, v29, v11
	v_addc_co_u32_e32 v35, vcc, v3, v35, vcc
	global_load_ushort v6, v[6:7], off
	s_nop 0
	global_load_ushort v3, v[30:31], off
	global_load_ushort v7, v[34:35], off
	v_lshlrev_b64 v[26:27], 1, v[26:27]
	v_mul_lo_u32 v16, v16, s42
	v_mul_lo_u32 v30, v28, s43
	v_mad_u64_u32 v[28:29], s[0:1], v28, s42, 0
	v_mov_b32_e32 v11, s41
	v_add_co_u32_e32 v26, vcc, s40, v26
	v_add3_u32 v29, v29, v30, v16
	v_addc_co_u32_e32 v27, vcc, v11, v27, vcc
	v_lshlrev_b64 v[28:29], 1, v[28:29]
	v_mul_lo_u32 v16, v19, s42
	v_mul_lo_u32 v19, v32, s43
	v_mad_u64_u32 v[30:31], s[0:1], v32, s42, 0
	v_add_co_u32_e32 v28, vcc, s40, v28
	v_add3_u32 v31, v31, v19, v16
	v_addc_co_u32_e32 v29, vcc, v11, v29, vcc
	v_lshlrev_b64 v[30:31], 1, v[30:31]
	v_add_co_u32_e32 v30, vcc, s40, v30
	v_addc_co_u32_e32 v31, vcc, v11, v31, vcc
	global_load_ushort v19, v[30:31], off
	global_load_ushort v16, v[26:27], off
	;; [unrolled: 1-line block ×3, first 2 shown]
	s_waitcnt vmcnt(2)
	v_perm_b32 v7, v19, v7, s77
	s_branch .LBB47_42
.LBB47_39:                              ;   in Loop: Header=BB47_3 Depth=1
	s_ashr_i32 s66, s51, 31
	s_add_u32 s0, s50, s66
	s_mov_b32 s67, s66
	s_addc_u32 s1, s51, s66
	s_xor_b64 s[68:69], s[0:1], s[66:67]
	v_cvt_f32_u32_e32 v3, s68
	v_cvt_f32_u32_e32 v6, s69
	s_sub_u32 s0, 0, s68
	s_subb_u32 s1, 0, s69
	v_mac_f32_e32 v3, 0x4f800000, v6
	v_rcp_f32_e32 v3, v3
	v_mul_f32_e32 v3, 0x5f7ffffc, v3
	v_mul_f32_e32 v6, 0x2f800000, v3
	v_trunc_f32_e32 v6, v6
	v_mac_f32_e32 v3, 0xcf800000, v6
	v_cvt_u32_f32_e32 v6, v6
	v_cvt_u32_f32_e32 v3, v3
	v_mul_lo_u32 v7, s0, v6
	v_mul_hi_u32 v9, s0, v3
	v_mul_lo_u32 v8, s1, v3
	v_add_u32_e32 v7, v9, v7
	v_mul_lo_u32 v11, s0, v3
	v_add_u32_e32 v7, v7, v8
	v_mul_lo_u32 v9, v3, v7
	v_mul_hi_u32 v16, v3, v11
	v_mul_hi_u32 v8, v3, v7
	v_add_co_u32_e32 v9, vcc, v16, v9
	v_addc_co_u32_e32 v8, vcc, 0, v8, vcc
	v_mul_hi_u32 v19, v6, v11
	v_mul_lo_u32 v11, v6, v11
	v_add_co_u32_e32 v9, vcc, v9, v11
	v_mul_hi_u32 v16, v6, v7
	v_addc_co_u32_e32 v8, vcc, v8, v19, vcc
	v_addc_co_u32_e32 v9, vcc, 0, v16, vcc
	v_mul_lo_u32 v7, v6, v7
	v_add_co_u32_e32 v7, vcc, v8, v7
	v_addc_co_u32_e32 v8, vcc, 0, v9, vcc
	v_add_co_u32_e32 v3, vcc, v3, v7
	v_addc_co_u32_e32 v6, vcc, v6, v8, vcc
	v_mul_lo_u32 v7, s0, v6
	v_mul_hi_u32 v8, s0, v3
	v_add_u32_e32 v7, v8, v7
	v_mul_lo_u32 v8, s1, v3
	v_add_u32_e32 v7, v7, v8
	v_mul_lo_u32 v9, s0, v3
	v_mul_hi_u32 v11, v6, v9
	v_mul_lo_u32 v16, v6, v9
	v_mul_lo_u32 v27, v3, v7
	v_mul_hi_u32 v9, v3, v9
	v_mul_hi_u32 v19, v3, v7
	v_add_co_u32_e32 v9, vcc, v9, v27
	v_addc_co_u32_e32 v19, vcc, 0, v19, vcc
	v_add_co_u32_e32 v9, vcc, v9, v16
	v_mul_hi_u32 v8, v6, v7
	v_addc_co_u32_e32 v9, vcc, v19, v11, vcc
	v_addc_co_u32_e32 v8, vcc, 0, v8, vcc
	v_mul_lo_u32 v7, v6, v7
	v_add_co_u32_e32 v7, vcc, v9, v7
	v_addc_co_u32_e32 v8, vcc, 0, v8, vcc
	v_add_co_u32_e32 v3, vcc, v3, v7
	v_addc_co_u32_e32 v8, vcc, v6, v8, vcc
	;; [unrolled: 2-line block ×3, first 2 shown]
	v_xor_b32_e32 v16, v6, v26
	v_xor_b32_e32 v11, v7, v26
	v_mad_u64_u32 v[6:7], s[0:1], v16, v8, 0
	v_mul_hi_u32 v9, v16, v3
	v_add_co_u32_e32 v19, vcc, v9, v6
	v_addc_co_u32_e32 v27, vcc, 0, v7, vcc
	v_mad_u64_u32 v[6:7], s[0:1], v11, v8, 0
	v_mad_u64_u32 v[8:9], s[0:1], v11, v3, 0
	v_add_co_u32_e32 v3, vcc, v19, v8
	v_addc_co_u32_e32 v3, vcc, v27, v9, vcc
	v_addc_co_u32_e32 v7, vcc, 0, v7, vcc
	v_add_co_u32_e32 v3, vcc, v3, v6
	v_addc_co_u32_e32 v8, vcc, 0, v7, vcc
	v_mul_lo_u32 v9, s69, v3
	v_mul_lo_u32 v19, s68, v8
	v_mad_u64_u32 v[6:7], s[0:1], s68, v3, 0
	v_add3_u32 v7, v7, v19, v9
	v_sub_u32_e32 v9, v11, v7
	v_mov_b32_e32 v19, s69
	v_sub_co_u32_e32 v6, vcc, v16, v6
	v_subb_co_u32_e64 v9, s[0:1], v9, v19, vcc
	v_subrev_co_u32_e64 v16, s[0:1], s68, v6
	v_subbrev_co_u32_e64 v9, s[0:1], 0, v9, s[0:1]
	v_cmp_le_u32_e64 s[0:1], s69, v9
	v_cndmask_b32_e64 v19, 0, -1, s[0:1]
	v_cmp_le_u32_e64 s[0:1], s68, v16
	v_cndmask_b32_e64 v16, 0, -1, s[0:1]
	v_cmp_eq_u32_e64 s[0:1], s69, v9
	v_cndmask_b32_e64 v9, v19, v16, s[0:1]
	v_add_co_u32_e64 v16, s[0:1], 2, v3
	v_subb_co_u32_e32 v7, vcc, v11, v7, vcc
	v_addc_co_u32_e64 v19, s[0:1], 0, v8, s[0:1]
	v_cmp_le_u32_e32 vcc, s69, v7
	v_add_co_u32_e64 v27, s[0:1], 1, v3
	v_cndmask_b32_e64 v11, 0, -1, vcc
	v_cmp_le_u32_e32 vcc, s68, v6
	v_addc_co_u32_e64 v28, s[0:1], 0, v8, s[0:1]
	v_cndmask_b32_e64 v6, 0, -1, vcc
	v_cmp_eq_u32_e32 vcc, s69, v7
	v_cmp_ne_u32_e64 s[0:1], 0, v9
	v_cndmask_b32_e32 v6, v11, v6, vcc
	v_cmp_ne_u32_e32 vcc, 0, v6
	v_cndmask_b32_e64 v7, v27, v16, s[0:1]
	v_cndmask_b32_e64 v9, v28, v19, s[0:1]
	v_cndmask_b32_e32 v3, v3, v7, vcc
	v_xor_b32_e32 v7, s66, v26
	v_cndmask_b32_e32 v6, v8, v9, vcc
	v_xor_b32_e32 v3, v3, v7
	v_xor_b32_e32 v6, v6, v7
	v_sub_co_u32_e32 v8, vcc, v3, v7
	v_subb_co_u32_e32 v9, vcc, v6, v7, vcc
	s_andn2_saveexec_b64 s[0:1], s[64:65]
	s_cbranch_execz .LBB47_37
.LBB47_40:                              ;   in Loop: Header=BB47_3 Depth=1
	v_cvt_f32_u32_e32 v3, s50
	s_sub_i32 s64, 0, s50
	v_mov_b32_e32 v9, v2
	v_rcp_iflag_f32_e32 v3, v3
	v_mul_f32_e32 v3, 0x4f7ffffe, v3
	v_cvt_u32_f32_e32 v3, v3
	v_mul_lo_u32 v6, s64, v3
	v_mul_hi_u32 v6, v3, v6
	v_add_u32_e32 v3, v3, v6
	v_mul_hi_u32 v3, v0, v3
	v_mul_lo_u32 v6, v3, s50
	v_sub_u32_e32 v6, v0, v6
	v_add_u32_e32 v7, 1, v3
	v_subrev_u32_e32 v8, s50, v6
	v_cmp_le_u32_e32 vcc, s50, v6
	v_cndmask_b32_e32 v6, v6, v8, vcc
	v_cndmask_b32_e32 v3, v3, v7, vcc
	v_add_u32_e32 v7, 1, v3
	v_cmp_le_u32_e32 vcc, s50, v6
	v_cndmask_b32_e32 v8, v3, v7, vcc
	s_or_b64 exec, exec, s[0:1]
	s_andn2_b64 vcc, exec, s[56:57]
	v_mov_b32_e32 v11, 0
	s_cbranch_vccz .LBB47_38
.LBB47_41:                              ;   in Loop: Header=BB47_3 Depth=1
	v_mov_b32_e32 v7, 0
	v_mov_b32_e32 v16, 0
	;; [unrolled: 1-line block ×4, first 2 shown]
.LBB47_42:                              ;   in Loop: Header=BB47_3 Depth=1
	s_waitcnt vmcnt(6)
	v_lshlrev_b32_e32 v13, 16, v13
	s_waitcnt vmcnt(3)
	v_lshlrev_b32_e32 v18, 16, v18
	v_add_f32_e32 v13, v18, v13
	v_lshlrev_b32_e32 v6, 16, v6
	v_add_f32_e32 v6, v13, v6
	s_waitcnt vmcnt(1)
	v_lshlrev_b32_e32 v13, 16, v16
	v_add_f32_e32 v6, v6, v13
	v_mul_f32_e32 v13, 0xbfb8aa3b, v6
	v_fma_f32 v16, v6, s78, -v13
	v_rndne_f32_e32 v18, v13
	v_fmac_f32_e32 v16, 0xb2a5705f, v6
	v_sub_f32_e32 v13, v13, v18
	v_add_f32_e32 v13, v13, v16
	v_exp_f32_e32 v13, v13
	v_cvt_i32_f32_e32 v16, v18
	v_cmp_nlt_f32_e32 vcc, s79, v6
	v_and_b32_e32 v27, 0xffff0000, v7
	v_ldexp_f32 v13, v13, v16
	v_cndmask_b32_e32 v13, 0, v13, vcc
	v_cmp_ngt_f32_e32 vcc, s80, v6
	v_cndmask_b32_e32 v6, v24, v13, vcc
	v_add_f32_e32 v6, 1.0, v6
	v_div_scale_f32 v13, s[0:1], v6, v6, 1.0
	v_rcp_f32_e32 v16, v13
	v_fma_f32 v18, -v13, v16, 1.0
	v_fmac_f32_e32 v16, v18, v16
	v_div_scale_f32 v18, vcc, 1.0, v6, 1.0
	v_mul_f32_e32 v19, v18, v16
	v_fma_f32 v26, -v13, v19, v18
	v_fmac_f32_e32 v19, v26, v16
	v_fma_f32 v13, -v13, v19, v18
	v_div_fmas_f32 v13, v13, v16, v19
	v_lshlrev_b32_e32 v19, 16, v10
	v_lshlrev_b32_e32 v18, 16, v17
	;; [unrolled: 1-line block ×3, first 2 shown]
	v_div_fixup_f32 v16, v13, v6, 1.0
	v_pk_add_f32 v[6:7], v[18:19], v[26:27]
	v_fma_f32 v6, v7, v16, v6
	v_cmp_nlt_f32_e64 s[0:1], |v6|, s81
                                        ; implicit-def: $vgpr13
	s_and_saveexec_b64 s[64:65], s[0:1]
	s_xor_b64 s[0:1], exec, s[64:65]
	s_cbranch_execz .LBB47_44
; %bb.43:                               ;   in Loop: Header=BB47_3 Depth=1
	v_add_f32_e64 v10, |v6|, |v6|
	v_mul_f32_e32 v13, 0x3fb8aa3b, v10
	v_rndne_f32_e32 v17, v13
	v_sub_f32_e32 v18, v13, v17
	v_fma_f32 v13, v10, s82, -v13
	v_fmac_f32_e32 v13, 0x32a5705f, v10
	v_add_f32_e32 v13, v18, v13
	v_cvt_i32_f32_e32 v17, v17
	v_exp_f32_e32 v13, v13
	v_cmp_ngt_f32_e32 vcc, s83, v10
	v_ldexp_f32 v13, v13, v17
	v_cndmask_b32_e32 v13, 0, v13, vcc
	v_cmp_nlt_f32_e32 vcc, s84, v10
	v_cndmask_b32_e32 v10, v24, v13, vcc
	v_add_f32_e32 v10, 1.0, v10
	v_rcp_f32_e32 v10, v10
	v_fma_f32 v13, v10, -2.0, 1.0
.LBB47_44:                              ;   in Loop: Header=BB47_3 Depth=1
	s_andn2_saveexec_b64 s[0:1], s[0:1]
; %bb.45:                               ;   in Loop: Header=BB47_3 Depth=1
	v_mul_f32_e32 v10, v6, v6
	v_mov_b32_e32 v13, 0x3ca908c9
	v_fmac_f32_e32 v13, 0xbbbac73d, v10
	v_fma_f32 v13, v10, v13, v20
	v_fma_f32 v13, v10, v13, v21
	;; [unrolled: 1-line block ×3, first 2 shown]
	v_mul_f32_e64 v13, |v6|, v13
	v_fma_f32 v13, v10, v13, |v6|
; %bb.46:                               ;   in Loop: Header=BB47_3 Depth=1
	s_or_b64 exec, exec, s[0:1]
	v_lshlrev_b32_e32 v10, 16, v15
	v_lshlrev_b32_e32 v14, 16, v14
	v_add_f32_e32 v10, v10, v14
	v_lshlrev_b32_e32 v3, 16, v3
	v_add_f32_e32 v3, v10, v3
	s_waitcnt vmcnt(0)
	v_lshlrev_b32_e32 v10, 16, v11
	v_add_f32_e32 v3, v3, v10
	v_mul_f32_e32 v10, 0xbfb8aa3b, v3
	v_fma_f32 v11, v3, s78, -v10
	v_rndne_f32_e32 v14, v10
	v_fmac_f32_e32 v11, 0xb2a5705f, v3
	v_sub_f32_e32 v10, v10, v14
	v_add_f32_e32 v10, v10, v11
	v_exp_f32_e32 v10, v10
	v_cvt_i32_f32_e32 v11, v14
	v_cmp_nlt_f32_e32 vcc, s79, v3
	v_bfi_b32 v13, s85, v13, v6
	v_mul_lo_u32 v15, s61, v4
	v_ldexp_f32 v10, v10, v11
	v_cndmask_b32_e32 v10, 0, v10, vcc
	v_cmp_ngt_f32_e32 vcc, s80, v3
	v_cndmask_b32_e32 v3, v24, v10, vcc
	v_add_f32_e32 v3, 1.0, v3
	v_div_scale_f32 v14, s[0:1], v3, v3, 1.0
	v_rcp_f32_e32 v18, v14
	v_mul_lo_u32 v17, s60, v5
	v_mad_u64_u32 v[10:11], s[0:1], s60, v4, v[0:1]
	v_fma_f32 v19, -v14, v18, 1.0
	v_fmac_f32_e32 v18, v19, v18
	v_div_scale_f32 v19, vcc, 1.0, v3, 1.0
	v_mul_f32_e32 v26, v19, v18
	v_fma_f32 v27, -v14, v26, v19
	v_fmac_f32_e32 v26, v27, v18
	v_fma_f32 v14, -v14, v26, v19
	v_div_fmas_f32 v14, v14, v18, v26
	v_div_fixup_f32 v14, v14, v3, 1.0
	v_mad_u64_u32 v[18:19], s[0:1], s75, v8, v[0:1]
	v_mul_lo_u32 v3, s75, v9
	v_mul_lo_u32 v26, s76, v8
	v_add3_u32 v3, v26, v19, v3
	v_mul_lo_u32 v26, v18, s27
	v_mul_lo_u32 v3, v3, s26
	v_mad_u64_u32 v[18:19], s[0:1], v18, s26, 0
	v_add3_u32 v19, v19, v26, v3
	v_mul_lo_u32 v3, v9, s24
	v_mul_lo_u32 v26, v8, s25
	v_mad_u64_u32 v[8:9], s[0:1], v8, s24, 0
	v_add3_u32 v9, v9, v26, v3
	v_lshlrev_b64 v[8:9], 1, v[8:9]
	v_mov_b32_e32 v3, s49
	v_add_co_u32_e32 v26, vcc, s48, v8
	v_addc_co_u32_e32 v3, vcc, v3, v9, vcc
	v_lshlrev_b64 v[8:9], 1, v[18:19]
	v_add_co_u32_e32 v8, vcc, v26, v8
	v_addc_co_u32_e32 v9, vcc, v3, v9, vcc
	v_lshlrev_b32_e32 v3, 16, v12
	v_sub_f32_e32 v3, v3, v13
	v_fma_f32 v3, v14, v3, v13
	v_bfe_u32 v6, v3, 16, 1
	v_add3_u32 v6, v3, v6, s86
	v_lshrrev_b32_e32 v6, 16, v6
	v_cmp_o_f32_e32 vcc, v3, v3
	v_add3_u32 v11, v15, v11, v17
	v_cndmask_b32_e32 v3, v25, v6, vcc
	global_store_short v[8:9], v3, off
	v_or_b32_e32 v3, s55, v11
	v_cmp_ne_u64_e32 vcc, 0, v[2:3]
                                        ; implicit-def: $vgpr8_vgpr9
	s_and_saveexec_b64 s[0:1], vcc
	s_xor_b64 s[64:65], exec, s[0:1]
	s_cbranch_execz .LBB47_48
; %bb.47:                               ;   in Loop: Header=BB47_3 Depth=1
	s_ashr_i32 s66, s55, 31
	s_add_u32 s0, s54, s66
	s_mov_b32 s67, s66
	s_addc_u32 s1, s55, s66
	s_xor_b64 s[68:69], s[0:1], s[66:67]
	v_cvt_f32_u32_e32 v3, s68
	v_cvt_f32_u32_e32 v6, s69
	s_sub_u32 s0, 0, s68
	s_subb_u32 s1, 0, s69
	v_mac_f32_e32 v3, 0x4f800000, v6
	v_rcp_f32_e32 v3, v3
	v_mul_f32_e32 v3, 0x5f7ffffc, v3
	v_mul_f32_e32 v6, 0x2f800000, v3
	v_trunc_f32_e32 v6, v6
	v_mac_f32_e32 v3, 0xcf800000, v6
	v_cvt_u32_f32_e32 v6, v6
	v_cvt_u32_f32_e32 v3, v3
	v_mul_lo_u32 v8, s0, v6
	v_mul_hi_u32 v18, s0, v3
	v_mul_lo_u32 v9, s1, v3
	v_add_u32_e32 v8, v18, v8
	v_mul_lo_u32 v19, s0, v3
	v_add_u32_e32 v8, v8, v9
	v_mul_lo_u32 v18, v3, v8
	v_mul_hi_u32 v26, v3, v19
	v_mul_hi_u32 v9, v3, v8
	v_add_co_u32_e32 v18, vcc, v26, v18
	v_addc_co_u32_e32 v9, vcc, 0, v9, vcc
	v_mul_hi_u32 v27, v6, v19
	v_mul_lo_u32 v19, v6, v19
	v_add_co_u32_e32 v18, vcc, v18, v19
	v_mul_hi_u32 v26, v6, v8
	v_addc_co_u32_e32 v9, vcc, v9, v27, vcc
	v_addc_co_u32_e32 v18, vcc, 0, v26, vcc
	v_mul_lo_u32 v8, v6, v8
	v_add_co_u32_e32 v8, vcc, v9, v8
	v_addc_co_u32_e32 v9, vcc, 0, v18, vcc
	v_add_co_u32_e32 v3, vcc, v3, v8
	v_addc_co_u32_e32 v6, vcc, v6, v9, vcc
	v_mul_lo_u32 v8, s0, v6
	v_mul_hi_u32 v9, s0, v3
	v_add_u32_e32 v8, v9, v8
	v_mul_lo_u32 v9, s1, v3
	v_add_u32_e32 v8, v8, v9
	v_mul_lo_u32 v18, s0, v3
	v_mul_hi_u32 v19, v6, v18
	v_mul_lo_u32 v26, v6, v18
	v_mul_lo_u32 v28, v3, v8
	v_mul_hi_u32 v18, v3, v18
	v_mul_hi_u32 v27, v3, v8
	v_add_co_u32_e32 v18, vcc, v18, v28
	v_addc_co_u32_e32 v27, vcc, 0, v27, vcc
	v_add_co_u32_e32 v18, vcc, v18, v26
	v_mul_hi_u32 v9, v6, v8
	v_addc_co_u32_e32 v18, vcc, v27, v19, vcc
	v_addc_co_u32_e32 v9, vcc, 0, v9, vcc
	v_mul_lo_u32 v8, v6, v8
	v_add_co_u32_e32 v8, vcc, v18, v8
	v_addc_co_u32_e32 v9, vcc, 0, v9, vcc
	v_add_co_u32_e32 v3, vcc, v3, v8
	v_addc_co_u32_e32 v6, vcc, v6, v9, vcc
	v_ashrrev_i32_e32 v18, 31, v11
	v_add_co_u32_e32 v8, vcc, v10, v18
	v_addc_co_u32_e32 v9, vcc, v11, v18, vcc
	v_xor_b32_e32 v26, v8, v18
	v_xor_b32_e32 v19, v9, v18
	v_mad_u64_u32 v[8:9], s[0:1], v26, v6, 0
	v_mul_hi_u32 v10, v26, v3
	v_add_co_u32_e32 v27, vcc, v10, v8
	v_addc_co_u32_e32 v28, vcc, 0, v9, vcc
	v_mad_u64_u32 v[10:11], s[0:1], v19, v3, 0
	v_add_co_u32_e32 v3, vcc, v27, v10
	v_mad_u64_u32 v[8:9], s[0:1], v19, v6, 0
	v_addc_co_u32_e32 v3, vcc, v28, v11, vcc
	v_addc_co_u32_e32 v6, vcc, 0, v9, vcc
	v_add_co_u32_e32 v3, vcc, v3, v8
	v_addc_co_u32_e32 v6, vcc, 0, v6, vcc
	v_mul_lo_u32 v10, s69, v3
	v_mul_lo_u32 v11, s68, v6
	v_mad_u64_u32 v[8:9], s[0:1], s68, v3, 0
	v_add3_u32 v9, v9, v11, v10
	v_sub_u32_e32 v10, v19, v9
	v_mov_b32_e32 v11, s69
	v_sub_co_u32_e32 v8, vcc, v26, v8
	v_subb_co_u32_e64 v10, s[0:1], v10, v11, vcc
	v_subrev_co_u32_e64 v11, s[0:1], s68, v8
	v_subbrev_co_u32_e64 v10, s[0:1], 0, v10, s[0:1]
	v_cmp_le_u32_e64 s[0:1], s69, v10
	v_cndmask_b32_e64 v26, 0, -1, s[0:1]
	v_cmp_le_u32_e64 s[0:1], s68, v11
	v_cndmask_b32_e64 v11, 0, -1, s[0:1]
	v_cmp_eq_u32_e64 s[0:1], s69, v10
	v_cndmask_b32_e64 v10, v26, v11, s[0:1]
	v_add_co_u32_e64 v11, s[0:1], 2, v3
	v_subb_co_u32_e32 v9, vcc, v19, v9, vcc
	v_addc_co_u32_e64 v26, s[0:1], 0, v6, s[0:1]
	v_cmp_le_u32_e32 vcc, s69, v9
	v_add_co_u32_e64 v27, s[0:1], 1, v3
	v_cndmask_b32_e64 v19, 0, -1, vcc
	v_cmp_le_u32_e32 vcc, s68, v8
	v_addc_co_u32_e64 v28, s[0:1], 0, v6, s[0:1]
	v_cndmask_b32_e64 v8, 0, -1, vcc
	v_cmp_eq_u32_e32 vcc, s69, v9
	v_cmp_ne_u32_e64 s[0:1], 0, v10
	v_cndmask_b32_e32 v8, v19, v8, vcc
	v_cmp_ne_u32_e32 vcc, 0, v8
	v_cndmask_b32_e64 v8, v27, v11, s[0:1]
	v_cndmask_b32_e64 v10, v28, v26, s[0:1]
	v_cndmask_b32_e32 v3, v3, v8, vcc
	v_xor_b32_e32 v9, s66, v18
	v_cndmask_b32_e32 v6, v6, v10, vcc
	v_xor_b32_e32 v3, v3, v9
	v_xor_b32_e32 v6, v6, v9
	v_sub_co_u32_e32 v8, vcc, v3, v9
	v_subb_co_u32_e32 v9, vcc, v6, v9, vcc
                                        ; implicit-def: $vgpr10_vgpr11
.LBB47_48:                              ;   in Loop: Header=BB47_3 Depth=1
	s_or_saveexec_b64 s[0:1], s[64:65]
	v_cvt_f32_u32_e32 v6, s54
	s_xor_b64 exec, exec, s[0:1]
	s_cbranch_execz .LBB47_50
; %bb.49:                               ;   in Loop: Header=BB47_3 Depth=1
	v_rcp_iflag_f32_e32 v3, v6
	s_sub_i32 s64, 0, s54
	v_mul_f32_e32 v3, 0x4f7ffffe, v3
	v_cvt_u32_f32_e32 v3, v3
	v_mul_lo_u32 v8, s64, v3
	v_mul_hi_u32 v8, v3, v8
	v_add_u32_e32 v3, v3, v8
	v_mul_hi_u32 v3, v10, v3
	v_mul_lo_u32 v8, v3, s54
	v_sub_u32_e32 v8, v10, v8
	v_add_u32_e32 v9, 1, v3
	v_subrev_u32_e32 v10, s54, v8
	v_cmp_le_u32_e32 vcc, s54, v8
	v_cndmask_b32_e32 v8, v8, v10, vcc
	v_cndmask_b32_e32 v3, v3, v9, vcc
	v_add_u32_e32 v9, 1, v3
	v_cmp_le_u32_e32 vcc, s54, v8
	v_cndmask_b32_e32 v8, v3, v9, vcc
	v_mov_b32_e32 v9, v2
.LBB47_50:                              ;   in Loop: Header=BB47_3 Depth=1
	s_or_b64 exec, exec, s[0:1]
	v_mad_u64_u32 v[10:11], s[0:1], s60, v4, 0
	v_add3_u32 v3, v11, v17, v15
	v_bfe_u32 v11, v16, 16, 1
	v_add3_u32 v11, v16, v11, s86
	v_lshrrev_b32_e32 v11, 16, v11
	v_cmp_o_f32_e32 vcc, v16, v16
	v_cndmask_b32_e32 v15, v25, v11, vcc
	v_mul_lo_u32 v11, v9, s54
	v_mul_lo_u32 v18, v8, s55
	v_mad_u64_u32 v[16:17], s[0:1], v8, s54, 0
	v_add3_u32 v11, v17, v18, v11
	v_sub_co_u32_e32 v10, vcc, v10, v16
	v_subb_co_u32_e32 v3, vcc, v3, v11, vcc
	v_add_co_u32_e32 v10, vcc, v0, v10
	v_addc_co_u32_e32 v3, vcc, v1, v3, vcc
	v_mul_lo_u32 v3, v3, s6
	v_mul_lo_u32 v16, v10, s7
	v_mad_u64_u32 v[10:11], s[0:1], v10, s6, 0
	v_add3_u32 v11, v11, v16, v3
	v_mul_lo_u32 v3, v9, s4
	v_mul_lo_u32 v16, v8, s5
	v_mad_u64_u32 v[8:9], s[0:1], v8, s4, 0
	v_add3_u32 v9, v9, v16, v3
	v_lshlrev_b64 v[8:9], 1, v[8:9]
	v_mov_b32_e32 v3, s53
	v_add_co_u32_e32 v16, vcc, s52, v8
	v_addc_co_u32_e32 v3, vcc, v3, v9, vcc
	v_lshlrev_b64 v[8:9], 1, v[10:11]
	v_add_co_u32_e32 v8, vcc, v16, v8
	v_addc_co_u32_e32 v9, vcc, v3, v9, vcc
	v_lshlrev_b64 v[4:5], 2, v[4:5]
	global_store_short v[8:9], v15, off
	v_or_b32_e32 v15, 1, v4
	v_mul_lo_u32 v16, s9, v15
	v_mul_lo_u32 v17, s8, v5
	v_mad_u64_u32 v[8:9], s[0:1], s8, v15, v[0:1]
	v_add3_u32 v9, v16, v9, v17
	v_or_b32_e32 v3, s55, v9
	v_cmp_ne_u64_e32 vcc, 0, v[2:3]
                                        ; implicit-def: $vgpr10_vgpr11
	s_and_saveexec_b64 s[0:1], vcc
	s_xor_b64 s[64:65], exec, s[0:1]
	s_cbranch_execz .LBB47_52
; %bb.51:                               ;   in Loop: Header=BB47_3 Depth=1
	s_ashr_i32 s66, s55, 31
	s_add_u32 s0, s54, s66
	s_mov_b32 s67, s66
	s_addc_u32 s1, s55, s66
	s_xor_b64 s[68:69], s[0:1], s[66:67]
	v_cvt_f32_u32_e32 v3, s68
	v_cvt_f32_u32_e32 v10, s69
	s_sub_u32 s0, 0, s68
	s_subb_u32 s1, 0, s69
	v_mac_f32_e32 v3, 0x4f800000, v10
	v_rcp_f32_e32 v3, v3
	v_mul_f32_e32 v3, 0x5f7ffffc, v3
	v_mul_f32_e32 v10, 0x2f800000, v3
	v_trunc_f32_e32 v10, v10
	v_mac_f32_e32 v3, 0xcf800000, v10
	v_cvt_u32_f32_e32 v10, v10
	v_cvt_u32_f32_e32 v3, v3
	v_mul_lo_u32 v11, s0, v10
	v_mul_hi_u32 v19, s0, v3
	v_mul_lo_u32 v18, s1, v3
	v_add_u32_e32 v11, v19, v11
	v_mul_lo_u32 v26, s0, v3
	v_add_u32_e32 v11, v11, v18
	v_mul_lo_u32 v19, v3, v11
	v_mul_hi_u32 v27, v3, v26
	v_mul_hi_u32 v18, v3, v11
	v_add_co_u32_e32 v19, vcc, v27, v19
	v_addc_co_u32_e32 v18, vcc, 0, v18, vcc
	v_mul_hi_u32 v28, v10, v26
	v_mul_lo_u32 v26, v10, v26
	v_add_co_u32_e32 v19, vcc, v19, v26
	v_mul_hi_u32 v27, v10, v11
	v_addc_co_u32_e32 v18, vcc, v18, v28, vcc
	v_addc_co_u32_e32 v19, vcc, 0, v27, vcc
	v_mul_lo_u32 v11, v10, v11
	v_add_co_u32_e32 v11, vcc, v18, v11
	v_addc_co_u32_e32 v18, vcc, 0, v19, vcc
	v_add_co_u32_e32 v3, vcc, v3, v11
	v_addc_co_u32_e32 v10, vcc, v10, v18, vcc
	v_mul_lo_u32 v11, s0, v10
	v_mul_hi_u32 v18, s0, v3
	v_add_u32_e32 v11, v18, v11
	v_mul_lo_u32 v18, s1, v3
	v_add_u32_e32 v11, v11, v18
	v_mul_lo_u32 v19, s0, v3
	v_mul_hi_u32 v26, v10, v19
	v_mul_lo_u32 v27, v10, v19
	v_mul_lo_u32 v29, v3, v11
	v_mul_hi_u32 v19, v3, v19
	v_mul_hi_u32 v28, v3, v11
	v_add_co_u32_e32 v19, vcc, v19, v29
	v_addc_co_u32_e32 v28, vcc, 0, v28, vcc
	v_add_co_u32_e32 v19, vcc, v19, v27
	v_mul_hi_u32 v18, v10, v11
	v_addc_co_u32_e32 v19, vcc, v28, v26, vcc
	v_addc_co_u32_e32 v18, vcc, 0, v18, vcc
	v_mul_lo_u32 v11, v10, v11
	v_add_co_u32_e32 v11, vcc, v19, v11
	v_addc_co_u32_e32 v18, vcc, 0, v18, vcc
	v_add_co_u32_e32 v3, vcc, v3, v11
	v_addc_co_u32_e32 v10, vcc, v10, v18, vcc
	v_ashrrev_i32_e32 v18, 31, v9
	v_add_co_u32_e32 v8, vcc, v8, v18
	v_addc_co_u32_e32 v9, vcc, v9, v18, vcc
	v_xor_b32_e32 v26, v8, v18
	v_xor_b32_e32 v19, v9, v18
	v_mad_u64_u32 v[8:9], s[0:1], v26, v10, 0
	v_mul_hi_u32 v11, v26, v3
	v_add_co_u32_e32 v27, vcc, v11, v8
	v_addc_co_u32_e32 v28, vcc, 0, v9, vcc
	v_mad_u64_u32 v[8:9], s[0:1], v19, v10, 0
	v_mad_u64_u32 v[10:11], s[0:1], v19, v3, 0
	v_add_co_u32_e32 v3, vcc, v27, v10
	v_addc_co_u32_e32 v3, vcc, v28, v11, vcc
	v_addc_co_u32_e32 v9, vcc, 0, v9, vcc
	v_add_co_u32_e32 v3, vcc, v3, v8
	v_addc_co_u32_e32 v10, vcc, 0, v9, vcc
	v_mul_lo_u32 v11, s69, v3
	v_mul_lo_u32 v27, s68, v10
	v_mad_u64_u32 v[8:9], s[0:1], s68, v3, 0
	v_add3_u32 v9, v9, v27, v11
	v_sub_u32_e32 v11, v19, v9
	v_mov_b32_e32 v27, s69
	v_sub_co_u32_e32 v8, vcc, v26, v8
	v_subb_co_u32_e64 v11, s[0:1], v11, v27, vcc
	v_subrev_co_u32_e64 v26, s[0:1], s68, v8
	v_subbrev_co_u32_e64 v11, s[0:1], 0, v11, s[0:1]
	v_cmp_le_u32_e64 s[0:1], s69, v11
	v_cndmask_b32_e64 v27, 0, -1, s[0:1]
	v_cmp_le_u32_e64 s[0:1], s68, v26
	v_cndmask_b32_e64 v26, 0, -1, s[0:1]
	v_cmp_eq_u32_e64 s[0:1], s69, v11
	v_cndmask_b32_e64 v11, v27, v26, s[0:1]
	v_add_co_u32_e64 v26, s[0:1], 2, v3
	v_subb_co_u32_e32 v9, vcc, v19, v9, vcc
	v_addc_co_u32_e64 v27, s[0:1], 0, v10, s[0:1]
	v_cmp_le_u32_e32 vcc, s69, v9
	v_add_co_u32_e64 v28, s[0:1], 1, v3
	v_cndmask_b32_e64 v19, 0, -1, vcc
	v_cmp_le_u32_e32 vcc, s68, v8
	v_addc_co_u32_e64 v29, s[0:1], 0, v10, s[0:1]
	v_cndmask_b32_e64 v8, 0, -1, vcc
	v_cmp_eq_u32_e32 vcc, s69, v9
	v_cmp_ne_u32_e64 s[0:1], 0, v11
	v_cndmask_b32_e32 v8, v19, v8, vcc
	v_cmp_ne_u32_e32 vcc, 0, v8
	v_cndmask_b32_e64 v9, v28, v26, s[0:1]
	v_cndmask_b32_e64 v11, v29, v27, s[0:1]
	v_cndmask_b32_e32 v3, v3, v9, vcc
	v_xor_b32_e32 v9, s66, v18
	v_cndmask_b32_e32 v8, v10, v11, vcc
	v_xor_b32_e32 v3, v3, v9
	v_xor_b32_e32 v8, v8, v9
	v_sub_co_u32_e32 v10, vcc, v3, v9
	v_subb_co_u32_e32 v11, vcc, v8, v9, vcc
                                        ; implicit-def: $vgpr8_vgpr9
.LBB47_52:                              ;   in Loop: Header=BB47_3 Depth=1
	s_andn2_saveexec_b64 s[0:1], s[64:65]
	s_cbranch_execz .LBB47_54
; %bb.53:                               ;   in Loop: Header=BB47_3 Depth=1
	v_rcp_iflag_f32_e32 v3, v6
	s_sub_i32 s64, 0, s54
	v_mov_b32_e32 v11, v2
	v_mul_f32_e32 v3, 0x4f7ffffe, v3
	v_cvt_u32_f32_e32 v3, v3
	v_mul_lo_u32 v9, s64, v3
	v_mul_hi_u32 v9, v3, v9
	v_add_u32_e32 v3, v3, v9
	v_mul_hi_u32 v3, v8, v3
	v_mul_lo_u32 v9, v3, s54
	v_sub_u32_e32 v8, v8, v9
	v_add_u32_e32 v10, 1, v3
	v_subrev_u32_e32 v9, s54, v8
	v_cmp_le_u32_e32 vcc, s54, v8
	v_cndmask_b32_e32 v8, v8, v9, vcc
	v_cndmask_b32_e32 v3, v3, v10, vcc
	v_add_u32_e32 v9, 1, v3
	v_cmp_le_u32_e32 vcc, s54, v8
	v_cndmask_b32_e32 v10, v3, v9, vcc
.LBB47_54:                              ;   in Loop: Header=BB47_3 Depth=1
	s_or_b64 exec, exec, s[0:1]
	v_mad_u64_u32 v[8:9], s[0:1], s8, v15, 0
	v_add3_u32 v3, v9, v17, v16
	v_bfe_u32 v9, v14, 16, 1
	v_add3_u32 v9, v14, v9, s86
	v_lshrrev_b32_e32 v9, 16, v9
	v_cmp_o_f32_e32 vcc, v14, v14
	v_cndmask_b32_e32 v16, v25, v9, vcc
	v_mul_lo_u32 v9, v11, s54
	v_mul_lo_u32 v17, v10, s55
	v_mad_u64_u32 v[14:15], s[0:1], v10, s54, 0
	v_add3_u32 v9, v15, v17, v9
	v_sub_co_u32_e32 v8, vcc, v8, v14
	v_subb_co_u32_e32 v3, vcc, v3, v9, vcc
	v_add_co_u32_e32 v8, vcc, v0, v8
	v_addc_co_u32_e32 v3, vcc, v1, v3, vcc
	v_mul_lo_u32 v3, v3, s6
	v_mul_lo_u32 v14, v8, s7
	v_mad_u64_u32 v[8:9], s[0:1], v8, s6, 0
	v_add3_u32 v9, v9, v14, v3
	v_mul_lo_u32 v3, v11, s4
	v_mul_lo_u32 v14, v10, s5
	v_mad_u64_u32 v[10:11], s[0:1], v10, s4, 0
	v_add3_u32 v11, v11, v14, v3
	v_lshlrev_b64 v[10:11], 1, v[10:11]
	v_mov_b32_e32 v3, s53
	v_add_co_u32_e32 v10, vcc, s52, v10
	v_addc_co_u32_e32 v3, vcc, v3, v11, vcc
	v_lshlrev_b64 v[8:9], 1, v[8:9]
	v_add_co_u32_e32 v8, vcc, v10, v8
	v_addc_co_u32_e32 v9, vcc, v3, v9, vcc
	v_add_co_u32_e32 v14, vcc, 2, v4
	v_addc_co_u32_e32 v3, vcc, 0, v5, vcc
	global_store_short v[8:9], v16, off
	v_mul_lo_u32 v15, s9, v14
	v_mul_lo_u32 v16, s8, v3
	v_mad_u64_u32 v[8:9], s[0:1], s8, v14, v[0:1]
	v_add3_u32 v9, v15, v9, v16
	v_or_b32_e32 v3, s55, v9
	v_cmp_ne_u64_e32 vcc, 0, v[2:3]
                                        ; implicit-def: $vgpr10_vgpr11
	s_and_saveexec_b64 s[0:1], vcc
	s_xor_b64 s[64:65], exec, s[0:1]
	s_cbranch_execz .LBB47_56
; %bb.55:                               ;   in Loop: Header=BB47_3 Depth=1
	s_ashr_i32 s66, s55, 31
	s_add_u32 s0, s54, s66
	s_mov_b32 s67, s66
	s_addc_u32 s1, s55, s66
	s_xor_b64 s[68:69], s[0:1], s[66:67]
	v_cvt_f32_u32_e32 v3, s68
	v_cvt_f32_u32_e32 v10, s69
	s_sub_u32 s0, 0, s68
	s_subb_u32 s1, 0, s69
	v_mac_f32_e32 v3, 0x4f800000, v10
	v_rcp_f32_e32 v3, v3
	v_mul_f32_e32 v3, 0x5f7ffffc, v3
	v_mul_f32_e32 v10, 0x2f800000, v3
	v_trunc_f32_e32 v10, v10
	v_mac_f32_e32 v3, 0xcf800000, v10
	v_cvt_u32_f32_e32 v10, v10
	v_cvt_u32_f32_e32 v3, v3
	v_mul_lo_u32 v11, s0, v10
	v_mul_hi_u32 v18, s0, v3
	v_mul_lo_u32 v17, s1, v3
	v_add_u32_e32 v11, v18, v11
	v_mul_lo_u32 v19, s0, v3
	v_add_u32_e32 v11, v11, v17
	v_mul_lo_u32 v18, v3, v11
	v_mul_hi_u32 v26, v3, v19
	v_mul_hi_u32 v17, v3, v11
	v_add_co_u32_e32 v18, vcc, v26, v18
	v_addc_co_u32_e32 v17, vcc, 0, v17, vcc
	v_mul_hi_u32 v27, v10, v19
	v_mul_lo_u32 v19, v10, v19
	v_add_co_u32_e32 v18, vcc, v18, v19
	v_mul_hi_u32 v26, v10, v11
	v_addc_co_u32_e32 v17, vcc, v17, v27, vcc
	v_addc_co_u32_e32 v18, vcc, 0, v26, vcc
	v_mul_lo_u32 v11, v10, v11
	v_add_co_u32_e32 v11, vcc, v17, v11
	v_addc_co_u32_e32 v17, vcc, 0, v18, vcc
	v_add_co_u32_e32 v3, vcc, v3, v11
	v_addc_co_u32_e32 v10, vcc, v10, v17, vcc
	v_mul_lo_u32 v11, s0, v10
	v_mul_hi_u32 v17, s0, v3
	v_add_u32_e32 v11, v17, v11
	v_mul_lo_u32 v17, s1, v3
	v_add_u32_e32 v11, v11, v17
	v_mul_lo_u32 v18, s0, v3
	v_mul_hi_u32 v19, v10, v18
	v_mul_lo_u32 v26, v10, v18
	v_mul_lo_u32 v28, v3, v11
	v_mul_hi_u32 v18, v3, v18
	v_mul_hi_u32 v27, v3, v11
	v_add_co_u32_e32 v18, vcc, v18, v28
	v_addc_co_u32_e32 v27, vcc, 0, v27, vcc
	v_add_co_u32_e32 v18, vcc, v18, v26
	v_mul_hi_u32 v17, v10, v11
	v_addc_co_u32_e32 v18, vcc, v27, v19, vcc
	v_addc_co_u32_e32 v17, vcc, 0, v17, vcc
	v_mul_lo_u32 v11, v10, v11
	v_add_co_u32_e32 v11, vcc, v18, v11
	v_addc_co_u32_e32 v17, vcc, 0, v17, vcc
	v_add_co_u32_e32 v3, vcc, v3, v11
	v_addc_co_u32_e32 v10, vcc, v10, v17, vcc
	v_ashrrev_i32_e32 v17, 31, v9
	v_add_co_u32_e32 v8, vcc, v8, v17
	v_addc_co_u32_e32 v9, vcc, v9, v17, vcc
	v_xor_b32_e32 v19, v8, v17
	v_xor_b32_e32 v18, v9, v17
	v_mad_u64_u32 v[8:9], s[0:1], v19, v10, 0
	v_mul_hi_u32 v11, v19, v3
	v_add_co_u32_e32 v26, vcc, v11, v8
	v_addc_co_u32_e32 v27, vcc, 0, v9, vcc
	v_mad_u64_u32 v[8:9], s[0:1], v18, v10, 0
	v_mad_u64_u32 v[10:11], s[0:1], v18, v3, 0
	v_add_co_u32_e32 v3, vcc, v26, v10
	v_addc_co_u32_e32 v3, vcc, v27, v11, vcc
	v_addc_co_u32_e32 v9, vcc, 0, v9, vcc
	v_add_co_u32_e32 v3, vcc, v3, v8
	v_addc_co_u32_e32 v10, vcc, 0, v9, vcc
	v_mul_lo_u32 v11, s69, v3
	v_mul_lo_u32 v26, s68, v10
	v_mad_u64_u32 v[8:9], s[0:1], s68, v3, 0
	v_add3_u32 v9, v9, v26, v11
	v_sub_u32_e32 v11, v18, v9
	v_mov_b32_e32 v26, s69
	v_sub_co_u32_e32 v8, vcc, v19, v8
	v_subb_co_u32_e64 v11, s[0:1], v11, v26, vcc
	v_subrev_co_u32_e64 v19, s[0:1], s68, v8
	v_subbrev_co_u32_e64 v11, s[0:1], 0, v11, s[0:1]
	v_cmp_le_u32_e64 s[0:1], s69, v11
	v_cndmask_b32_e64 v26, 0, -1, s[0:1]
	v_cmp_le_u32_e64 s[0:1], s68, v19
	v_cndmask_b32_e64 v19, 0, -1, s[0:1]
	v_cmp_eq_u32_e64 s[0:1], s69, v11
	v_cndmask_b32_e64 v11, v26, v19, s[0:1]
	v_add_co_u32_e64 v19, s[0:1], 2, v3
	v_subb_co_u32_e32 v9, vcc, v18, v9, vcc
	v_addc_co_u32_e64 v26, s[0:1], 0, v10, s[0:1]
	v_cmp_le_u32_e32 vcc, s69, v9
	v_add_co_u32_e64 v27, s[0:1], 1, v3
	v_cndmask_b32_e64 v18, 0, -1, vcc
	v_cmp_le_u32_e32 vcc, s68, v8
	v_addc_co_u32_e64 v28, s[0:1], 0, v10, s[0:1]
	v_cndmask_b32_e64 v8, 0, -1, vcc
	v_cmp_eq_u32_e32 vcc, s69, v9
	v_cmp_ne_u32_e64 s[0:1], 0, v11
	v_cndmask_b32_e32 v8, v18, v8, vcc
	v_cmp_ne_u32_e32 vcc, 0, v8
	v_cndmask_b32_e64 v9, v27, v19, s[0:1]
	v_cndmask_b32_e64 v11, v28, v26, s[0:1]
	v_cndmask_b32_e32 v3, v3, v9, vcc
	v_xor_b32_e32 v9, s66, v17
	v_cndmask_b32_e32 v8, v10, v11, vcc
	v_xor_b32_e32 v3, v3, v9
	v_xor_b32_e32 v8, v8, v9
	v_sub_co_u32_e32 v10, vcc, v3, v9
	v_subb_co_u32_e32 v11, vcc, v8, v9, vcc
                                        ; implicit-def: $vgpr8_vgpr9
.LBB47_56:                              ;   in Loop: Header=BB47_3 Depth=1
	s_andn2_saveexec_b64 s[0:1], s[64:65]
	s_cbranch_execz .LBB47_58
; %bb.57:                               ;   in Loop: Header=BB47_3 Depth=1
	v_rcp_iflag_f32_e32 v3, v6
	s_sub_i32 s64, 0, s54
	v_mov_b32_e32 v11, v2
	v_mul_f32_e32 v3, 0x4f7ffffe, v3
	v_cvt_u32_f32_e32 v3, v3
	v_mul_lo_u32 v9, s64, v3
	v_mul_hi_u32 v9, v3, v9
	v_add_u32_e32 v3, v3, v9
	v_mul_hi_u32 v3, v8, v3
	v_mul_lo_u32 v9, v3, s54
	v_sub_u32_e32 v8, v8, v9
	v_add_u32_e32 v10, 1, v3
	v_subrev_u32_e32 v9, s54, v8
	v_cmp_le_u32_e32 vcc, s54, v8
	v_cndmask_b32_e32 v8, v8, v9, vcc
	v_cndmask_b32_e32 v3, v3, v10, vcc
	v_add_u32_e32 v9, 1, v3
	v_cmp_le_u32_e32 vcc, s54, v8
	v_cndmask_b32_e32 v10, v3, v9, vcc
.LBB47_58:                              ;   in Loop: Header=BB47_3 Depth=1
	s_or_b64 exec, exec, s[0:1]
	v_mad_u64_u32 v[8:9], s[0:1], s8, v14, 0
	v_add3_u32 v3, v9, v16, v15
	v_bfe_u32 v9, v13, 16, 1
	v_add3_u32 v9, v13, v9, s86
	v_lshrrev_b32_e32 v9, 16, v9
	v_cmp_o_f32_e32 vcc, v13, v13
	v_cndmask_b32_e32 v13, v25, v9, vcc
	v_mul_lo_u32 v9, v11, s54
	v_mul_lo_u32 v16, v10, s55
	v_mad_u64_u32 v[14:15], s[0:1], v10, s54, 0
	v_add3_u32 v9, v15, v16, v9
	v_sub_co_u32_e32 v8, vcc, v8, v14
	v_subb_co_u32_e32 v3, vcc, v3, v9, vcc
	v_add_co_u32_e32 v8, vcc, v0, v8
	v_addc_co_u32_e32 v3, vcc, v1, v3, vcc
	v_mul_lo_u32 v3, v3, s6
	v_mul_lo_u32 v14, v8, s7
	v_mad_u64_u32 v[8:9], s[0:1], v8, s6, 0
	v_add3_u32 v9, v9, v14, v3
	v_mul_lo_u32 v3, v11, s4
	v_mul_lo_u32 v14, v10, s5
	v_mad_u64_u32 v[10:11], s[0:1], v10, s4, 0
	v_add3_u32 v11, v11, v14, v3
	v_lshlrev_b64 v[10:11], 1, v[10:11]
	v_mov_b32_e32 v3, s53
	v_add_co_u32_e32 v10, vcc, s52, v10
	v_addc_co_u32_e32 v3, vcc, v3, v11, vcc
	v_lshlrev_b64 v[8:9], 1, v[8:9]
	v_add_co_u32_e32 v8, vcc, v10, v8
	v_addc_co_u32_e32 v9, vcc, v3, v9, vcc
	global_store_short v[8:9], v13, off
	v_add_co_u32_e32 v13, vcc, 3, v4
	v_addc_co_u32_e32 v3, vcc, 0, v5, vcc
	v_mul_lo_u32 v14, s9, v13
	v_mul_lo_u32 v15, s8, v3
	v_mad_u64_u32 v[8:9], s[0:1], s8, v13, v[0:1]
	v_add3_u32 v9, v14, v9, v15
	v_or_b32_e32 v3, s55, v9
	v_cmp_ne_u64_e32 vcc, 0, v[2:3]
                                        ; implicit-def: $vgpr10_vgpr11
	s_and_saveexec_b64 s[0:1], vcc
	s_xor_b64 s[64:65], exec, s[0:1]
	s_cbranch_execz .LBB47_60
; %bb.59:                               ;   in Loop: Header=BB47_3 Depth=1
	s_ashr_i32 s66, s55, 31
	s_add_u32 s0, s54, s66
	s_mov_b32 s67, s66
	s_addc_u32 s1, s55, s66
	s_xor_b64 s[68:69], s[0:1], s[66:67]
	v_cvt_f32_u32_e32 v3, s68
	v_cvt_f32_u32_e32 v10, s69
	s_sub_u32 s0, 0, s68
	s_subb_u32 s1, 0, s69
	v_mac_f32_e32 v3, 0x4f800000, v10
	v_rcp_f32_e32 v3, v3
	v_mul_f32_e32 v3, 0x5f7ffffc, v3
	v_mul_f32_e32 v10, 0x2f800000, v3
	v_trunc_f32_e32 v10, v10
	v_mac_f32_e32 v3, 0xcf800000, v10
	v_cvt_u32_f32_e32 v10, v10
	v_cvt_u32_f32_e32 v3, v3
	v_mul_lo_u32 v11, s0, v10
	v_mul_hi_u32 v17, s0, v3
	v_mul_lo_u32 v16, s1, v3
	v_add_u32_e32 v11, v17, v11
	v_mul_lo_u32 v18, s0, v3
	v_add_u32_e32 v11, v11, v16
	v_mul_lo_u32 v17, v3, v11
	v_mul_hi_u32 v19, v3, v18
	v_mul_hi_u32 v16, v3, v11
	v_add_co_u32_e32 v17, vcc, v19, v17
	v_addc_co_u32_e32 v16, vcc, 0, v16, vcc
	v_mul_hi_u32 v26, v10, v18
	v_mul_lo_u32 v18, v10, v18
	v_add_co_u32_e32 v17, vcc, v17, v18
	v_mul_hi_u32 v19, v10, v11
	v_addc_co_u32_e32 v16, vcc, v16, v26, vcc
	v_addc_co_u32_e32 v17, vcc, 0, v19, vcc
	v_mul_lo_u32 v11, v10, v11
	v_add_co_u32_e32 v11, vcc, v16, v11
	v_addc_co_u32_e32 v16, vcc, 0, v17, vcc
	v_add_co_u32_e32 v3, vcc, v3, v11
	v_addc_co_u32_e32 v10, vcc, v10, v16, vcc
	v_mul_lo_u32 v11, s0, v10
	v_mul_hi_u32 v16, s0, v3
	v_add_u32_e32 v11, v16, v11
	v_mul_lo_u32 v16, s1, v3
	v_add_u32_e32 v11, v11, v16
	v_mul_lo_u32 v17, s0, v3
	v_mul_hi_u32 v18, v10, v17
	v_mul_lo_u32 v19, v10, v17
	v_mul_lo_u32 v27, v3, v11
	v_mul_hi_u32 v17, v3, v17
	v_mul_hi_u32 v26, v3, v11
	v_add_co_u32_e32 v17, vcc, v17, v27
	v_addc_co_u32_e32 v26, vcc, 0, v26, vcc
	v_add_co_u32_e32 v17, vcc, v17, v19
	v_mul_hi_u32 v16, v10, v11
	v_addc_co_u32_e32 v17, vcc, v26, v18, vcc
	v_addc_co_u32_e32 v16, vcc, 0, v16, vcc
	v_mul_lo_u32 v11, v10, v11
	v_add_co_u32_e32 v11, vcc, v17, v11
	v_addc_co_u32_e32 v16, vcc, 0, v16, vcc
	v_add_co_u32_e32 v3, vcc, v3, v11
	v_addc_co_u32_e32 v10, vcc, v10, v16, vcc
	v_ashrrev_i32_e32 v16, 31, v9
	v_add_co_u32_e32 v8, vcc, v8, v16
	v_addc_co_u32_e32 v9, vcc, v9, v16, vcc
	v_xor_b32_e32 v18, v8, v16
	v_xor_b32_e32 v17, v9, v16
	v_mad_u64_u32 v[8:9], s[0:1], v18, v10, 0
	v_mul_hi_u32 v11, v18, v3
	v_add_co_u32_e32 v19, vcc, v11, v8
	v_addc_co_u32_e32 v26, vcc, 0, v9, vcc
	v_mad_u64_u32 v[8:9], s[0:1], v17, v10, 0
	v_mad_u64_u32 v[10:11], s[0:1], v17, v3, 0
	v_add_co_u32_e32 v3, vcc, v19, v10
	v_addc_co_u32_e32 v3, vcc, v26, v11, vcc
	v_addc_co_u32_e32 v9, vcc, 0, v9, vcc
	v_add_co_u32_e32 v3, vcc, v3, v8
	v_addc_co_u32_e32 v10, vcc, 0, v9, vcc
	v_mul_lo_u32 v11, s69, v3
	v_mul_lo_u32 v19, s68, v10
	v_mad_u64_u32 v[8:9], s[0:1], s68, v3, 0
	v_add3_u32 v9, v9, v19, v11
	v_sub_u32_e32 v11, v17, v9
	v_mov_b32_e32 v19, s69
	v_sub_co_u32_e32 v8, vcc, v18, v8
	v_subb_co_u32_e64 v11, s[0:1], v11, v19, vcc
	v_subrev_co_u32_e64 v18, s[0:1], s68, v8
	v_subbrev_co_u32_e64 v11, s[0:1], 0, v11, s[0:1]
	v_cmp_le_u32_e64 s[0:1], s69, v11
	v_cndmask_b32_e64 v19, 0, -1, s[0:1]
	v_cmp_le_u32_e64 s[0:1], s68, v18
	v_cndmask_b32_e64 v18, 0, -1, s[0:1]
	v_cmp_eq_u32_e64 s[0:1], s69, v11
	v_cndmask_b32_e64 v11, v19, v18, s[0:1]
	v_add_co_u32_e64 v18, s[0:1], 2, v3
	v_subb_co_u32_e32 v9, vcc, v17, v9, vcc
	v_addc_co_u32_e64 v19, s[0:1], 0, v10, s[0:1]
	v_cmp_le_u32_e32 vcc, s69, v9
	v_add_co_u32_e64 v26, s[0:1], 1, v3
	v_cndmask_b32_e64 v17, 0, -1, vcc
	v_cmp_le_u32_e32 vcc, s68, v8
	v_addc_co_u32_e64 v27, s[0:1], 0, v10, s[0:1]
	v_cndmask_b32_e64 v8, 0, -1, vcc
	v_cmp_eq_u32_e32 vcc, s69, v9
	v_cmp_ne_u32_e64 s[0:1], 0, v11
	v_cndmask_b32_e32 v8, v17, v8, vcc
	v_cmp_ne_u32_e32 vcc, 0, v8
	v_cndmask_b32_e64 v9, v26, v18, s[0:1]
	v_cndmask_b32_e64 v11, v27, v19, s[0:1]
	v_cndmask_b32_e32 v3, v3, v9, vcc
	v_xor_b32_e32 v9, s66, v16
	v_cndmask_b32_e32 v8, v10, v11, vcc
	v_xor_b32_e32 v3, v3, v9
	v_xor_b32_e32 v8, v8, v9
	v_sub_co_u32_e32 v10, vcc, v3, v9
	v_subb_co_u32_e32 v11, vcc, v8, v9, vcc
                                        ; implicit-def: $vgpr8_vgpr9
.LBB47_60:                              ;   in Loop: Header=BB47_3 Depth=1
	s_andn2_saveexec_b64 s[0:1], s[64:65]
	s_cbranch_execz .LBB47_62
; %bb.61:                               ;   in Loop: Header=BB47_3 Depth=1
	v_rcp_iflag_f32_e32 v3, v6
	s_sub_i32 s64, 0, s54
	v_mov_b32_e32 v11, v2
	v_mul_f32_e32 v3, 0x4f7ffffe, v3
	v_cvt_u32_f32_e32 v3, v3
	v_mul_lo_u32 v9, s64, v3
	v_mul_hi_u32 v9, v3, v9
	v_add_u32_e32 v3, v3, v9
	v_mul_hi_u32 v3, v8, v3
	v_mul_lo_u32 v9, v3, s54
	v_sub_u32_e32 v8, v8, v9
	v_add_u32_e32 v10, 1, v3
	v_subrev_u32_e32 v9, s54, v8
	v_cmp_le_u32_e32 vcc, s54, v8
	v_cndmask_b32_e32 v8, v8, v9, vcc
	v_cndmask_b32_e32 v3, v3, v10, vcc
	v_add_u32_e32 v9, 1, v3
	v_cmp_le_u32_e32 vcc, s54, v8
	v_cndmask_b32_e32 v10, v3, v9, vcc
.LBB47_62:                              ;   in Loop: Header=BB47_3 Depth=1
	s_or_b64 exec, exec, s[0:1]
	v_mad_u64_u32 v[8:9], s[0:1], s8, v13, 0
	v_add3_u32 v3, v9, v15, v14
	v_mul_lo_u32 v9, v11, s54
	v_mul_lo_u32 v13, v10, s55
	v_mad_u64_u32 v[14:15], s[0:1], v10, s54, 0
	v_add3_u32 v9, v15, v13, v9
	v_sub_co_u32_e32 v8, vcc, v8, v14
	v_subb_co_u32_e32 v3, vcc, v3, v9, vcc
	v_add_co_u32_e32 v8, vcc, v0, v8
	v_addc_co_u32_e32 v3, vcc, v1, v3, vcc
	v_mul_lo_u32 v3, v3, s6
	v_mul_lo_u32 v13, v8, s7
	v_mad_u64_u32 v[8:9], s[0:1], v8, s6, 0
	v_add3_u32 v9, v9, v13, v3
	v_mul_lo_u32 v3, v11, s4
	v_mul_lo_u32 v13, v10, s5
	v_mad_u64_u32 v[10:11], s[0:1], v10, s4, 0
	v_add3_u32 v11, v11, v13, v3
	v_lshlrev_b64 v[10:11], 1, v[10:11]
	v_mov_b32_e32 v3, s53
	v_add_co_u32_e32 v10, vcc, s52, v10
	v_addc_co_u32_e32 v3, vcc, v3, v11, vcc
	v_lshlrev_b64 v[8:9], 1, v[8:9]
	v_add_co_u32_e32 v8, vcc, v10, v8
	v_addc_co_u32_e32 v9, vcc, v3, v9, vcc
	v_add_co_u32_e32 v10, vcc, 4, v4
	v_addc_co_u32_e32 v3, vcc, 0, v5, vcc
	global_store_short v[8:9], v12, off
	v_mul_lo_u32 v11, s9, v10
	v_mul_lo_u32 v12, s8, v3
	v_mad_u64_u32 v[4:5], s[0:1], s8, v10, v[0:1]
	v_add3_u32 v5, v11, v5, v12
	v_or_b32_e32 v3, s55, v5
	v_cmp_ne_u64_e32 vcc, 0, v[2:3]
                                        ; implicit-def: $vgpr8_vgpr9
	s_and_saveexec_b64 s[0:1], vcc
	s_xor_b64 s[64:65], exec, s[0:1]
	s_cbranch_execz .LBB47_64
; %bb.63:                               ;   in Loop: Header=BB47_3 Depth=1
	s_ashr_i32 s66, s55, 31
	s_add_u32 s0, s54, s66
	s_mov_b32 s67, s66
	s_addc_u32 s1, s55, s66
	s_xor_b64 s[68:69], s[0:1], s[66:67]
	v_cvt_f32_u32_e32 v3, s68
	v_cvt_f32_u32_e32 v6, s69
	s_sub_u32 s0, 0, s68
	s_subb_u32 s1, 0, s69
	v_mac_f32_e32 v3, 0x4f800000, v6
	v_rcp_f32_e32 v3, v3
	v_mul_f32_e32 v3, 0x5f7ffffc, v3
	v_mul_f32_e32 v6, 0x2f800000, v3
	v_trunc_f32_e32 v6, v6
	v_mac_f32_e32 v3, 0xcf800000, v6
	v_cvt_u32_f32_e32 v6, v6
	v_cvt_u32_f32_e32 v3, v3
	v_mul_lo_u32 v8, s0, v6
	v_mul_hi_u32 v13, s0, v3
	v_mul_lo_u32 v9, s1, v3
	v_add_u32_e32 v8, v13, v8
	v_mul_lo_u32 v14, s0, v3
	v_add_u32_e32 v8, v8, v9
	v_mul_lo_u32 v13, v3, v8
	v_mul_hi_u32 v15, v3, v14
	v_mul_hi_u32 v9, v3, v8
	v_add_co_u32_e32 v13, vcc, v15, v13
	v_addc_co_u32_e32 v9, vcc, 0, v9, vcc
	v_mul_hi_u32 v16, v6, v14
	v_mul_lo_u32 v14, v6, v14
	v_add_co_u32_e32 v13, vcc, v13, v14
	v_mul_hi_u32 v15, v6, v8
	v_addc_co_u32_e32 v9, vcc, v9, v16, vcc
	v_addc_co_u32_e32 v13, vcc, 0, v15, vcc
	v_mul_lo_u32 v8, v6, v8
	v_add_co_u32_e32 v8, vcc, v9, v8
	v_addc_co_u32_e32 v9, vcc, 0, v13, vcc
	v_add_co_u32_e32 v3, vcc, v3, v8
	v_addc_co_u32_e32 v6, vcc, v6, v9, vcc
	v_mul_lo_u32 v8, s0, v6
	v_mul_hi_u32 v9, s0, v3
	v_add_u32_e32 v8, v9, v8
	v_mul_lo_u32 v9, s1, v3
	v_add_u32_e32 v8, v8, v9
	v_mul_lo_u32 v13, s0, v3
	v_mul_hi_u32 v14, v6, v13
	v_mul_lo_u32 v15, v6, v13
	v_mul_lo_u32 v17, v3, v8
	v_mul_hi_u32 v13, v3, v13
	v_mul_hi_u32 v16, v3, v8
	v_add_co_u32_e32 v13, vcc, v13, v17
	v_addc_co_u32_e32 v16, vcc, 0, v16, vcc
	v_add_co_u32_e32 v13, vcc, v13, v15
	v_mul_hi_u32 v9, v6, v8
	v_addc_co_u32_e32 v13, vcc, v16, v14, vcc
	v_addc_co_u32_e32 v9, vcc, 0, v9, vcc
	v_mul_lo_u32 v8, v6, v8
	v_add_co_u32_e32 v8, vcc, v13, v8
	v_addc_co_u32_e32 v9, vcc, 0, v9, vcc
	v_add_co_u32_e32 v3, vcc, v3, v8
	v_addc_co_u32_e32 v6, vcc, v6, v9, vcc
	v_ashrrev_i32_e32 v13, 31, v5
	v_add_co_u32_e32 v4, vcc, v4, v13
	v_addc_co_u32_e32 v5, vcc, v5, v13, vcc
	v_xor_b32_e32 v15, v4, v13
	v_xor_b32_e32 v14, v5, v13
	v_mad_u64_u32 v[4:5], s[0:1], v15, v6, 0
	v_mul_hi_u32 v8, v15, v3
	v_add_co_u32_e32 v16, vcc, v8, v4
	v_addc_co_u32_e32 v17, vcc, 0, v5, vcc
	v_mad_u64_u32 v[8:9], s[0:1], v14, v3, 0
	v_add_co_u32_e32 v3, vcc, v16, v8
	v_mad_u64_u32 v[4:5], s[0:1], v14, v6, 0
	v_addc_co_u32_e32 v3, vcc, v17, v9, vcc
	v_addc_co_u32_e32 v5, vcc, 0, v5, vcc
	v_add_co_u32_e32 v3, vcc, v3, v4
	v_addc_co_u32_e32 v6, vcc, 0, v5, vcc
	v_mul_lo_u32 v8, s69, v3
	v_mul_lo_u32 v9, s68, v6
	v_mad_u64_u32 v[4:5], s[0:1], s68, v3, 0
	v_add3_u32 v5, v5, v9, v8
	v_sub_u32_e32 v8, v14, v5
	v_mov_b32_e32 v9, s69
	v_sub_co_u32_e32 v4, vcc, v15, v4
	v_subb_co_u32_e64 v8, s[0:1], v8, v9, vcc
	v_subrev_co_u32_e64 v9, s[0:1], s68, v4
	v_subbrev_co_u32_e64 v8, s[0:1], 0, v8, s[0:1]
	v_cmp_le_u32_e64 s[0:1], s69, v8
	v_cndmask_b32_e64 v15, 0, -1, s[0:1]
	v_cmp_le_u32_e64 s[0:1], s68, v9
	v_cndmask_b32_e64 v9, 0, -1, s[0:1]
	v_cmp_eq_u32_e64 s[0:1], s69, v8
	v_cndmask_b32_e64 v8, v15, v9, s[0:1]
	v_add_co_u32_e64 v9, s[0:1], 2, v3
	v_subb_co_u32_e32 v5, vcc, v14, v5, vcc
	v_addc_co_u32_e64 v15, s[0:1], 0, v6, s[0:1]
	v_cmp_le_u32_e32 vcc, s69, v5
	v_add_co_u32_e64 v16, s[0:1], 1, v3
	v_cndmask_b32_e64 v14, 0, -1, vcc
	v_cmp_le_u32_e32 vcc, s68, v4
	v_addc_co_u32_e64 v17, s[0:1], 0, v6, s[0:1]
	v_cndmask_b32_e64 v4, 0, -1, vcc
	v_cmp_eq_u32_e32 vcc, s69, v5
	v_cmp_ne_u32_e64 s[0:1], 0, v8
	v_cndmask_b32_e32 v4, v14, v4, vcc
	v_cmp_ne_u32_e32 vcc, 0, v4
	v_cndmask_b32_e64 v5, v16, v9, s[0:1]
	v_cndmask_b32_e64 v8, v17, v15, s[0:1]
	v_cndmask_b32_e32 v3, v3, v5, vcc
	v_xor_b32_e32 v5, s66, v13
	v_cndmask_b32_e32 v4, v6, v8, vcc
	v_xor_b32_e32 v3, v3, v5
	v_xor_b32_e32 v4, v4, v5
	v_sub_co_u32_e32 v8, vcc, v3, v5
	v_subb_co_u32_e32 v9, vcc, v4, v5, vcc
                                        ; implicit-def: $vgpr6
                                        ; implicit-def: $vgpr4_vgpr5
.LBB47_64:                              ;   in Loop: Header=BB47_3 Depth=1
	s_andn2_saveexec_b64 s[0:1], s[64:65]
	s_cbranch_execz .LBB47_2
; %bb.65:                               ;   in Loop: Header=BB47_3 Depth=1
	v_rcp_iflag_f32_e32 v3, v6
	s_sub_i32 s64, 0, s54
	v_mov_b32_e32 v9, v2
	v_mul_f32_e32 v3, 0x4f7ffffe, v3
	v_cvt_u32_f32_e32 v3, v3
	v_mul_lo_u32 v5, s64, v3
	v_mul_hi_u32 v5, v3, v5
	v_add_u32_e32 v3, v3, v5
	v_mul_hi_u32 v3, v4, v3
	v_mul_lo_u32 v5, v3, s54
	v_sub_u32_e32 v4, v4, v5
	v_add_u32_e32 v6, 1, v3
	v_subrev_u32_e32 v5, s54, v4
	v_cmp_le_u32_e32 vcc, s54, v4
	v_cndmask_b32_e32 v4, v4, v5, vcc
	v_cndmask_b32_e32 v3, v3, v6, vcc
	v_add_u32_e32 v5, 1, v3
	v_cmp_le_u32_e32 vcc, s54, v4
	v_cndmask_b32_e32 v8, v3, v5, vcc
	s_branch .LBB47_2
.LBB47_66:
	s_endpgm
	.section	.rodata,"a",@progbits
	.p2align	6, 0x0
	.amdhsa_kernel _ZN2at6native12_GLOBAL__N_16kernel16gru_cell_forwardIN3c108BFloat16EflLi2EEEvNS_4cuda6detail10TensorInfoIT_T1_EESB_SB_SB_SB_SB_SB_SA_SA_
		.amdhsa_group_segment_fixed_size 0
		.amdhsa_private_segment_fixed_size 0
		.amdhsa_kernarg_size 3184
		.amdhsa_user_sgpr_count 6
		.amdhsa_user_sgpr_private_segment_buffer 1
		.amdhsa_user_sgpr_dispatch_ptr 0
		.amdhsa_user_sgpr_queue_ptr 0
		.amdhsa_user_sgpr_kernarg_segment_ptr 1
		.amdhsa_user_sgpr_dispatch_id 0
		.amdhsa_user_sgpr_flat_scratch_init 0
		.amdhsa_user_sgpr_kernarg_preload_length 0
		.amdhsa_user_sgpr_kernarg_preload_offset 0
		.amdhsa_user_sgpr_private_segment_size 0
		.amdhsa_uses_dynamic_stack 0
		.amdhsa_system_sgpr_private_segment_wavefront_offset 0
		.amdhsa_system_sgpr_workgroup_id_x 1
		.amdhsa_system_sgpr_workgroup_id_y 0
		.amdhsa_system_sgpr_workgroup_id_z 0
		.amdhsa_system_sgpr_workgroup_info 0
		.amdhsa_system_vgpr_workitem_id 0
		.amdhsa_next_free_vgpr 40
		.amdhsa_next_free_sgpr 87
		.amdhsa_accum_offset 40
		.amdhsa_reserve_vcc 1
		.amdhsa_reserve_flat_scratch 0
		.amdhsa_float_round_mode_32 0
		.amdhsa_float_round_mode_16_64 0
		.amdhsa_float_denorm_mode_32 3
		.amdhsa_float_denorm_mode_16_64 3
		.amdhsa_dx10_clamp 1
		.amdhsa_ieee_mode 1
		.amdhsa_fp16_overflow 0
		.amdhsa_tg_split 0
		.amdhsa_exception_fp_ieee_invalid_op 0
		.amdhsa_exception_fp_denorm_src 0
		.amdhsa_exception_fp_ieee_div_zero 0
		.amdhsa_exception_fp_ieee_overflow 0
		.amdhsa_exception_fp_ieee_underflow 0
		.amdhsa_exception_fp_ieee_inexact 0
		.amdhsa_exception_int_div_zero 0
	.end_amdhsa_kernel
	.section	.text._ZN2at6native12_GLOBAL__N_16kernel16gru_cell_forwardIN3c108BFloat16EflLi2EEEvNS_4cuda6detail10TensorInfoIT_T1_EESB_SB_SB_SB_SB_SB_SA_SA_,"axG",@progbits,_ZN2at6native12_GLOBAL__N_16kernel16gru_cell_forwardIN3c108BFloat16EflLi2EEEvNS_4cuda6detail10TensorInfoIT_T1_EESB_SB_SB_SB_SB_SB_SA_SA_,comdat
.Lfunc_end47:
	.size	_ZN2at6native12_GLOBAL__N_16kernel16gru_cell_forwardIN3c108BFloat16EflLi2EEEvNS_4cuda6detail10TensorInfoIT_T1_EESB_SB_SB_SB_SB_SB_SA_SA_, .Lfunc_end47-_ZN2at6native12_GLOBAL__N_16kernel16gru_cell_forwardIN3c108BFloat16EflLi2EEEvNS_4cuda6detail10TensorInfoIT_T1_EESB_SB_SB_SB_SB_SB_SA_SA_
                                        ; -- End function
	.section	.AMDGPU.csdata,"",@progbits
; Kernel info:
; codeLenInByte = 15312
; NumSgprs: 91
; NumVgprs: 40
; NumAgprs: 0
; TotalNumVgprs: 40
; ScratchSize: 0
; MemoryBound: 0
; FloatMode: 240
; IeeeMode: 1
; LDSByteSize: 0 bytes/workgroup (compile time only)
; SGPRBlocks: 11
; VGPRBlocks: 4
; NumSGPRsForWavesPerEU: 91
; NumVGPRsForWavesPerEU: 40
; AccumOffset: 40
; Occupancy: 8
; WaveLimiterHint : 1
; COMPUTE_PGM_RSRC2:SCRATCH_EN: 0
; COMPUTE_PGM_RSRC2:USER_SGPR: 6
; COMPUTE_PGM_RSRC2:TRAP_HANDLER: 0
; COMPUTE_PGM_RSRC2:TGID_X_EN: 1
; COMPUTE_PGM_RSRC2:TGID_Y_EN: 0
; COMPUTE_PGM_RSRC2:TGID_Z_EN: 0
; COMPUTE_PGM_RSRC2:TIDIG_COMP_CNT: 0
; COMPUTE_PGM_RSRC3_GFX90A:ACCUM_OFFSET: 9
; COMPUTE_PGM_RSRC3_GFX90A:TG_SPLIT: 0
	.section	.text._ZN2at6native12_GLOBAL__N_16kernel17gru_cell_backwardIddiLi1EEEvNS_4cuda6detail10TensorInfoIT_T1_EES9_S9_S9_S9_S8_S8_,"axG",@progbits,_ZN2at6native12_GLOBAL__N_16kernel17gru_cell_backwardIddiLi1EEEvNS_4cuda6detail10TensorInfoIT_T1_EES9_S9_S9_S9_S8_S8_,comdat
	.globl	_ZN2at6native12_GLOBAL__N_16kernel17gru_cell_backwardIddiLi1EEEvNS_4cuda6detail10TensorInfoIT_T1_EES9_S9_S9_S9_S8_S8_ ; -- Begin function _ZN2at6native12_GLOBAL__N_16kernel17gru_cell_backwardIddiLi1EEEvNS_4cuda6detail10TensorInfoIT_T1_EES9_S9_S9_S9_S8_S8_
	.p2align	8
	.type	_ZN2at6native12_GLOBAL__N_16kernel17gru_cell_backwardIddiLi1EEEvNS_4cuda6detail10TensorInfoIT_T1_EES9_S9_S9_S9_S8_S8_,@function
_ZN2at6native12_GLOBAL__N_16kernel17gru_cell_backwardIddiLi1EEEvNS_4cuda6detail10TensorInfoIT_T1_EES9_S9_S9_S9_S8_S8_: ; @_ZN2at6native12_GLOBAL__N_16kernel17gru_cell_backwardIddiLi1EEEvNS_4cuda6detail10TensorInfoIT_T1_EES9_S9_S9_S9_S8_S8_
; %bb.0:
	s_load_dword s7, s[4:5], 0x44c
	s_load_dwordx2 s[2:3], s[4:5], 0x438
	s_add_u32 s0, s4, 0x440
	s_addc_u32 s1, s5, 0
	s_waitcnt lgkmcnt(0)
	s_and_b32 s20, s7, 0xffff
	s_mul_i32 s6, s6, s20
	v_add_u32_e32 v0, s6, v0
	v_cmp_gt_i32_e32 vcc, s3, v0
	s_and_saveexec_b64 s[6:7], vcc
	s_cbranch_execz .LBB48_3
; %bb.1:
	s_abs_i32 s18, s2
	v_cvt_f32_u32_e32 v1, s18
	s_load_dwordx2 s[6:7], s[4:5], 0x0
	s_load_dword s16, s[4:5], 0x6c
	s_load_dwordx2 s[8:9], s[4:5], 0xd8
	s_load_dword s17, s[4:5], 0x144
	;; [unrolled: 2-line block ×4, first 2 shown]
	s_load_dword s21, s[0:1], 0x0
	s_load_dwordx2 s[14:15], s[4:5], 0x360
	s_load_dword s19, s[4:5], 0x3cc
	v_rcp_iflag_f32_e32 v1, v1
	s_sub_i32 s0, 0, s18
	s_waitcnt lgkmcnt(0)
	s_mul_i32 s20, s21, s20
	s_ashr_i32 s21, s2, 31
	v_mul_f32_e32 v1, 0x4f7ffffe, v1
	v_cvt_u32_f32_e32 v1, v1
	s_lshl_b32 s22, s2, 2
	s_lshl_b32 s23, s2, 1
	v_mul_lo_u32 v4, v0, s25
	v_mul_lo_u32 v2, s0, v1
	v_mul_hi_u32 v2, v1, v2
	v_add_u32_e32 v1, v1, v2
	v_mul_lo_u32 v2, v0, s24
	s_mul_i32 s24, s20, s24
	s_mul_i32 s25, s20, s25
	s_mov_b64 s[4:5], 0
	v_mov_b32_e32 v6, s15
	v_mov_b32_e32 v7, s11
	;; [unrolled: 1-line block ×5, first 2 shown]
.LBB48_2:                               ; =>This Inner Loop Header: Depth=1
	v_sub_u32_e32 v12, 0, v0
	v_ashrrev_i32_e32 v3, 31, v2
	v_max_i32_e32 v16, v0, v12
	v_lshlrev_b64 v[12:13], 3, v[2:3]
	v_mul_hi_u32 v3, v16, v1
	v_add_co_u32_e32 v12, vcc, s10, v12
	v_mul_lo_u32 v17, v3, s18
	v_addc_co_u32_e32 v13, vcc, v7, v13, vcc
	v_sub_u32_e32 v16, v16, v17
	v_add_u32_e32 v18, 1, v3
	v_cmp_le_u32_e32 vcc, s18, v16
	v_subrev_u32_e32 v17, s18, v16
	v_cndmask_b32_e32 v3, v3, v18, vcc
	v_cndmask_b32_e32 v16, v16, v17, vcc
	v_ashrrev_i32_e32 v11, 31, v0
	v_add_u32_e32 v17, 1, v3
	v_cmp_le_u32_e32 vcc, s18, v16
	v_xor_b32_e32 v11, s21, v11
	v_cndmask_b32_e32 v3, v3, v17, vcc
	v_ashrrev_i32_e32 v5, 31, v4
	v_xor_b32_e32 v3, v3, v11
	v_lshlrev_b64 v[14:15], 3, v[4:5]
	v_lshlrev_b32_e32 v5, 2, v11
	v_sub_u32_e32 v34, v3, v11
	v_lshlrev_b32_e32 v18, 2, v3
	v_mad_u64_u32 v[16:17], s[0:1], s22, v34, v[0:1]
	v_sub_u32_e32 v5, v18, v5
	v_mul_lo_u32 v16, v16, s19
	v_or_b32_e32 v18, 1, v5
	v_ashrrev_i32_e32 v17, 31, v16
	v_mad_u64_u32 v[18:19], s[0:1], s2, v18, v[0:1]
	v_or_b32_e32 v20, 2, v5
	v_lshlrev_b64 v[16:17], 3, v[16:17]
	v_mul_lo_u32 v18, v18, s19
	v_mad_u64_u32 v[20:21], s[0:1], s2, v20, v[0:1]
	v_add_co_u32_e32 v16, vcc, s14, v16
	v_ashrrev_i32_e32 v19, 31, v18
	v_or_b32_e32 v22, 3, v5
	v_mul_lo_u32 v20, v20, s19
	v_addc_co_u32_e32 v17, vcc, v6, v17, vcc
	v_lshlrev_b64 v[18:19], 3, v[18:19]
	v_mad_u64_u32 v[22:23], s[0:1], s2, v22, v[0:1]
	v_ashrrev_i32_e32 v21, 31, v20
	v_add_co_u32_e32 v18, vcc, s14, v18
	v_add_u32_e32 v5, 4, v5
	v_mul_lo_u32 v22, v22, s19
	v_lshlrev_b64 v[20:21], 3, v[20:21]
	v_addc_co_u32_e32 v19, vcc, v6, v19, vcc
	v_mad_u64_u32 v[24:25], s[0:1], s2, v5, v[0:1]
	v_ashrrev_i32_e32 v23, 31, v22
	v_add_co_u32_e32 v20, vcc, s14, v20
	v_mul_lo_u32 v24, v24, s19
	v_lshlrev_b64 v[22:23], 3, v[22:23]
	v_addc_co_u32_e32 v21, vcc, v6, v21, vcc
	v_ashrrev_i32_e32 v25, 31, v24
	v_add_co_u32_e32 v22, vcc, s14, v22
	v_lshlrev_b64 v[24:25], 3, v[24:25]
	v_addc_co_u32_e32 v23, vcc, v6, v23, vcc
	v_add_co_u32_e32 v24, vcc, s14, v24
	global_load_dwordx2 v[12:13], v[12:13], off
	v_addc_co_u32_e32 v25, vcc, v6, v25, vcc
	global_load_dwordx2 v[16:17], v[16:17], off
	s_nop 0
	global_load_dwordx2 v[26:27], v[20:21], off
	global_load_dwordx2 v[28:29], v[22:23], off
	;; [unrolled: 1-line block ×4, first 2 shown]
	v_lshlrev_b32_e32 v5, 1, v11
	v_lshlrev_b32_e32 v3, 1, v3
	v_sub_u32_e32 v3, v3, v5
	v_or_b32_e32 v5, 1, v3
	v_mad_u64_u32 v[22:23], s[0:1], s2, v5, v[0:1]
	v_add_co_u32_e32 v14, vcc, s12, v14
	v_mad_u64_u32 v[18:19], s[0:1], s23, v34, v[0:1]
	v_add_u32_e32 v3, 2, v3
	v_mul_lo_u32 v34, v22, s16
	v_addc_co_u32_e32 v15, vcc, v10, v15, vcc
	v_mad_u64_u32 v[24:25], s[0:1], s2, v3, v[0:1]
	v_add_u32_e32 v0, s20, v0
	v_ashrrev_i32_e32 v35, 31, v34
	v_mul_lo_u32 v36, v24, s16
	v_cmp_le_i32_e32 vcc, s3, v0
	v_lshlrev_b64 v[34:35], 3, v[34:35]
	v_ashrrev_i32_e32 v37, 31, v36
	s_or_b64 s[4:5], vcc, s[4:5]
	v_add_co_u32_e32 v34, vcc, s6, v34
	v_mul_lo_u32 v20, v18, s16
	v_mul_lo_u32 v22, v22, s17
	v_lshlrev_b64 v[36:37], 3, v[36:37]
	v_addc_co_u32_e32 v35, vcc, v8, v35, vcc
	v_ashrrev_i32_e32 v21, 31, v20
	v_ashrrev_i32_e32 v23, 31, v22
	v_add_co_u32_e32 v36, vcc, s6, v36
	v_mul_lo_u32 v18, v18, s17
	v_lshlrev_b64 v[20:21], 3, v[20:21]
	v_mul_lo_u32 v24, v24, s17
	v_lshlrev_b64 v[22:23], 3, v[22:23]
	v_addc_co_u32_e32 v37, vcc, v8, v37, vcc
	v_ashrrev_i32_e32 v19, 31, v18
	v_add_co_u32_e64 v20, s[0:1], s6, v20
	v_ashrrev_i32_e32 v25, 31, v24
	v_add_co_u32_e32 v22, vcc, s8, v22
	v_lshlrev_b64 v[18:19], 3, v[18:19]
	v_addc_co_u32_e64 v21, s[0:1], v8, v21, s[0:1]
	v_lshlrev_b64 v[24:25], 3, v[24:25]
	v_addc_co_u32_e32 v23, vcc, v9, v23, vcc
	v_add_u32_e32 v2, s24, v2
	v_add_u32_e32 v4, s25, v4
	v_add_co_u32_e64 v18, s[0:1], s8, v18
	v_add_co_u32_e32 v24, vcc, s8, v24
	v_addc_co_u32_e64 v19, s[0:1], v9, v19, s[0:1]
	v_addc_co_u32_e32 v25, vcc, v9, v25, vcc
	s_waitcnt vmcnt(2)
	v_add_f64 v[28:29], v[28:29], -v[26:27]
	s_waitcnt vmcnt(1)
	v_add_f64 v[40:41], -v[30:31], 1.0
	v_mul_f64 v[42:43], v[30:31], v[12:13]
	v_fma_f64 v[26:27], -v[26:27], v[26:27], 1.0
	v_mul_f64 v[28:29], v[28:29], v[12:13]
	v_mul_f64 v[12:13], v[40:41], v[12:13]
	;; [unrolled: 1-line block ×4, first 2 shown]
	v_add_f64 v[38:39], -v[16:17], 1.0
	v_mul_f64 v[26:27], v[30:31], v[28:29]
	s_waitcnt vmcnt(0)
	v_mul_f64 v[30:31], v[32:33], v[12:13]
	v_mul_f64 v[30:31], v[38:39], v[30:31]
	;; [unrolled: 1-line block ×4, first 2 shown]
	global_store_dwordx2 v[20:21], v[16:17], off
	global_store_dwordx2 v[34:35], v[26:27], off
	;; [unrolled: 1-line block ×7, first 2 shown]
	s_andn2_b64 exec, exec, s[4:5]
	s_cbranch_execnz .LBB48_2
.LBB48_3:
	s_endpgm
	.section	.rodata,"a",@progbits
	.p2align	6, 0x0
	.amdhsa_kernel _ZN2at6native12_GLOBAL__N_16kernel17gru_cell_backwardIddiLi1EEEvNS_4cuda6detail10TensorInfoIT_T1_EES9_S9_S9_S9_S8_S8_
		.amdhsa_group_segment_fixed_size 0
		.amdhsa_private_segment_fixed_size 0
		.amdhsa_kernarg_size 1344
		.amdhsa_user_sgpr_count 6
		.amdhsa_user_sgpr_private_segment_buffer 1
		.amdhsa_user_sgpr_dispatch_ptr 0
		.amdhsa_user_sgpr_queue_ptr 0
		.amdhsa_user_sgpr_kernarg_segment_ptr 1
		.amdhsa_user_sgpr_dispatch_id 0
		.amdhsa_user_sgpr_flat_scratch_init 0
		.amdhsa_user_sgpr_kernarg_preload_length 0
		.amdhsa_user_sgpr_kernarg_preload_offset 0
		.amdhsa_user_sgpr_private_segment_size 0
		.amdhsa_uses_dynamic_stack 0
		.amdhsa_system_sgpr_private_segment_wavefront_offset 0
		.amdhsa_system_sgpr_workgroup_id_x 1
		.amdhsa_system_sgpr_workgroup_id_y 0
		.amdhsa_system_sgpr_workgroup_id_z 0
		.amdhsa_system_sgpr_workgroup_info 0
		.amdhsa_system_vgpr_workitem_id 0
		.amdhsa_next_free_vgpr 44
		.amdhsa_next_free_sgpr 26
		.amdhsa_accum_offset 44
		.amdhsa_reserve_vcc 1
		.amdhsa_reserve_flat_scratch 0
		.amdhsa_float_round_mode_32 0
		.amdhsa_float_round_mode_16_64 0
		.amdhsa_float_denorm_mode_32 3
		.amdhsa_float_denorm_mode_16_64 3
		.amdhsa_dx10_clamp 1
		.amdhsa_ieee_mode 1
		.amdhsa_fp16_overflow 0
		.amdhsa_tg_split 0
		.amdhsa_exception_fp_ieee_invalid_op 0
		.amdhsa_exception_fp_denorm_src 0
		.amdhsa_exception_fp_ieee_div_zero 0
		.amdhsa_exception_fp_ieee_overflow 0
		.amdhsa_exception_fp_ieee_underflow 0
		.amdhsa_exception_fp_ieee_inexact 0
		.amdhsa_exception_int_div_zero 0
	.end_amdhsa_kernel
	.section	.text._ZN2at6native12_GLOBAL__N_16kernel17gru_cell_backwardIddiLi1EEEvNS_4cuda6detail10TensorInfoIT_T1_EES9_S9_S9_S9_S8_S8_,"axG",@progbits,_ZN2at6native12_GLOBAL__N_16kernel17gru_cell_backwardIddiLi1EEEvNS_4cuda6detail10TensorInfoIT_T1_EES9_S9_S9_S9_S8_S8_,comdat
.Lfunc_end48:
	.size	_ZN2at6native12_GLOBAL__N_16kernel17gru_cell_backwardIddiLi1EEEvNS_4cuda6detail10TensorInfoIT_T1_EES9_S9_S9_S9_S8_S8_, .Lfunc_end48-_ZN2at6native12_GLOBAL__N_16kernel17gru_cell_backwardIddiLi1EEEvNS_4cuda6detail10TensorInfoIT_T1_EES9_S9_S9_S9_S8_S8_
                                        ; -- End function
	.section	.AMDGPU.csdata,"",@progbits
; Kernel info:
; codeLenInByte = 1080
; NumSgprs: 30
; NumVgprs: 44
; NumAgprs: 0
; TotalNumVgprs: 44
; ScratchSize: 0
; MemoryBound: 0
; FloatMode: 240
; IeeeMode: 1
; LDSByteSize: 0 bytes/workgroup (compile time only)
; SGPRBlocks: 3
; VGPRBlocks: 5
; NumSGPRsForWavesPerEU: 30
; NumVGPRsForWavesPerEU: 44
; AccumOffset: 44
; Occupancy: 8
; WaveLimiterHint : 1
; COMPUTE_PGM_RSRC2:SCRATCH_EN: 0
; COMPUTE_PGM_RSRC2:USER_SGPR: 6
; COMPUTE_PGM_RSRC2:TRAP_HANDLER: 0
; COMPUTE_PGM_RSRC2:TGID_X_EN: 1
; COMPUTE_PGM_RSRC2:TGID_Y_EN: 0
; COMPUTE_PGM_RSRC2:TGID_Z_EN: 0
; COMPUTE_PGM_RSRC2:TIDIG_COMP_CNT: 0
; COMPUTE_PGM_RSRC3_GFX90A:ACCUM_OFFSET: 10
; COMPUTE_PGM_RSRC3_GFX90A:TG_SPLIT: 0
	.section	.text._ZN2at6native12_GLOBAL__N_16kernel17gru_cell_backwardIddiLi2EEEvNS_4cuda6detail10TensorInfoIT_T1_EES9_S9_S9_S9_S8_S8_,"axG",@progbits,_ZN2at6native12_GLOBAL__N_16kernel17gru_cell_backwardIddiLi2EEEvNS_4cuda6detail10TensorInfoIT_T1_EES9_S9_S9_S9_S8_S8_,comdat
	.globl	_ZN2at6native12_GLOBAL__N_16kernel17gru_cell_backwardIddiLi2EEEvNS_4cuda6detail10TensorInfoIT_T1_EES9_S9_S9_S9_S8_S8_ ; -- Begin function _ZN2at6native12_GLOBAL__N_16kernel17gru_cell_backwardIddiLi2EEEvNS_4cuda6detail10TensorInfoIT_T1_EES9_S9_S9_S9_S8_S8_
	.p2align	8
	.type	_ZN2at6native12_GLOBAL__N_16kernel17gru_cell_backwardIddiLi2EEEvNS_4cuda6detail10TensorInfoIT_T1_EES9_S9_S9_S9_S8_S8_,@function
_ZN2at6native12_GLOBAL__N_16kernel17gru_cell_backwardIddiLi2EEEvNS_4cuda6detail10TensorInfoIT_T1_EES9_S9_S9_S9_S8_S8_: ; @_ZN2at6native12_GLOBAL__N_16kernel17gru_cell_backwardIddiLi2EEEvNS_4cuda6detail10TensorInfoIT_T1_EES9_S9_S9_S9_S8_S8_
; %bb.0:
	s_load_dword s2, s[4:5], 0x44c
	s_load_dwordx2 s[14:15], s[4:5], 0x438
	s_add_u32 s0, s4, 0x440
	s_addc_u32 s1, s5, 0
	s_waitcnt lgkmcnt(0)
	s_and_b32 s2, s2, 0xffff
	s_mul_i32 s6, s6, s2
	v_add_u32_e32 v0, s6, v0
	v_cmp_gt_i32_e32 vcc, s15, v0
	s_and_saveexec_b64 s[6:7], vcc
	s_cbranch_execz .LBB49_3
; %bb.1:
	s_abs_i32 s41, s14
	v_cvt_f32_u32_e32 v1, s41
	s_load_dwordx2 s[16:17], s[4:5], 0x0
	s_load_dword s33, s[4:5], 0xc
	s_load_dwordx2 s[18:19], s[4:5], 0x6c
	s_load_dwordx2 s[20:21], s[4:5], 0xd8
	s_load_dword s40, s[4:5], 0xe4
	s_load_dwordx2 s[22:23], s[4:5], 0x144
	;; [unrolled: 3-line block ×3, first 2 shown]
	s_load_dword s42, s[4:5], 0x36c
	s_load_dword s43, s[0:1], 0x0
	s_sub_i32 s1, 0, s41
	v_rcp_iflag_f32_e32 v1, v1
	s_waitcnt lgkmcnt(0)
	s_abs_i32 s48, s33
	s_abs_i32 s44, s42
	v_cvt_f32_u32_e32 v2, s44
	v_mul_f32_e32 v1, 0x4f7ffffe, v1
	v_cvt_u32_f32_e32 v1, v1
	s_abs_i32 s46, s3
	v_rcp_iflag_f32_e32 v2, v2
	s_load_dwordx2 s[28:29], s[4:5], 0x21c
	s_load_dwordx2 s[30:31], s[4:5], 0x288
	s_load_dword s0, s[4:5], 0x294
	s_load_dwordx2 s[34:35], s[4:5], 0x2f4
	s_load_dwordx2 s[36:37], s[4:5], 0x3cc
	v_mul_lo_u32 v3, s1, v1
	v_mul_hi_u32 v3, v1, v3
	v_add_u32_e32 v1, v1, v3
	v_cvt_f32_u32_e32 v3, s46
	v_mul_f32_e32 v2, 0x4f7ffffe, v2
	v_cvt_u32_f32_e32 v2, v2
	s_sub_i32 s1, 0, s44
	v_rcp_iflag_f32_e32 v3, v3
	s_abs_i32 s51, s40
	v_mul_lo_u32 v4, s1, v2
	v_mul_hi_u32 v4, v2, v4
	v_add_u32_e32 v6, v2, v4
	v_mul_f32_e32 v2, 0x4f7ffffe, v3
	v_cvt_f32_u32_e32 v3, s48
	v_cvt_u32_f32_e32 v2, v2
	s_sub_i32 s1, 0, s46
	s_waitcnt lgkmcnt(0)
	s_abs_i32 s52, s0
	v_rcp_iflag_f32_e32 v3, v3
	v_mul_lo_u32 v4, s1, v2
	v_mul_hi_u32 v4, v2, v4
	v_add_u32_e32 v7, v2, v4
	v_mul_f32_e32 v2, 0x4f7ffffe, v3
	v_cvt_u32_f32_e32 v2, v2
	s_sub_i32 s1, 0, s48
	v_cvt_f32_u32_e32 v3, s51
	s_mul_i32 s43, s43, s2
	v_mul_lo_u32 v4, s1, v2
	v_mul_hi_u32 v4, v2, v4
	v_add_u32_e32 v8, v2, v4
	v_cvt_f32_u32_e32 v2, s52
	v_rcp_iflag_f32_e32 v3, v3
	s_sub_i32 s1, 0, s51
	s_ashr_i32 s45, s14, 31
	v_rcp_iflag_f32_e32 v2, v2
	v_mul_f32_e32 v3, 0x4f7ffffe, v3
	v_cvt_u32_f32_e32 v3, v3
	s_ashr_i32 s47, s42, 31
	v_mul_f32_e32 v2, 0x4f7ffffe, v2
	v_cvt_u32_f32_e32 v2, v2
	v_mul_lo_u32 v4, s1, v3
	v_mul_hi_u32 v4, v3, v4
	s_sub_i32 s1, 0, s52
	v_add_u32_e32 v9, v3, v4
	v_mul_lo_u32 v3, s1, v2
	v_mul_hi_u32 v3, v2, v3
	s_ashr_i32 s49, s3, 31
	s_ashr_i32 s50, s33, 31
	s_ashr_i32 s53, s40, 31
	s_ashr_i32 s54, s0, 31
	v_add_u32_e32 v10, v2, v3
	s_lshl_b32 s55, s14, 2
	s_lshl_b32 s56, s14, 1
	s_sub_i32 s57, 0, s3
	s_sub_i32 s58, 0, s0
	s_mov_b64 s[38:39], 0
	v_mov_b32_e32 v11, s27
	v_mov_b32_e32 v12, s25
	;; [unrolled: 1-line block ×5, first 2 shown]
.LBB49_2:                               ; =>This Inner Loop Header: Depth=1
	v_sub_u32_e32 v3, 0, v0
	v_max_i32_e32 v3, v0, v3
	v_mul_hi_u32 v16, v3, v1
	v_mul_hi_u32 v18, v3, v7
	v_mul_lo_u32 v21, v16, s41
	v_mul_lo_u32 v23, v18, s46
	v_sub_u32_e32 v21, v3, v21
	v_mul_hi_u32 v20, v3, v10
	v_add_u32_e32 v22, 1, v16
	v_sub_u32_e32 v23, v3, v23
	v_cmp_le_u32_e32 vcc, s41, v21
	v_add_u32_e32 v24, 1, v18
	v_mul_lo_u32 v25, v20, s52
	v_cndmask_b32_e32 v16, v16, v22, vcc
	v_subrev_u32_e32 v22, s41, v21
	v_cmp_le_u32_e64 s[0:1], s46, v23
	v_sub_u32_e32 v3, v3, v25
	v_cndmask_b32_e64 v18, v18, v24, s[0:1]
	v_subrev_u32_e32 v24, s46, v23
	v_cndmask_b32_e32 v21, v21, v22, vcc
	v_add_u32_e32 v26, 1, v20
	v_cmp_le_u32_e64 s[2:3], s52, v3
	v_subrev_u32_e32 v25, s52, v3
	v_add_u32_e32 v22, 1, v16
	v_cndmask_b32_e64 v23, v23, v24, s[0:1]
	v_cmp_le_u32_e32 vcc, s41, v21
	v_ashrrev_i32_e32 v4, 31, v0
	v_cndmask_b32_e64 v20, v20, v26, s[2:3]
	v_add_u32_e32 v24, 1, v18
	v_cndmask_b32_e64 v3, v3, v25, s[2:3]
	v_cndmask_b32_e32 v16, v16, v22, vcc
	v_cmp_le_u32_e32 vcc, s46, v23
	v_xor_b32_e32 v2, s45, v4
	v_xor_b32_e32 v5, s49, v4
	v_add_u32_e32 v25, 1, v20
	v_cndmask_b32_e32 v18, v18, v24, vcc
	v_cmp_le_u32_e32 vcc, s52, v3
	v_xor_b32_e32 v4, s54, v4
	v_cndmask_b32_e32 v3, v20, v25, vcc
	v_xor_b32_e32 v16, v16, v2
	v_xor_b32_e32 v18, v18, v5
	v_lshlrev_b32_e32 v17, 2, v2
	v_lshlrev_b32_e32 v19, 1, v2
	v_xor_b32_e32 v3, v3, v4
	v_sub_u32_e32 v20, v16, v2
	v_lshlrev_b32_e32 v2, 2, v16
	v_sub_u32_e32 v18, v18, v5
	v_lshlrev_b32_e32 v5, 1, v16
	v_sub_u32_e32 v21, v3, v4
	v_sub_u32_e32 v16, v2, v17
	v_mad_u64_u32 v[2:3], s[0:1], s57, v18, v[0:1]
	v_mul_lo_u32 v22, s55, v20
	v_mul_lo_u32 v20, s56, v20
	v_sub_u32_e32 v3, v5, v19
	v_mul_lo_u32 v2, v2, s29
	v_mad_u64_u32 v[4:5], s[0:1], s58, v21, v[0:1]
	v_add_u32_e32 v24, v0, v20
	v_or_b32_e32 v25, 1, v3
	v_add_u32_e32 v26, 2, v3
	v_mad_u64_u32 v[2:3], s[0:1], v18, s28, v[2:3]
	v_add_u32_e32 v5, v0, v22
	v_or_b32_e32 v17, 1, v16
	v_mul_lo_u32 v4, v4, s35
	v_ashrrev_i32_e32 v18, 31, v24
	v_ashrrev_i32_e32 v3, 31, v2
	v_or_b32_e32 v19, 2, v16
	v_ashrrev_i32_e32 v27, 31, v5
	v_mul_lo_u32 v28, s14, v17
	v_mad_u64_u32 v[4:5], s[0:1], v21, s34, v[4:5]
	v_add3_u32 v33, v18, v20, v0
	v_lshlrev_b64 v[2:3], 3, v[2:3]
	v_or_b32_e32 v23, 3, v16
	v_add_u32_e32 v16, 4, v16
	v_mul_lo_u32 v29, s14, v19
	v_add3_u32 v19, v27, v22, v0
	v_add_u32_e32 v24, v0, v28
	v_xor_b32_e32 v32, s50, v18
	v_xor_b32_e32 v36, s53, v18
	v_ashrrev_i32_e32 v5, 31, v4
	v_xor_b32_e32 v33, v33, v18
	v_add_co_u32_e32 v18, vcc, s24, v2
	v_mul_lo_u32 v30, s14, v16
	v_mul_lo_u32 v16, s14, v25
	v_xor_b32_e32 v21, s47, v27
	v_add_u32_e32 v25, v0, v29
	v_xor_b32_e32 v27, v19, v27
	v_ashrrev_i32_e32 v24, 31, v24
	v_lshlrev_b64 v[4:5], 3, v[4:5]
	v_addc_co_u32_e32 v19, vcc, v12, v3, vcc
	v_mul_lo_u32 v23, s14, v23
	v_add_u32_e32 v31, v0, v30
	v_ashrrev_i32_e32 v25, 31, v25
	v_add3_u32 v39, v24, v28, v0
	v_mul_hi_u32 v46, v33, v8
	v_mul_hi_u32 v51, v33, v9
	v_add_co_u32_e32 v2, vcc, s30, v4
	v_mul_lo_u32 v17, s14, v26
	v_add_u32_e32 v26, v0, v23
	v_ashrrev_i32_e32 v31, 31, v31
	v_mul_hi_u32 v37, v27, v6
	v_xor_b32_e32 v38, s47, v24
	v_add3_u32 v41, v25, v29, v0
	v_addc_co_u32_e32 v3, vcc, v15, v5, vcc
	v_xor_b32_e32 v24, v39, v24
	global_load_dwordx2 v[4:5], v[18:19], off
	v_mul_lo_u32 v18, v46, s48
	v_mul_lo_u32 v39, v51, s51
	v_add_u32_e32 v34, v0, v16
	v_ashrrev_i32_e32 v26, 31, v26
	v_xor_b32_e32 v40, s47, v25
	v_add3_u32 v45, v31, v30, v0
	v_mul_lo_u32 v54, v37, s44
	v_xor_b32_e32 v25, v41, v25
	v_sub_u32_e32 v18, v33, v18
	v_sub_u32_e32 v33, v33, v39
	v_add_u32_e32 v35, v0, v17
	v_ashrrev_i32_e32 v34, 31, v34
	v_add3_u32 v43, v26, v23, v0
	v_xor_b32_e32 v44, s47, v31
	v_xor_b32_e32 v31, v45, v31
	v_add_u32_e32 v41, 1, v51
	v_sub_u32_e32 v27, v27, v54
	v_mul_hi_u32 v45, v25, v6
	v_cmp_le_u32_e64 s[2:3], s51, v33
	v_ashrrev_i32_e32 v35, 31, v35
	v_xor_b32_e32 v42, s47, v26
	v_add3_u32 v48, v34, v16, v0
	v_add_u32_e32 v55, 1, v37
	v_xor_b32_e32 v26, v43, v26
	v_cmp_le_u32_e32 vcc, s44, v27
	v_cndmask_b32_e64 v41, v51, v41, s[2:3]
	v_mul_lo_u32 v51, v45, s44
	v_xor_b32_e32 v47, s50, v34
	v_add3_u32 v50, v35, v17, v0
	v_xor_b32_e32 v52, s53, v34
	v_xor_b32_e32 v34, v48, v34
	v_mul_hi_u32 v43, v24, v6
	v_mul_hi_u32 v48, v26, v6
	v_cndmask_b32_e32 v37, v37, v55, vcc
	v_subrev_u32_e32 v55, s44, v27
	v_cmp_le_u32_e64 s[0:1], s48, v18
	v_sub_u32_e32 v25, v25, v51
	v_subrev_u32_e32 v51, s48, v18
	v_xor_b32_e32 v49, s50, v35
	v_xor_b32_e32 v53, s53, v35
	;; [unrolled: 1-line block ×3, first 2 shown]
	v_mul_hi_u32 v50, v31, v6
	v_mul_hi_u32 v54, v34, v8
	;; [unrolled: 1-line block ×3, first 2 shown]
	v_mul_lo_u32 v58, v43, s44
	v_cndmask_b32_e32 v27, v27, v55, vcc
	v_mul_lo_u32 v55, v48, s44
	v_cndmask_b32_e64 v18, v18, v51, s[0:1]
	v_subrev_u32_e32 v51, s51, v33
	v_mul_hi_u32 v56, v35, v8
	v_mul_hi_u32 v57, v35, v9
	v_sub_u32_e32 v24, v24, v58
	v_mul_lo_u32 v58, v50, s44
	v_sub_u32_e32 v26, v26, v55
	v_mul_lo_u32 v55, v54, s48
	v_cndmask_b32_e64 v33, v33, v51, s[2:3]
	v_mul_lo_u32 v51, v39, s51
	v_sub_u32_e32 v31, v31, v58
	v_mul_lo_u32 v58, v56, s48
	v_sub_u32_e32 v55, v34, v55
	v_sub_u32_e32 v34, v34, v51
	v_mul_lo_u32 v51, v57, s51
	v_add_u32_e32 v19, 1, v46
	v_sub_u32_e32 v58, v35, v58
	v_sub_u32_e32 v35, v35, v51
	v_add_u32_e32 v51, 1, v37
	v_cmp_le_u32_e32 vcc, s44, v27
	v_cndmask_b32_e64 v19, v46, v19, s[0:1]
	v_add_u32_e32 v46, 1, v43
	v_cndmask_b32_e32 v37, v37, v51, vcc
	v_cmp_le_u32_e32 vcc, s44, v24
	v_cndmask_b32_e32 v43, v43, v46, vcc
	v_add_u32_e32 v46, 1, v50
	v_cmp_le_u32_e64 s[4:5], s44, v31
	v_add_u32_e32 v27, 1, v45
	v_cmp_le_u32_e64 s[0:1], s44, v25
	v_cndmask_b32_e64 v46, v50, v46, s[4:5]
	v_add_u32_e32 v50, 1, v19
	v_cmp_le_u32_e64 s[6:7], s48, v18
	v_add_u32_e32 v51, 1, v48
	v_cndmask_b32_e64 v27, v45, v27, s[0:1]
	v_add_u32_e32 v45, 1, v54
	v_cmp_le_u32_e64 s[2:3], s44, v26
	v_cndmask_b32_e64 v19, v19, v50, s[6:7]
	v_cmp_le_u32_e64 s[6:7], s48, v55
	v_cndmask_b32_e64 v48, v48, v51, s[2:3]
	v_add_u32_e32 v51, 1, v56
	v_cndmask_b32_e64 v45, v54, v45, s[6:7]
	v_add_u32_e32 v54, 1, v41
	v_cmp_le_u32_e64 s[8:9], s48, v58
	v_cmp_le_u32_e64 s[10:11], s51, v33
	v_add_u32_e32 v18, 1, v39
	v_cndmask_b32_e64 v51, v56, v51, s[8:9]
	v_subrev_u32_e32 v56, s44, v24
	v_cndmask_b32_e64 v41, v41, v54, s[10:11]
	v_cmp_le_u32_e64 s[10:11], s51, v34
	v_add_u32_e32 v50, 1, v57
	v_subrev_u32_e32 v33, s44, v25
	v_cndmask_b32_e64 v18, v39, v18, s[10:11]
	v_subrev_u32_e32 v39, s44, v31
	v_cmp_le_u32_e64 s[12:13], s51, v35
	v_cndmask_b32_e32 v24, v24, v56, vcc
	v_subrev_u32_e32 v54, s44, v26
	v_cndmask_b32_e64 v50, v57, v50, s[12:13]
	v_subrev_u32_e32 v57, s48, v55
	v_cndmask_b32_e64 v25, v25, v33, s[0:1]
	v_cndmask_b32_e64 v31, v31, v39, s[4:5]
	v_add_u32_e32 v39, 1, v43
	v_cmp_le_u32_e32 vcc, s44, v24
	v_subrev_u32_e32 v56, s48, v58
	v_cndmask_b32_e64 v26, v26, v54, s[2:3]
	v_cndmask_b32_e64 v55, v55, v57, s[6:7]
	v_add_u32_e32 v57, 1, v27
	v_cndmask_b32_e32 v39, v43, v39, vcc
	v_cmp_le_u32_e32 vcc, s44, v25
	v_subrev_u32_e32 v33, s51, v34
	v_cndmask_b32_e64 v56, v58, v56, s[8:9]
	v_add_u32_e32 v58, 1, v48
	v_cndmask_b32_e32 v25, v27, v57, vcc
	v_cmp_le_u32_e32 vcc, s44, v26
	v_subrev_u32_e32 v54, s51, v35
	v_cndmask_b32_e64 v33, v34, v33, s[10:11]
	v_add_u32_e32 v34, 1, v46
	v_cndmask_b32_e32 v26, v48, v58, vcc
	v_cmp_le_u32_e32 vcc, s44, v31
	v_xor_b32_e32 v37, v37, v21
	v_xor_b32_e32 v19, v19, v32
	v_cndmask_b32_e64 v35, v35, v54, s[12:13]
	v_add_u32_e32 v54, 1, v45
	v_cndmask_b32_e32 v27, v46, v34, vcc
	v_cmp_le_u32_e32 vcc, s48, v55
	v_sub_u32_e32 v21, v37, v21
	v_add_u32_e32 v37, 1, v51
	v_sub_u32_e32 v46, v19, v32
	v_cndmask_b32_e32 v19, v45, v54, vcc
	v_cmp_le_u32_e32 vcc, s48, v56
	v_xor_b32_e32 v41, v41, v36
	v_add_u32_e32 v24, 1, v18
	v_cndmask_b32_e32 v31, v51, v37, vcc
	v_cmp_le_u32_e32 vcc, s51, v33
	v_add_u32_e32 v43, 1, v50
	v_sub_u32_e32 v41, v41, v36
	v_cndmask_b32_e32 v18, v18, v24, vcc
	v_cmp_le_u32_e32 vcc, s51, v35
	v_mul_lo_u32 v32, v21, s42
	v_xor_b32_e32 v33, v39, v38
	v_cndmask_b32_e32 v24, v50, v43, vcc
	v_xor_b32_e32 v25, v25, v40
	v_xor_b32_e32 v26, v26, v42
	v_mul_lo_u32 v34, v46, s33
	v_xor_b32_e32 v19, v19, v47
	v_mul_lo_u32 v35, v41, s40
	v_xor_b32_e32 v18, v18, v52
	v_sub_u32_e32 v22, v22, v32
	v_sub_u32_e32 v32, v33, v38
	v_xor_b32_e32 v27, v27, v44
	v_xor_b32_e32 v24, v24, v53
	v_sub_u32_e32 v25, v25, v40
	v_sub_u32_e32 v33, v26, v42
	;; [unrolled: 1-line block ×6, first 2 shown]
	v_add_u32_e32 v18, v0, v22
	v_mul_lo_u32 v20, v32, s42
	v_sub_u32_e32 v36, v27, v44
	v_sub_u32_e32 v42, v24, v53
	v_mul_lo_u32 v22, v25, s42
	v_mul_lo_u32 v24, v33, s42
	v_mul_lo_u32 v18, v18, s37
	v_sub_u32_e32 v28, v28, v20
	v_mul_lo_u32 v27, v36, s42
	v_add_u32_e32 v26, v0, v26
	v_add_u32_e32 v43, v0, v19
	v_sub_u32_e32 v22, v29, v22
	v_sub_u32_e32 v23, v23, v24
	v_mad_u64_u32 v[18:19], s[0:1], v21, s36, v[18:19]
	v_add_u32_e32 v21, v0, v28
	v_sub_u32_e32 v24, v30, v27
	v_mul_lo_u32 v20, v26, s19
	v_add_u32_e32 v26, v0, v22
	v_add_u32_e32 v23, v0, v23
	v_ashrrev_i32_e32 v19, 31, v18
	v_mul_lo_u32 v22, v21, s37
	v_add_u32_e32 v27, v0, v24
	v_mul_lo_u32 v24, v26, s37
	v_mul_lo_u32 v26, v23, s37
	v_lshlrev_b64 v[18:19], 3, v[18:19]
	v_mad_u64_u32 v[22:23], s[0:1], v32, s36, v[22:23]
	v_add_co_u32_e32 v18, vcc, s26, v18
	v_ashrrev_i32_e32 v23, 31, v22
	v_mad_u64_u32 v[24:25], s[0:1], v25, s36, v[24:25]
	v_addc_co_u32_e32 v19, vcc, v11, v19, vcc
	v_lshlrev_b64 v[22:23], 3, v[22:23]
	v_ashrrev_i32_e32 v25, 31, v24
	v_add_co_u32_e32 v22, vcc, s26, v22
	v_mul_lo_u32 v28, v27, s37
	v_mad_u64_u32 v[26:27], s[0:1], v33, s36, v[26:27]
	v_lshlrev_b64 v[24:25], 3, v[24:25]
	v_addc_co_u32_e32 v23, vcc, v11, v23, vcc
	v_ashrrev_i32_e32 v27, 31, v26
	v_add_co_u32_e32 v24, vcc, s26, v24
	v_mad_u64_u32 v[28:29], s[0:1], v36, s36, v[28:29]
	v_lshlrev_b64 v[26:27], 3, v[26:27]
	v_addc_co_u32_e32 v25, vcc, v11, v25, vcc
	v_xor_b32_e32 v31, v31, v49
	v_ashrrev_i32_e32 v29, 31, v28
	v_add_co_u32_e32 v26, vcc, s26, v26
	v_sub_u32_e32 v39, v31, v49
	v_lshlrev_b64 v[28:29], 3, v[28:29]
	v_addc_co_u32_e32 v27, vcc, v11, v27, vcc
	v_mul_lo_u32 v31, v38, s33
	v_mul_lo_u32 v34, v39, s33
	v_add_co_u32_e32 v28, vcc, s26, v28
	v_sub_u32_e32 v47, v16, v31
	v_sub_u32_e32 v48, v17, v34
	global_load_dwordx2 v[18:19], v[18:19], off
	v_addc_co_u32_e32 v29, vcc, v11, v29, vcc
	global_load_dwordx2 v[30:31], v[24:25], off
	global_load_dwordx2 v[32:33], v[26:27], off
	;; [unrolled: 1-line block ×4, first 2 shown]
	v_mul_lo_u32 v44, v40, s40
	v_mul_lo_u32 v45, v42, s40
	;; [unrolled: 1-line block ×3, first 2 shown]
	v_sub_u32_e32 v23, v16, v44
	v_sub_u32_e32 v24, v17, v45
	v_mad_u64_u32 v[16:17], s[0:1], v46, s18, v[20:21]
	v_add_u32_e32 v25, v0, v47
	v_add_u32_e32 v26, v0, v48
	v_mad_u64_u32 v[20:21], s[0:1], v41, s22, v[22:23]
	v_add_u32_e32 v23, v0, v23
	v_add_u32_e32 v27, v0, v24
	;; [unrolled: 1-line block ×3, first 2 shown]
	v_ashrrev_i32_e32 v17, 31, v16
	v_cmp_le_i32_e32 vcc, s15, v0
	v_lshlrev_b64 v[16:17], 3, v[16:17]
	v_mul_lo_u32 v22, v25, s19
	v_ashrrev_i32_e32 v21, 31, v20
	s_or_b64 s[38:39], vcc, s[38:39]
	v_add_co_u32_e32 v16, vcc, s16, v16
	v_mul_lo_u32 v24, v26, s19
	v_mul_lo_u32 v26, v23, s23
	v_mad_u64_u32 v[22:23], s[0:1], v38, s18, v[22:23]
	v_lshlrev_b64 v[20:21], 3, v[20:21]
	v_addc_co_u32_e32 v17, vcc, v13, v17, vcc
	v_ashrrev_i32_e32 v23, 31, v22
	v_add_co_u32_e32 v20, vcc, s20, v20
	v_mad_u64_u32 v[24:25], s[0:1], v39, s18, v[24:25]
	v_addc_co_u32_e32 v21, vcc, v14, v21, vcc
	v_lshlrev_b64 v[22:23], 3, v[22:23]
	v_ashrrev_i32_e32 v25, 31, v24
	v_add_co_u32_e32 v22, vcc, s16, v22
	v_mul_lo_u32 v28, v27, s23
	v_mad_u64_u32 v[26:27], s[0:1], v40, s22, v[26:27]
	v_lshlrev_b64 v[24:25], 3, v[24:25]
	v_addc_co_u32_e32 v23, vcc, v13, v23, vcc
	v_mad_u64_u32 v[28:29], s[0:1], v42, s22, v[28:29]
	v_ashrrev_i32_e32 v27, 31, v26
	v_add_co_u32_e32 v24, vcc, s16, v24
	v_lshlrev_b64 v[26:27], 3, v[26:27]
	v_addc_co_u32_e32 v25, vcc, v13, v25, vcc
	v_ashrrev_i32_e32 v29, 31, v28
	v_add_co_u32_e32 v26, vcc, s20, v26
	v_lshlrev_b64 v[28:29], 3, v[28:29]
	v_addc_co_u32_e32 v27, vcc, v14, v27, vcc
	v_add_co_u32_e32 v28, vcc, s20, v28
	v_addc_co_u32_e32 v29, vcc, v14, v29, vcc
	s_waitcnt vmcnt(4)
	v_add_f64 v[38:39], -v[18:19], 1.0
	s_waitcnt vmcnt(2)
	v_add_f64 v[32:33], v[32:33], -v[30:31]
	s_waitcnt vmcnt(1)
	v_add_f64 v[40:41], -v[34:35], 1.0
	v_mul_f64 v[42:43], v[34:35], v[4:5]
	v_fma_f64 v[30:31], -v[30:31], v[30:31], 1.0
	v_mul_f64 v[32:33], v[32:33], v[4:5]
	v_mul_f64 v[4:5], v[40:41], v[4:5]
	;; [unrolled: 1-line block ×5, first 2 shown]
	s_waitcnt vmcnt(0)
	v_mul_f64 v[34:35], v[36:37], v[4:5]
	v_mul_f64 v[34:35], v[38:39], v[34:35]
	;; [unrolled: 1-line block ×4, first 2 shown]
	global_store_dwordx2 v[16:17], v[18:19], off
	global_store_dwordx2 v[22:23], v[30:31], off
	;; [unrolled: 1-line block ×7, first 2 shown]
	s_andn2_b64 exec, exec, s[38:39]
	s_cbranch_execnz .LBB49_2
.LBB49_3:
	s_endpgm
	.section	.rodata,"a",@progbits
	.p2align	6, 0x0
	.amdhsa_kernel _ZN2at6native12_GLOBAL__N_16kernel17gru_cell_backwardIddiLi2EEEvNS_4cuda6detail10TensorInfoIT_T1_EES9_S9_S9_S9_S8_S8_
		.amdhsa_group_segment_fixed_size 0
		.amdhsa_private_segment_fixed_size 0
		.amdhsa_kernarg_size 1344
		.amdhsa_user_sgpr_count 6
		.amdhsa_user_sgpr_private_segment_buffer 1
		.amdhsa_user_sgpr_dispatch_ptr 0
		.amdhsa_user_sgpr_queue_ptr 0
		.amdhsa_user_sgpr_kernarg_segment_ptr 1
		.amdhsa_user_sgpr_dispatch_id 0
		.amdhsa_user_sgpr_flat_scratch_init 0
		.amdhsa_user_sgpr_kernarg_preload_length 0
		.amdhsa_user_sgpr_kernarg_preload_offset 0
		.amdhsa_user_sgpr_private_segment_size 0
		.amdhsa_uses_dynamic_stack 0
		.amdhsa_system_sgpr_private_segment_wavefront_offset 0
		.amdhsa_system_sgpr_workgroup_id_x 1
		.amdhsa_system_sgpr_workgroup_id_y 0
		.amdhsa_system_sgpr_workgroup_id_z 0
		.amdhsa_system_sgpr_workgroup_info 0
		.amdhsa_system_vgpr_workitem_id 0
		.amdhsa_next_free_vgpr 59
		.amdhsa_next_free_sgpr 59
		.amdhsa_accum_offset 60
		.amdhsa_reserve_vcc 1
		.amdhsa_reserve_flat_scratch 0
		.amdhsa_float_round_mode_32 0
		.amdhsa_float_round_mode_16_64 0
		.amdhsa_float_denorm_mode_32 3
		.amdhsa_float_denorm_mode_16_64 3
		.amdhsa_dx10_clamp 1
		.amdhsa_ieee_mode 1
		.amdhsa_fp16_overflow 0
		.amdhsa_tg_split 0
		.amdhsa_exception_fp_ieee_invalid_op 0
		.amdhsa_exception_fp_denorm_src 0
		.amdhsa_exception_fp_ieee_div_zero 0
		.amdhsa_exception_fp_ieee_overflow 0
		.amdhsa_exception_fp_ieee_underflow 0
		.amdhsa_exception_fp_ieee_inexact 0
		.amdhsa_exception_int_div_zero 0
	.end_amdhsa_kernel
	.section	.text._ZN2at6native12_GLOBAL__N_16kernel17gru_cell_backwardIddiLi2EEEvNS_4cuda6detail10TensorInfoIT_T1_EES9_S9_S9_S9_S8_S8_,"axG",@progbits,_ZN2at6native12_GLOBAL__N_16kernel17gru_cell_backwardIddiLi2EEEvNS_4cuda6detail10TensorInfoIT_T1_EES9_S9_S9_S9_S8_S8_,comdat
.Lfunc_end49:
	.size	_ZN2at6native12_GLOBAL__N_16kernel17gru_cell_backwardIddiLi2EEEvNS_4cuda6detail10TensorInfoIT_T1_EES9_S9_S9_S9_S8_S8_, .Lfunc_end49-_ZN2at6native12_GLOBAL__N_16kernel17gru_cell_backwardIddiLi2EEEvNS_4cuda6detail10TensorInfoIT_T1_EES9_S9_S9_S9_S8_S8_
                                        ; -- End function
	.section	.AMDGPU.csdata,"",@progbits
; Kernel info:
; codeLenInByte = 2796
; NumSgprs: 63
; NumVgprs: 59
; NumAgprs: 0
; TotalNumVgprs: 59
; ScratchSize: 0
; MemoryBound: 0
; FloatMode: 240
; IeeeMode: 1
; LDSByteSize: 0 bytes/workgroup (compile time only)
; SGPRBlocks: 7
; VGPRBlocks: 7
; NumSGPRsForWavesPerEU: 63
; NumVGPRsForWavesPerEU: 59
; AccumOffset: 60
; Occupancy: 8
; WaveLimiterHint : 1
; COMPUTE_PGM_RSRC2:SCRATCH_EN: 0
; COMPUTE_PGM_RSRC2:USER_SGPR: 6
; COMPUTE_PGM_RSRC2:TRAP_HANDLER: 0
; COMPUTE_PGM_RSRC2:TGID_X_EN: 1
; COMPUTE_PGM_RSRC2:TGID_Y_EN: 0
; COMPUTE_PGM_RSRC2:TGID_Z_EN: 0
; COMPUTE_PGM_RSRC2:TIDIG_COMP_CNT: 0
; COMPUTE_PGM_RSRC3_GFX90A:ACCUM_OFFSET: 14
; COMPUTE_PGM_RSRC3_GFX90A:TG_SPLIT: 0
	.section	.text._ZN2at6native12_GLOBAL__N_16kernel17gru_cell_backwardIddlLi1EEEvNS_4cuda6detail10TensorInfoIT_T1_EES9_S9_S9_S9_S8_S8_,"axG",@progbits,_ZN2at6native12_GLOBAL__N_16kernel17gru_cell_backwardIddlLi1EEEvNS_4cuda6detail10TensorInfoIT_T1_EES9_S9_S9_S9_S8_S8_,comdat
	.globl	_ZN2at6native12_GLOBAL__N_16kernel17gru_cell_backwardIddlLi1EEEvNS_4cuda6detail10TensorInfoIT_T1_EES9_S9_S9_S9_S8_S8_ ; -- Begin function _ZN2at6native12_GLOBAL__N_16kernel17gru_cell_backwardIddlLi1EEEvNS_4cuda6detail10TensorInfoIT_T1_EES9_S9_S9_S9_S8_S8_
	.p2align	8
	.type	_ZN2at6native12_GLOBAL__N_16kernel17gru_cell_backwardIddlLi1EEEvNS_4cuda6detail10TensorInfoIT_T1_EES9_S9_S9_S9_S8_S8_,@function
_ZN2at6native12_GLOBAL__N_16kernel17gru_cell_backwardIddlLi1EEEvNS_4cuda6detail10TensorInfoIT_T1_EES9_S9_S9_S9_S8_S8_: ; @_ZN2at6native12_GLOBAL__N_16kernel17gru_cell_backwardIddlLi1EEEvNS_4cuda6detail10TensorInfoIT_T1_EES9_S9_S9_S9_S8_S8_
; %bb.0:
	s_load_dword s2, s[4:5], 0x83c
	s_load_dwordx4 s[8:11], s[4:5], 0x820
	s_add_u32 s0, s4, 0x830
	s_addc_u32 s1, s5, 0
	v_mov_b32_e32 v2, 0
	s_waitcnt lgkmcnt(0)
	s_and_b32 s20, s2, 0xffff
	s_mul_i32 s6, s6, s20
	v_add_u32_e32 v0, s6, v0
	v_mov_b32_e32 v1, v2
	v_cmp_gt_i64_e32 vcc, s[10:11], v[0:1]
	s_and_saveexec_b64 s[2:3], vcc
	s_cbranch_execz .LBB50_7
; %bb.1:
	s_load_dwordx2 s[2:3], s[4:5], 0x0
	s_load_dwordx2 s[6:7], s[4:5], 0xd0
	;; [unrolled: 1-line block ×4, first 2 shown]
	s_load_dword s21, s[0:1], 0x0
	s_load_dwordx2 s[22:23], s[4:5], 0x340
	s_load_dwordx2 s[24:25], s[4:5], 0x410
	;; [unrolled: 1-line block ×6, first 2 shown]
	s_waitcnt lgkmcnt(0)
	v_mul_lo_u32 v3, 0, s24
	v_mul_lo_u32 v6, v0, s25
	v_mad_u64_u32 v[4:5], s[0:1], v0, s24, 0
	s_mul_i32 s33, s21, s20
	v_add3_u32 v5, v5, v6, v3
	v_lshlrev_b64 v[4:5], 3, v[4:5]
	s_mul_i32 s0, s33, s25
	s_mul_hi_u32 s1, s33, s24
	v_mov_b32_e32 v3, s23
	v_add_co_u32_e32 v4, vcc, s22, v4
	s_add_i32 s1, s1, s0
	s_mul_i32 s0, s33, s24
	v_addc_co_u32_e32 v5, vcc, v3, v5, vcc
	s_lshl_b64 s[22:23], s[0:1], 3
	v_mul_lo_u32 v3, 0, s28
	v_mul_lo_u32 v8, v0, s29
	v_mad_u64_u32 v[6:7], s[0:1], v0, s28, 0
	v_add3_u32 v7, v7, v8, v3
	v_lshlrev_b64 v[6:7], 3, v[6:7]
	s_mul_i32 s0, s33, s29
	s_mul_hi_u32 s1, s33, s28
	v_mov_b32_e32 v3, s27
	v_add_co_u32_e32 v6, vcc, s26, v6
	s_add_i32 s1, s1, s0
	s_mul_i32 s0, s33, s28
	s_mov_b32 s36, 0
	s_lshl_b64 s[4:5], s[8:9], 2
	s_lshl_b64 s[20:21], s[8:9], 1
	v_addc_co_u32_e32 v7, vcc, v3, v7, vcc
	s_lshl_b64 s[24:25], s[0:1], 3
	s_mov_b64 s[26:27], 0
	s_ashr_i32 s28, s9, 31
	s_branch .LBB50_3
.LBB50_2:                               ;   in Loop: Header=BB50_3 Depth=1
	s_or_b64 exec, exec, s[0:1]
	v_mad_u64_u32 v[10:11], s[0:1], s4, v8, v[0:1]
	v_mul_lo_u32 v3, s4, v9
	v_mul_lo_u32 v12, s5, v8
	v_add3_u32 v3, v12, v11, v3
	v_mul_lo_u32 v12, v10, s19
	v_mul_lo_u32 v3, v3, s18
	v_mad_u64_u32 v[10:11], s[0:1], v10, s18, 0
	v_add3_u32 v11, v11, v12, v3
	v_lshlrev_b64 v[12:13], 2, v[8:9]
	v_or_b32_e32 v14, 1, v12
	v_mul_lo_u32 v20, s8, v13
	v_mul_lo_u32 v16, s9, v14
	v_mad_u64_u32 v[14:15], s[0:1], s8, v14, v[0:1]
	v_add3_u32 v15, v16, v15, v20
	v_mul_lo_u32 v16, v15, s18
	v_mul_lo_u32 v17, v14, s19
	v_mad_u64_u32 v[14:15], s[0:1], v14, s18, 0
	v_add3_u32 v15, v15, v17, v16
	v_or_b32_e32 v16, 2, v12
	v_mul_lo_u32 v18, s9, v16
	v_mad_u64_u32 v[16:17], s[0:1], s8, v16, v[0:1]
	v_add3_u32 v17, v18, v17, v20
	v_lshlrev_b64 v[10:11], 3, v[10:11]
	v_mul_lo_u32 v18, v17, s18
	v_mul_lo_u32 v19, v16, s19
	v_mad_u64_u32 v[16:17], s[0:1], v16, s18, 0
	v_mov_b32_e32 v3, s17
	v_add_co_u32_e32 v10, vcc, s16, v10
	v_add3_u32 v17, v17, v19, v18
	v_or_b32_e32 v18, 3, v12
	v_addc_co_u32_e32 v11, vcc, v3, v11, vcc
	v_lshlrev_b64 v[14:15], 3, v[14:15]
	v_mul_lo_u32 v21, s9, v18
	v_mad_u64_u32 v[18:19], s[0:1], s8, v18, v[0:1]
	v_add_co_u32_e32 v14, vcc, s16, v14
	v_add3_u32 v19, v21, v19, v20
	v_addc_co_u32_e32 v15, vcc, v3, v15, vcc
	v_lshlrev_b64 v[16:17], 3, v[16:17]
	v_mul_lo_u32 v20, v19, s18
	v_mul_lo_u32 v21, v18, s19
	v_mad_u64_u32 v[18:19], s[0:1], v18, s18, 0
	v_add_co_u32_e32 v16, vcc, s16, v16
	v_add3_u32 v19, v19, v21, v20
	v_addc_co_u32_e32 v17, vcc, v3, v17, vcc
	v_lshlrev_b64 v[18:19], 3, v[18:19]
	v_add_co_u32_e32 v18, vcc, s16, v18
	v_addc_co_u32_e32 v19, vcc, v3, v19, vcc
	global_load_dwordx2 v[20:21], v[10:11], off
	global_load_dwordx2 v[22:23], v[14:15], off
	global_load_dwordx2 v[24:25], v[16:17], off
	global_load_dwordx2 v[26:27], v[18:19], off
	v_add_co_u32_e32 v10, vcc, 4, v12
	v_addc_co_u32_e32 v11, vcc, 0, v13, vcc
	v_mul_lo_u32 v12, s8, v11
	v_mul_lo_u32 v13, s9, v10
	v_mad_u64_u32 v[10:11], s[0:1], s8, v10, v[0:1]
	v_add3_u32 v11, v13, v11, v12
	v_mul_lo_u32 v14, v11, s18
	v_mul_lo_u32 v15, v10, s19
	v_mad_u64_u32 v[10:11], s[0:1], v10, s18, 0
	global_load_dwordx2 v[12:13], v[4:5], off
	v_add3_u32 v11, v11, v15, v14
	v_lshlrev_b64 v[10:11], 3, v[10:11]
	v_add_co_u32_e32 v10, vcc, s16, v10
	v_addc_co_u32_e32 v11, vcc, v3, v11, vcc
	global_load_dwordx2 v[10:11], v[10:11], off
	v_mad_u64_u32 v[14:15], s[0:1], s20, v8, v[0:1]
	v_mul_lo_u32 v3, s20, v9
	v_mul_lo_u32 v16, s21, v8
	v_add3_u32 v3, v16, v15, v3
	v_mul_lo_u32 v15, v14, s7
	v_lshlrev_b64 v[8:9], 1, v[8:9]
	s_waitcnt vmcnt(4)
	v_add_f64 v[18:19], -v[22:23], 1.0
	s_waitcnt vmcnt(2)
	v_add_f64 v[16:17], v[26:27], -v[24:25]
	s_waitcnt vmcnt(1)
	v_mul_f64 v[16:17], v[16:17], v[12:13]
	v_mul_f64 v[16:17], v[18:19], v[16:17]
	;; [unrolled: 1-line block ×5, first 2 shown]
	v_fma_f64 v[18:19], -v[24:25], v[24:25], 1.0
	v_mul_f64 v[12:13], v[18:19], v[12:13]
	s_waitcnt vmcnt(0)
	v_mul_f64 v[10:11], v[10:11], v[12:13]
	v_add_f64 v[24:25], -v[20:21], 1.0
	v_mul_f64 v[10:11], v[24:25], v[10:11]
	v_mul_f64 v[18:19], v[20:21], v[12:13]
	;; [unrolled: 1-line block ×3, first 2 shown]
	v_mul_lo_u32 v24, v3, s6
	v_mad_u64_u32 v[20:21], s[0:1], v14, s6, 0
	v_add3_u32 v21, v21, v15, v24
	v_lshlrev_b64 v[20:21], 3, v[20:21]
	v_mov_b32_e32 v15, s3
	v_add_co_u32_e32 v20, vcc, s2, v20
	v_addc_co_u32_e32 v21, vcc, v15, v21, vcc
	global_store_dwordx2 v[20:21], v[10:11], off
	v_or_b32_e32 v20, 1, v8
	v_mul_lo_u32 v24, s8, v9
	v_mul_lo_u32 v25, s9, v20
	v_mad_u64_u32 v[20:21], s[0:1], s8, v20, v[0:1]
	v_add3_u32 v21, v25, v21, v24
	v_mul_lo_u32 v26, v21, s6
	v_mul_lo_u32 v27, v20, s7
	v_mad_u64_u32 v[24:25], s[0:1], v20, s6, 0
	v_add3_u32 v25, v25, v27, v26
	v_lshlrev_b64 v[24:25], 3, v[24:25]
	v_add_co_u32_e32 v24, vcc, s2, v24
	v_addc_co_u32_e32 v25, vcc, v15, v25, vcc
	v_add_co_u32_e32 v8, vcc, 2, v8
	v_addc_co_u32_e32 v9, vcc, 0, v9, vcc
	global_store_dwordx2 v[24:25], v[16:17], off
	v_mul_lo_u32 v24, s8, v9
	v_mul_lo_u32 v25, s9, v8
	v_mad_u64_u32 v[8:9], s[0:1], s8, v8, v[0:1]
	v_add3_u32 v9, v25, v9, v24
	v_mul_lo_u32 v26, v9, s6
	v_mul_lo_u32 v27, v8, s7
	v_mad_u64_u32 v[24:25], s[0:1], v8, s6, 0
	v_add3_u32 v25, v25, v27, v26
	v_lshlrev_b64 v[24:25], 3, v[24:25]
	v_add_co_u32_e32 v24, vcc, s2, v24
	v_addc_co_u32_e32 v25, vcc, v15, v25, vcc
	global_store_dwordx2 v[24:25], v[12:13], off
	v_mul_lo_u32 v15, v14, s15
	v_mul_lo_u32 v3, v3, s14
	v_mad_u64_u32 v[12:13], s[0:1], v14, s14, 0
	v_add3_u32 v13, v13, v15, v3
	v_lshlrev_b64 v[12:13], 3, v[12:13]
	v_mov_b32_e32 v3, s13
	v_add_co_u32_e32 v12, vcc, s12, v12
	v_addc_co_u32_e32 v13, vcc, v3, v13, vcc
	global_store_dwordx2 v[12:13], v[10:11], off
	v_mul_lo_u32 v12, v21, s14
	v_mul_lo_u32 v13, v20, s15
	v_mad_u64_u32 v[10:11], s[0:1], v20, s14, 0
	v_add3_u32 v11, v11, v13, v12
	v_lshlrev_b64 v[10:11], 3, v[10:11]
	v_add_co_u32_e32 v10, vcc, s12, v10
	v_addc_co_u32_e32 v11, vcc, v3, v11, vcc
	global_store_dwordx2 v[10:11], v[16:17], off
	v_mul_lo_u32 v10, v9, s14
	v_mul_lo_u32 v11, v8, s15
	v_mad_u64_u32 v[8:9], s[0:1], v8, s14, 0
	v_add3_u32 v9, v9, v11, v10
	v_lshlrev_b64 v[8:9], 3, v[8:9]
	v_add_co_u32_e32 v8, vcc, s12, v8
	v_addc_co_u32_e32 v9, vcc, v3, v9, vcc
	v_mov_b32_e32 v3, s36
	v_add_co_u32_e32 v0, vcc, s33, v0
	v_addc_co_u32_e32 v1, vcc, v1, v3, vcc
	v_mov_b32_e32 v3, s23
	v_add_co_u32_e32 v4, vcc, s22, v4
	v_addc_co_u32_e32 v5, vcc, v5, v3, vcc
	v_cmp_le_i64_e32 vcc, s[10:11], v[0:1]
	global_store_dwordx2 v[8:9], v[18:19], off
	global_store_dwordx2 v[6:7], v[22:23], off
	v_mov_b32_e32 v3, s25
	s_or_b64 s[26:27], vcc, s[26:27]
	v_add_co_u32_e32 v6, vcc, s24, v6
	v_addc_co_u32_e32 v7, vcc, v7, v3, vcc
	s_andn2_b64 exec, exec, s[26:27]
	s_cbranch_execz .LBB50_7
.LBB50_3:                               ; =>This Inner Loop Header: Depth=1
	v_or_b32_e32 v3, s9, v1
	v_cmp_ne_u64_e32 vcc, 0, v[2:3]
                                        ; implicit-def: $vgpr8_vgpr9
	s_and_saveexec_b64 s[0:1], vcc
	s_xor_b64 s[30:31], exec, s[0:1]
	s_cbranch_execz .LBB50_5
; %bb.4:                                ;   in Loop: Header=BB50_3 Depth=1
	s_add_u32 s0, s8, s28
	s_mov_b32 s29, s28
	s_addc_u32 s1, s9, s28
	s_xor_b64 s[34:35], s[0:1], s[28:29]
	v_cvt_f32_u32_e32 v3, s34
	v_cvt_f32_u32_e32 v8, s35
	s_sub_u32 s0, 0, s34
	s_subb_u32 s1, 0, s35
	v_mac_f32_e32 v3, 0x4f800000, v8
	v_rcp_f32_e32 v3, v3
	v_mul_f32_e32 v3, 0x5f7ffffc, v3
	v_mul_f32_e32 v8, 0x2f800000, v3
	v_trunc_f32_e32 v8, v8
	v_mac_f32_e32 v3, 0xcf800000, v8
	v_cvt_u32_f32_e32 v8, v8
	v_cvt_u32_f32_e32 v3, v3
	v_mul_lo_u32 v9, s0, v8
	v_mul_hi_u32 v11, s0, v3
	v_mul_lo_u32 v10, s1, v3
	v_add_u32_e32 v9, v11, v9
	v_mul_lo_u32 v12, s0, v3
	v_add_u32_e32 v9, v9, v10
	v_mul_lo_u32 v11, v3, v9
	v_mul_hi_u32 v13, v3, v12
	v_mul_hi_u32 v10, v3, v9
	v_add_co_u32_e32 v11, vcc, v13, v11
	v_addc_co_u32_e32 v10, vcc, 0, v10, vcc
	v_mul_hi_u32 v14, v8, v12
	v_mul_lo_u32 v12, v8, v12
	v_add_co_u32_e32 v11, vcc, v11, v12
	v_mul_hi_u32 v13, v8, v9
	v_addc_co_u32_e32 v10, vcc, v10, v14, vcc
	v_addc_co_u32_e32 v11, vcc, 0, v13, vcc
	v_mul_lo_u32 v9, v8, v9
	v_add_co_u32_e32 v9, vcc, v10, v9
	v_addc_co_u32_e32 v10, vcc, 0, v11, vcc
	v_add_co_u32_e32 v3, vcc, v3, v9
	v_addc_co_u32_e32 v8, vcc, v8, v10, vcc
	v_mul_lo_u32 v9, s0, v8
	v_mul_hi_u32 v10, s0, v3
	v_add_u32_e32 v9, v10, v9
	v_mul_lo_u32 v10, s1, v3
	v_add_u32_e32 v9, v9, v10
	v_mul_lo_u32 v11, s0, v3
	v_mul_hi_u32 v12, v8, v11
	v_mul_lo_u32 v13, v8, v11
	v_mul_lo_u32 v15, v3, v9
	v_mul_hi_u32 v11, v3, v11
	v_mul_hi_u32 v14, v3, v9
	v_add_co_u32_e32 v11, vcc, v11, v15
	v_addc_co_u32_e32 v14, vcc, 0, v14, vcc
	v_add_co_u32_e32 v11, vcc, v11, v13
	v_mul_hi_u32 v10, v8, v9
	v_addc_co_u32_e32 v11, vcc, v14, v12, vcc
	v_addc_co_u32_e32 v10, vcc, 0, v10, vcc
	v_mul_lo_u32 v9, v8, v9
	v_add_co_u32_e32 v9, vcc, v11, v9
	v_addc_co_u32_e32 v10, vcc, 0, v10, vcc
	v_add_co_u32_e32 v3, vcc, v3, v9
	v_addc_co_u32_e32 v10, vcc, v8, v10, vcc
	v_ashrrev_i32_e32 v12, 31, v1
	v_add_co_u32_e32 v8, vcc, v0, v12
	v_addc_co_u32_e32 v9, vcc, v1, v12, vcc
	v_xor_b32_e32 v14, v8, v12
	v_xor_b32_e32 v13, v9, v12
	v_mad_u64_u32 v[8:9], s[0:1], v14, v10, 0
	v_mul_hi_u32 v11, v14, v3
	v_add_co_u32_e32 v15, vcc, v11, v8
	v_addc_co_u32_e32 v16, vcc, 0, v9, vcc
	v_mad_u64_u32 v[8:9], s[0:1], v13, v10, 0
	v_mad_u64_u32 v[10:11], s[0:1], v13, v3, 0
	v_add_co_u32_e32 v3, vcc, v15, v10
	v_addc_co_u32_e32 v3, vcc, v16, v11, vcc
	v_addc_co_u32_e32 v9, vcc, 0, v9, vcc
	v_add_co_u32_e32 v3, vcc, v3, v8
	v_addc_co_u32_e32 v10, vcc, 0, v9, vcc
	v_mul_lo_u32 v11, s35, v3
	v_mul_lo_u32 v15, s34, v10
	v_mad_u64_u32 v[8:9], s[0:1], s34, v3, 0
	v_add3_u32 v9, v9, v15, v11
	v_sub_u32_e32 v11, v13, v9
	v_mov_b32_e32 v15, s35
	v_sub_co_u32_e32 v8, vcc, v14, v8
	v_subb_co_u32_e64 v11, s[0:1], v11, v15, vcc
	v_subrev_co_u32_e64 v14, s[0:1], s34, v8
	v_subbrev_co_u32_e64 v11, s[0:1], 0, v11, s[0:1]
	v_cmp_le_u32_e64 s[0:1], s35, v11
	v_cndmask_b32_e64 v15, 0, -1, s[0:1]
	v_cmp_le_u32_e64 s[0:1], s34, v14
	v_cndmask_b32_e64 v14, 0, -1, s[0:1]
	v_cmp_eq_u32_e64 s[0:1], s35, v11
	v_cndmask_b32_e64 v11, v15, v14, s[0:1]
	v_add_co_u32_e64 v14, s[0:1], 2, v3
	v_subb_co_u32_e32 v9, vcc, v13, v9, vcc
	v_addc_co_u32_e64 v15, s[0:1], 0, v10, s[0:1]
	v_cmp_le_u32_e32 vcc, s35, v9
	v_add_co_u32_e64 v16, s[0:1], 1, v3
	v_cndmask_b32_e64 v13, 0, -1, vcc
	v_cmp_le_u32_e32 vcc, s34, v8
	v_addc_co_u32_e64 v17, s[0:1], 0, v10, s[0:1]
	v_cndmask_b32_e64 v8, 0, -1, vcc
	v_cmp_eq_u32_e32 vcc, s35, v9
	v_cmp_ne_u32_e64 s[0:1], 0, v11
	v_cndmask_b32_e32 v8, v13, v8, vcc
	v_cmp_ne_u32_e32 vcc, 0, v8
	v_cndmask_b32_e64 v9, v16, v14, s[0:1]
	v_cndmask_b32_e64 v11, v17, v15, s[0:1]
	v_cndmask_b32_e32 v3, v3, v9, vcc
	v_xor_b32_e32 v9, s28, v12
	v_cndmask_b32_e32 v8, v10, v11, vcc
	v_xor_b32_e32 v3, v3, v9
	v_xor_b32_e32 v10, v8, v9
	v_sub_co_u32_e32 v8, vcc, v3, v9
	v_subb_co_u32_e32 v9, vcc, v10, v9, vcc
.LBB50_5:                               ;   in Loop: Header=BB50_3 Depth=1
	s_andn2_saveexec_b64 s[0:1], s[30:31]
	s_cbranch_execz .LBB50_2
; %bb.6:                                ;   in Loop: Header=BB50_3 Depth=1
	v_cvt_f32_u32_e32 v3, s8
	s_sub_i32 s29, 0, s8
	v_rcp_iflag_f32_e32 v3, v3
	v_mul_f32_e32 v3, 0x4f7ffffe, v3
	v_cvt_u32_f32_e32 v3, v3
	v_mul_lo_u32 v8, s29, v3
	v_mul_hi_u32 v8, v3, v8
	v_add_u32_e32 v3, v3, v8
	v_mul_hi_u32 v3, v0, v3
	v_mul_lo_u32 v8, v3, s8
	v_sub_u32_e32 v8, v0, v8
	v_add_u32_e32 v9, 1, v3
	v_subrev_u32_e32 v10, s8, v8
	v_cmp_le_u32_e32 vcc, s8, v8
	v_cndmask_b32_e32 v8, v8, v10, vcc
	v_cndmask_b32_e32 v3, v3, v9, vcc
	v_add_u32_e32 v9, 1, v3
	v_cmp_le_u32_e32 vcc, s8, v8
	v_cndmask_b32_e32 v8, v3, v9, vcc
	v_mov_b32_e32 v9, v2
	s_branch .LBB50_2
.LBB50_7:
	s_endpgm
	.section	.rodata,"a",@progbits
	.p2align	6, 0x0
	.amdhsa_kernel _ZN2at6native12_GLOBAL__N_16kernel17gru_cell_backwardIddlLi1EEEvNS_4cuda6detail10TensorInfoIT_T1_EES9_S9_S9_S9_S8_S8_
		.amdhsa_group_segment_fixed_size 0
		.amdhsa_private_segment_fixed_size 0
		.amdhsa_kernarg_size 2352
		.amdhsa_user_sgpr_count 6
		.amdhsa_user_sgpr_private_segment_buffer 1
		.amdhsa_user_sgpr_dispatch_ptr 0
		.amdhsa_user_sgpr_queue_ptr 0
		.amdhsa_user_sgpr_kernarg_segment_ptr 1
		.amdhsa_user_sgpr_dispatch_id 0
		.amdhsa_user_sgpr_flat_scratch_init 0
		.amdhsa_user_sgpr_kernarg_preload_length 0
		.amdhsa_user_sgpr_kernarg_preload_offset 0
		.amdhsa_user_sgpr_private_segment_size 0
		.amdhsa_uses_dynamic_stack 0
		.amdhsa_system_sgpr_private_segment_wavefront_offset 0
		.amdhsa_system_sgpr_workgroup_id_x 1
		.amdhsa_system_sgpr_workgroup_id_y 0
		.amdhsa_system_sgpr_workgroup_id_z 0
		.amdhsa_system_sgpr_workgroup_info 0
		.amdhsa_system_vgpr_workitem_id 0
		.amdhsa_next_free_vgpr 28
		.amdhsa_next_free_sgpr 37
		.amdhsa_accum_offset 28
		.amdhsa_reserve_vcc 1
		.amdhsa_reserve_flat_scratch 0
		.amdhsa_float_round_mode_32 0
		.amdhsa_float_round_mode_16_64 0
		.amdhsa_float_denorm_mode_32 3
		.amdhsa_float_denorm_mode_16_64 3
		.amdhsa_dx10_clamp 1
		.amdhsa_ieee_mode 1
		.amdhsa_fp16_overflow 0
		.amdhsa_tg_split 0
		.amdhsa_exception_fp_ieee_invalid_op 0
		.amdhsa_exception_fp_denorm_src 0
		.amdhsa_exception_fp_ieee_div_zero 0
		.amdhsa_exception_fp_ieee_overflow 0
		.amdhsa_exception_fp_ieee_underflow 0
		.amdhsa_exception_fp_ieee_inexact 0
		.amdhsa_exception_int_div_zero 0
	.end_amdhsa_kernel
	.section	.text._ZN2at6native12_GLOBAL__N_16kernel17gru_cell_backwardIddlLi1EEEvNS_4cuda6detail10TensorInfoIT_T1_EES9_S9_S9_S9_S8_S8_,"axG",@progbits,_ZN2at6native12_GLOBAL__N_16kernel17gru_cell_backwardIddlLi1EEEvNS_4cuda6detail10TensorInfoIT_T1_EES9_S9_S9_S9_S8_S8_,comdat
.Lfunc_end50:
	.size	_ZN2at6native12_GLOBAL__N_16kernel17gru_cell_backwardIddlLi1EEEvNS_4cuda6detail10TensorInfoIT_T1_EES9_S9_S9_S9_S8_S8_, .Lfunc_end50-_ZN2at6native12_GLOBAL__N_16kernel17gru_cell_backwardIddlLi1EEEvNS_4cuda6detail10TensorInfoIT_T1_EES9_S9_S9_S9_S8_S8_
                                        ; -- End function
	.section	.AMDGPU.csdata,"",@progbits
; Kernel info:
; codeLenInByte = 2248
; NumSgprs: 41
; NumVgprs: 28
; NumAgprs: 0
; TotalNumVgprs: 28
; ScratchSize: 0
; MemoryBound: 0
; FloatMode: 240
; IeeeMode: 1
; LDSByteSize: 0 bytes/workgroup (compile time only)
; SGPRBlocks: 5
; VGPRBlocks: 3
; NumSGPRsForWavesPerEU: 41
; NumVGPRsForWavesPerEU: 28
; AccumOffset: 28
; Occupancy: 8
; WaveLimiterHint : 1
; COMPUTE_PGM_RSRC2:SCRATCH_EN: 0
; COMPUTE_PGM_RSRC2:USER_SGPR: 6
; COMPUTE_PGM_RSRC2:TRAP_HANDLER: 0
; COMPUTE_PGM_RSRC2:TGID_X_EN: 1
; COMPUTE_PGM_RSRC2:TGID_Y_EN: 0
; COMPUTE_PGM_RSRC2:TGID_Z_EN: 0
; COMPUTE_PGM_RSRC2:TIDIG_COMP_CNT: 0
; COMPUTE_PGM_RSRC3_GFX90A:ACCUM_OFFSET: 6
; COMPUTE_PGM_RSRC3_GFX90A:TG_SPLIT: 0
	.section	.text._ZN2at6native12_GLOBAL__N_16kernel17gru_cell_backwardIddlLi2EEEvNS_4cuda6detail10TensorInfoIT_T1_EES9_S9_S9_S9_S8_S8_,"axG",@progbits,_ZN2at6native12_GLOBAL__N_16kernel17gru_cell_backwardIddlLi2EEEvNS_4cuda6detail10TensorInfoIT_T1_EES9_S9_S9_S9_S8_S8_,comdat
	.globl	_ZN2at6native12_GLOBAL__N_16kernel17gru_cell_backwardIddlLi2EEEvNS_4cuda6detail10TensorInfoIT_T1_EES9_S9_S9_S9_S8_S8_ ; -- Begin function _ZN2at6native12_GLOBAL__N_16kernel17gru_cell_backwardIddlLi2EEEvNS_4cuda6detail10TensorInfoIT_T1_EES9_S9_S9_S9_S8_S8_
	.p2align	8
	.type	_ZN2at6native12_GLOBAL__N_16kernel17gru_cell_backwardIddlLi2EEEvNS_4cuda6detail10TensorInfoIT_T1_EES9_S9_S9_S9_S8_S8_,@function
_ZN2at6native12_GLOBAL__N_16kernel17gru_cell_backwardIddlLi2EEEvNS_4cuda6detail10TensorInfoIT_T1_EES9_S9_S9_S9_S8_S8_: ; @_ZN2at6native12_GLOBAL__N_16kernel17gru_cell_backwardIddlLi2EEEvNS_4cuda6detail10TensorInfoIT_T1_EES9_S9_S9_S9_S8_S8_
; %bb.0:
	s_load_dword s2, s[4:5], 0x83c
	s_load_dwordx4 s[8:11], s[4:5], 0x820
	s_add_u32 s0, s4, 0x830
	s_addc_u32 s1, s5, 0
	v_mov_b32_e32 v2, 0
	s_waitcnt lgkmcnt(0)
	s_and_b32 s33, s2, 0xffff
	s_mul_i32 s6, s6, s33
	v_add_u32_e32 v0, s6, v0
	v_mov_b32_e32 v1, v2
	v_cmp_gt_i64_e32 vcc, s[10:11], v[0:1]
	s_and_saveexec_b64 s[2:3], vcc
	s_cbranch_execz .LBB51_59
; %bb.1:
	v_cvt_f32_u32_e32 v3, s8
	s_load_dwordx2 s[2:3], s[4:5], 0x0
	s_load_dwordx2 s[28:29], s[4:5], 0x10
	s_load_dwordx4 s[12:15], s[4:5], 0xd0
	s_load_dwordx2 s[30:31], s[4:5], 0x1a0
	s_load_dwordx2 s[34:35], s[4:5], 0x1b0
	s_load_dwordx4 s[16:19], s[4:5], 0x270
	;; [unrolled: 3-line block ×4, first 2 shown]
	s_load_dword s48, s[0:1], 0x0
	s_load_dwordx2 s[44:45], s[4:5], 0x680
	s_load_dwordx2 s[46:47], s[4:5], 0x690
                                        ; kill: killed $sgpr0 killed $sgpr1
	s_nop 0
	s_load_dwordx4 s[4:7], s[4:5], 0x750
	s_waitcnt lgkmcnt(0)
	s_mul_i32 s33, s48, s33
	s_lshl_b64 s[48:49], s[8:9], 2
	v_rcp_iflag_f32_e32 v3, v3
	s_lshl_b64 s[50:51], s[8:9], 1
	s_sub_u32 s61, 0, s38
	s_subb_u32 s62, 0, s39
	v_mul_f32_e32 v3, 0x4f7ffffe, v3
	v_cvt_u32_f32_e32 v32, v3
	s_sub_u32 s63, 0, s42
	s_mov_b32 s60, 0
	s_mov_b64 s[52:53], 0
	s_subb_u32 s64, 0, s43
	s_branch .LBB51_3
.LBB51_2:                               ;   in Loop: Header=BB51_3 Depth=1
	s_or_b64 exec, exec, s[0:1]
	v_mul_f64 v[6:7], v[6:7], v[10:11]
	v_mad_u64_u32 v[8:9], s[0:1], s63, v4, v[0:1]
	v_mul_lo_u32 v3, s63, v5
	v_mul_lo_u32 v10, s64, v4
	v_add3_u32 v3, v10, v9, v3
	v_mul_lo_u32 v10, v8, s27
	v_mul_lo_u32 v3, v3, s26
	v_mad_u64_u32 v[8:9], s[0:1], v8, s26, 0
	v_add3_u32 v9, v9, v10, v3
	v_mul_lo_u32 v3, v5, s24
	v_mul_lo_u32 v10, v4, s25
	v_mad_u64_u32 v[4:5], s[0:1], v4, s24, 0
	v_add3_u32 v5, v5, v10, v3
	v_lshlrev_b64 v[4:5], 3, v[4:5]
	v_mov_b32_e32 v3, s41
	v_add_co_u32_e32 v10, vcc, s40, v4
	v_addc_co_u32_e32 v3, vcc, v3, v5, vcc
	v_lshlrev_b64 v[4:5], 3, v[8:9]
	v_add_co_u32_e32 v4, vcc, v10, v4
	v_addc_co_u32_e32 v5, vcc, v3, v5, vcc
	v_mov_b32_e32 v3, s60
	v_add_co_u32_e32 v0, vcc, s33, v0
	v_addc_co_u32_e32 v1, vcc, v1, v3, vcc
	v_cmp_le_i64_e32 vcc, s[10:11], v[0:1]
	s_or_b64 s[52:53], vcc, s[52:53]
	global_store_dwordx2 v[4:5], v[6:7], off
	s_andn2_b64 exec, exec, s[52:53]
	s_cbranch_execz .LBB51_59
.LBB51_3:                               ; =>This Inner Loop Header: Depth=1
	v_or_b32_e32 v3, s9, v1
	v_cmp_ne_u64_e32 vcc, 0, v[2:3]
	v_ashrrev_i32_e32 v33, 31, v1
                                        ; implicit-def: $vgpr8_vgpr9
	s_and_saveexec_b64 s[0:1], vcc
	s_xor_b64 s[54:55], exec, s[0:1]
	s_cbranch_execz .LBB51_5
; %bb.4:                                ;   in Loop: Header=BB51_3 Depth=1
	s_ashr_i32 s56, s9, 31
	s_add_u32 s0, s8, s56
	s_mov_b32 s57, s56
	s_addc_u32 s1, s9, s56
	s_xor_b64 s[58:59], s[0:1], s[56:57]
	v_cvt_f32_u32_e32 v3, s58
	v_cvt_f32_u32_e32 v4, s59
	s_sub_u32 s0, 0, s58
	s_subb_u32 s1, 0, s59
	v_mac_f32_e32 v3, 0x4f800000, v4
	v_rcp_f32_e32 v3, v3
	v_mul_f32_e32 v3, 0x5f7ffffc, v3
	v_mul_f32_e32 v4, 0x2f800000, v3
	v_trunc_f32_e32 v4, v4
	v_mac_f32_e32 v3, 0xcf800000, v4
	v_cvt_u32_f32_e32 v4, v4
	v_cvt_u32_f32_e32 v3, v3
	v_mul_lo_u32 v5, s0, v4
	v_mul_hi_u32 v7, s0, v3
	v_mul_lo_u32 v6, s1, v3
	v_add_u32_e32 v5, v7, v5
	v_mul_lo_u32 v8, s0, v3
	v_add_u32_e32 v5, v5, v6
	v_mul_lo_u32 v7, v3, v5
	v_mul_hi_u32 v9, v3, v8
	v_mul_hi_u32 v6, v3, v5
	v_add_co_u32_e32 v7, vcc, v9, v7
	v_addc_co_u32_e32 v6, vcc, 0, v6, vcc
	v_mul_hi_u32 v10, v4, v8
	v_mul_lo_u32 v8, v4, v8
	v_add_co_u32_e32 v7, vcc, v7, v8
	v_mul_hi_u32 v9, v4, v5
	v_addc_co_u32_e32 v6, vcc, v6, v10, vcc
	v_addc_co_u32_e32 v7, vcc, 0, v9, vcc
	v_mul_lo_u32 v5, v4, v5
	v_add_co_u32_e32 v5, vcc, v6, v5
	v_addc_co_u32_e32 v6, vcc, 0, v7, vcc
	v_add_co_u32_e32 v3, vcc, v3, v5
	v_addc_co_u32_e32 v4, vcc, v4, v6, vcc
	v_mul_lo_u32 v5, s0, v4
	v_mul_hi_u32 v6, s0, v3
	v_add_u32_e32 v5, v6, v5
	v_mul_lo_u32 v6, s1, v3
	v_add_u32_e32 v5, v5, v6
	v_mul_lo_u32 v7, s0, v3
	v_mul_hi_u32 v8, v4, v7
	v_mul_lo_u32 v9, v4, v7
	v_mul_lo_u32 v11, v3, v5
	v_mul_hi_u32 v7, v3, v7
	v_mul_hi_u32 v10, v3, v5
	v_add_co_u32_e32 v7, vcc, v7, v11
	v_addc_co_u32_e32 v10, vcc, 0, v10, vcc
	v_add_co_u32_e32 v7, vcc, v7, v9
	v_mul_hi_u32 v6, v4, v5
	v_addc_co_u32_e32 v7, vcc, v10, v8, vcc
	v_addc_co_u32_e32 v6, vcc, 0, v6, vcc
	v_mul_lo_u32 v5, v4, v5
	v_add_co_u32_e32 v5, vcc, v7, v5
	v_addc_co_u32_e32 v6, vcc, 0, v6, vcc
	v_add_co_u32_e32 v3, vcc, v3, v5
	v_addc_co_u32_e32 v6, vcc, v4, v6, vcc
	;; [unrolled: 2-line block ×3, first 2 shown]
	v_xor_b32_e32 v9, v4, v33
	v_xor_b32_e32 v8, v5, v33
	v_mad_u64_u32 v[4:5], s[0:1], v9, v6, 0
	v_mul_hi_u32 v7, v9, v3
	v_add_co_u32_e32 v10, vcc, v7, v4
	v_addc_co_u32_e32 v11, vcc, 0, v5, vcc
	v_mad_u64_u32 v[4:5], s[0:1], v8, v6, 0
	v_mad_u64_u32 v[6:7], s[0:1], v8, v3, 0
	v_add_co_u32_e32 v3, vcc, v10, v6
	v_addc_co_u32_e32 v3, vcc, v11, v7, vcc
	v_addc_co_u32_e32 v5, vcc, 0, v5, vcc
	v_add_co_u32_e32 v3, vcc, v3, v4
	v_addc_co_u32_e32 v6, vcc, 0, v5, vcc
	v_mul_lo_u32 v7, s59, v3
	v_mul_lo_u32 v10, s58, v6
	v_mad_u64_u32 v[4:5], s[0:1], s58, v3, 0
	v_add3_u32 v5, v5, v10, v7
	v_sub_u32_e32 v7, v8, v5
	v_mov_b32_e32 v10, s59
	v_sub_co_u32_e32 v4, vcc, v9, v4
	v_subb_co_u32_e64 v7, s[0:1], v7, v10, vcc
	v_subrev_co_u32_e64 v9, s[0:1], s58, v4
	v_subbrev_co_u32_e64 v7, s[0:1], 0, v7, s[0:1]
	v_cmp_le_u32_e64 s[0:1], s59, v7
	v_cndmask_b32_e64 v10, 0, -1, s[0:1]
	v_cmp_le_u32_e64 s[0:1], s58, v9
	v_cndmask_b32_e64 v9, 0, -1, s[0:1]
	v_cmp_eq_u32_e64 s[0:1], s59, v7
	v_cndmask_b32_e64 v7, v10, v9, s[0:1]
	v_add_co_u32_e64 v9, s[0:1], 2, v3
	v_subb_co_u32_e32 v5, vcc, v8, v5, vcc
	v_addc_co_u32_e64 v10, s[0:1], 0, v6, s[0:1]
	v_cmp_le_u32_e32 vcc, s59, v5
	v_add_co_u32_e64 v11, s[0:1], 1, v3
	v_cndmask_b32_e64 v8, 0, -1, vcc
	v_cmp_le_u32_e32 vcc, s58, v4
	v_addc_co_u32_e64 v12, s[0:1], 0, v6, s[0:1]
	v_cndmask_b32_e64 v4, 0, -1, vcc
	v_cmp_eq_u32_e32 vcc, s59, v5
	v_cmp_ne_u32_e64 s[0:1], 0, v7
	v_cndmask_b32_e32 v4, v8, v4, vcc
	v_cmp_ne_u32_e32 vcc, 0, v4
	v_cndmask_b32_e64 v5, v11, v9, s[0:1]
	v_cndmask_b32_e64 v7, v12, v10, s[0:1]
	v_cndmask_b32_e32 v3, v3, v5, vcc
	v_xor_b32_e32 v5, s56, v33
	v_cndmask_b32_e32 v4, v6, v7, vcc
	v_xor_b32_e32 v3, v3, v5
	v_xor_b32_e32 v4, v4, v5
	v_sub_co_u32_e32 v8, vcc, v3, v5
	v_subb_co_u32_e32 v9, vcc, v4, v5, vcc
.LBB51_5:                               ;   in Loop: Header=BB51_3 Depth=1
	s_andn2_saveexec_b64 s[0:1], s[54:55]
	s_cbranch_execz .LBB51_7
; %bb.6:                                ;   in Loop: Header=BB51_3 Depth=1
	s_sub_i32 s54, 0, s8
	v_mul_lo_u32 v3, s54, v32
	v_mul_hi_u32 v3, v32, v3
	v_add_u32_e32 v3, v32, v3
	v_mul_hi_u32 v3, v0, v3
	v_mul_lo_u32 v4, v3, s8
	v_sub_u32_e32 v4, v0, v4
	v_subrev_u32_e32 v5, s8, v4
	v_cmp_le_u32_e32 vcc, s8, v4
	v_cndmask_b32_e32 v4, v4, v5, vcc
	v_add_u32_e32 v5, 1, v3
	v_cndmask_b32_e32 v3, v3, v5, vcc
	v_add_u32_e32 v5, 1, v3
	v_cmp_le_u32_e32 vcc, s8, v4
	v_cndmask_b32_e32 v8, v3, v5, vcc
	v_mov_b32_e32 v9, v2
.LBB51_7:                               ;   in Loop: Header=BB51_3 Depth=1
	s_or_b64 exec, exec, s[0:1]
	v_mul_lo_u32 v10, s49, v8
	v_mul_lo_u32 v11, s48, v9
	v_mad_u64_u32 v[4:5], s[0:1], s48, v8, v[0:1]
	v_add3_u32 v5, v10, v5, v11
	v_or_b32_e32 v3, s47, v5
	v_cmp_ne_u64_e32 vcc, 0, v[2:3]
                                        ; implicit-def: $vgpr6_vgpr7
	s_and_saveexec_b64 s[0:1], vcc
	s_xor_b64 s[54:55], exec, s[0:1]
	s_cbranch_execz .LBB51_9
; %bb.8:                                ;   in Loop: Header=BB51_3 Depth=1
	s_ashr_i32 s56, s47, 31
	s_add_u32 s0, s46, s56
	s_mov_b32 s57, s56
	s_addc_u32 s1, s47, s56
	s_xor_b64 s[58:59], s[0:1], s[56:57]
	v_cvt_f32_u32_e32 v3, s58
	v_cvt_f32_u32_e32 v6, s59
	s_sub_u32 s0, 0, s58
	s_subb_u32 s1, 0, s59
	v_mac_f32_e32 v3, 0x4f800000, v6
	v_rcp_f32_e32 v3, v3
	v_mul_f32_e32 v3, 0x5f7ffffc, v3
	v_mul_f32_e32 v6, 0x2f800000, v3
	v_trunc_f32_e32 v6, v6
	v_mac_f32_e32 v3, 0xcf800000, v6
	v_cvt_u32_f32_e32 v6, v6
	v_cvt_u32_f32_e32 v3, v3
	v_mul_lo_u32 v7, s0, v6
	v_mul_hi_u32 v13, s0, v3
	v_mul_lo_u32 v12, s1, v3
	v_add_u32_e32 v7, v13, v7
	v_mul_lo_u32 v14, s0, v3
	v_add_u32_e32 v7, v7, v12
	v_mul_lo_u32 v13, v3, v7
	v_mul_hi_u32 v15, v3, v14
	v_mul_hi_u32 v12, v3, v7
	v_add_co_u32_e32 v13, vcc, v15, v13
	v_addc_co_u32_e32 v12, vcc, 0, v12, vcc
	v_mul_hi_u32 v16, v6, v14
	v_mul_lo_u32 v14, v6, v14
	v_add_co_u32_e32 v13, vcc, v13, v14
	v_mul_hi_u32 v15, v6, v7
	v_addc_co_u32_e32 v12, vcc, v12, v16, vcc
	v_addc_co_u32_e32 v13, vcc, 0, v15, vcc
	v_mul_lo_u32 v7, v6, v7
	v_add_co_u32_e32 v7, vcc, v12, v7
	v_addc_co_u32_e32 v12, vcc, 0, v13, vcc
	v_add_co_u32_e32 v3, vcc, v3, v7
	v_addc_co_u32_e32 v6, vcc, v6, v12, vcc
	v_mul_lo_u32 v7, s0, v6
	v_mul_hi_u32 v12, s0, v3
	v_add_u32_e32 v7, v12, v7
	v_mul_lo_u32 v12, s1, v3
	v_add_u32_e32 v7, v7, v12
	v_mul_lo_u32 v13, s0, v3
	v_mul_hi_u32 v14, v6, v13
	v_mul_lo_u32 v15, v6, v13
	v_mul_lo_u32 v17, v3, v7
	v_mul_hi_u32 v13, v3, v13
	v_mul_hi_u32 v16, v3, v7
	v_add_co_u32_e32 v13, vcc, v13, v17
	v_addc_co_u32_e32 v16, vcc, 0, v16, vcc
	v_add_co_u32_e32 v13, vcc, v13, v15
	v_mul_hi_u32 v12, v6, v7
	v_addc_co_u32_e32 v13, vcc, v16, v14, vcc
	v_addc_co_u32_e32 v12, vcc, 0, v12, vcc
	v_mul_lo_u32 v7, v6, v7
	v_add_co_u32_e32 v7, vcc, v13, v7
	v_addc_co_u32_e32 v12, vcc, 0, v12, vcc
	v_add_co_u32_e32 v3, vcc, v3, v7
	v_addc_co_u32_e32 v6, vcc, v6, v12, vcc
	v_ashrrev_i32_e32 v12, 31, v5
	v_add_co_u32_e32 v4, vcc, v4, v12
	v_addc_co_u32_e32 v5, vcc, v5, v12, vcc
	v_xor_b32_e32 v14, v4, v12
	v_xor_b32_e32 v13, v5, v12
	v_mad_u64_u32 v[4:5], s[0:1], v14, v6, 0
	v_mul_hi_u32 v7, v14, v3
	v_add_co_u32_e32 v15, vcc, v7, v4
	v_addc_co_u32_e32 v16, vcc, 0, v5, vcc
	v_mad_u64_u32 v[4:5], s[0:1], v13, v6, 0
	v_mad_u64_u32 v[6:7], s[0:1], v13, v3, 0
	v_add_co_u32_e32 v3, vcc, v15, v6
	v_addc_co_u32_e32 v3, vcc, v16, v7, vcc
	v_addc_co_u32_e32 v5, vcc, 0, v5, vcc
	v_add_co_u32_e32 v3, vcc, v3, v4
	v_addc_co_u32_e32 v6, vcc, 0, v5, vcc
	v_mul_lo_u32 v7, s59, v3
	v_mul_lo_u32 v15, s58, v6
	v_mad_u64_u32 v[4:5], s[0:1], s58, v3, 0
	v_add3_u32 v5, v5, v15, v7
	v_sub_u32_e32 v7, v13, v5
	v_mov_b32_e32 v15, s59
	v_sub_co_u32_e32 v4, vcc, v14, v4
	v_subb_co_u32_e64 v7, s[0:1], v7, v15, vcc
	v_subrev_co_u32_e64 v14, s[0:1], s58, v4
	v_subbrev_co_u32_e64 v7, s[0:1], 0, v7, s[0:1]
	v_cmp_le_u32_e64 s[0:1], s59, v7
	v_cndmask_b32_e64 v15, 0, -1, s[0:1]
	v_cmp_le_u32_e64 s[0:1], s58, v14
	v_cndmask_b32_e64 v14, 0, -1, s[0:1]
	v_cmp_eq_u32_e64 s[0:1], s59, v7
	v_cndmask_b32_e64 v7, v15, v14, s[0:1]
	v_add_co_u32_e64 v14, s[0:1], 2, v3
	v_subb_co_u32_e32 v5, vcc, v13, v5, vcc
	v_addc_co_u32_e64 v15, s[0:1], 0, v6, s[0:1]
	v_cmp_le_u32_e32 vcc, s59, v5
	v_add_co_u32_e64 v16, s[0:1], 1, v3
	v_cndmask_b32_e64 v13, 0, -1, vcc
	v_cmp_le_u32_e32 vcc, s58, v4
	v_addc_co_u32_e64 v17, s[0:1], 0, v6, s[0:1]
	v_cndmask_b32_e64 v4, 0, -1, vcc
	v_cmp_eq_u32_e32 vcc, s59, v5
	v_cmp_ne_u32_e64 s[0:1], 0, v7
	v_cndmask_b32_e32 v4, v13, v4, vcc
	v_cmp_ne_u32_e32 vcc, 0, v4
	v_cndmask_b32_e64 v5, v16, v14, s[0:1]
	v_cndmask_b32_e64 v7, v17, v15, s[0:1]
	v_cndmask_b32_e32 v3, v3, v5, vcc
	v_xor_b32_e32 v5, s56, v12
	v_cndmask_b32_e32 v4, v6, v7, vcc
	v_xor_b32_e32 v3, v3, v5
	v_xor_b32_e32 v4, v4, v5
	v_sub_co_u32_e32 v6, vcc, v3, v5
	v_subb_co_u32_e32 v7, vcc, v4, v5, vcc
                                        ; implicit-def: $vgpr4_vgpr5
.LBB51_9:                               ;   in Loop: Header=BB51_3 Depth=1
	s_or_saveexec_b64 s[0:1], s[54:55]
	v_cvt_f32_u32_e32 v18, s46
	s_xor_b64 exec, exec, s[0:1]
	s_cbranch_execz .LBB51_11
; %bb.10:                               ;   in Loop: Header=BB51_3 Depth=1
	v_rcp_iflag_f32_e32 v3, v18
	s_sub_i32 s54, 0, s46
	v_mov_b32_e32 v7, v2
	v_mul_f32_e32 v3, 0x4f7ffffe, v3
	v_cvt_u32_f32_e32 v3, v3
	v_mul_lo_u32 v5, s54, v3
	v_mul_hi_u32 v5, v3, v5
	v_add_u32_e32 v3, v3, v5
	v_mul_hi_u32 v3, v4, v3
	v_mul_lo_u32 v5, v3, s46
	v_sub_u32_e32 v4, v4, v5
	v_add_u32_e32 v6, 1, v3
	v_subrev_u32_e32 v5, s46, v4
	v_cmp_le_u32_e32 vcc, s46, v4
	v_cndmask_b32_e32 v4, v4, v5, vcc
	v_cndmask_b32_e32 v3, v3, v6, vcc
	v_add_u32_e32 v5, 1, v3
	v_cmp_le_u32_e32 vcc, s46, v4
	v_cndmask_b32_e32 v6, v3, v5, vcc
.LBB51_11:                              ;   in Loop: Header=BB51_3 Depth=1
	s_or_b64 exec, exec, s[0:1]
	v_mad_u64_u32 v[4:5], s[0:1], s48, v8, 0
	v_add3_u32 v3, v5, v11, v10
	v_mul_lo_u32 v5, v7, s46
	v_mul_lo_u32 v12, v6, s47
	v_mad_u64_u32 v[10:11], s[0:1], v6, s46, 0
	v_add3_u32 v5, v11, v12, v5
	v_sub_co_u32_e32 v4, vcc, v4, v10
	v_subb_co_u32_e32 v3, vcc, v3, v5, vcc
	v_add_co_u32_e32 v4, vcc, v0, v4
	v_addc_co_u32_e32 v3, vcc, v1, v3, vcc
	v_mul_lo_u32 v3, v3, s6
	v_mul_lo_u32 v10, v4, s7
	v_mad_u64_u32 v[4:5], s[0:1], v4, s6, 0
	v_add3_u32 v5, v5, v10, v3
	v_mul_lo_u32 v3, v7, s4
	v_mul_lo_u32 v10, v6, s5
	v_mad_u64_u32 v[6:7], s[0:1], v6, s4, 0
	v_add3_u32 v7, v7, v10, v3
	v_lshlrev_b64 v[6:7], 3, v[6:7]
	v_mov_b32_e32 v3, s45
	v_add_co_u32_e32 v6, vcc, s44, v6
	v_addc_co_u32_e32 v3, vcc, v3, v7, vcc
	v_lshlrev_b64 v[4:5], 3, v[4:5]
	v_add_co_u32_e32 v4, vcc, v6, v4
	v_addc_co_u32_e32 v5, vcc, v3, v5, vcc
	global_load_dwordx2 v[4:5], v[4:5], off
	v_lshlrev_b64 v[10:11], 2, v[8:9]
	v_or_b32_e32 v14, 1, v10
	v_mul_lo_u32 v15, s9, v14
	v_mul_lo_u32 v16, s8, v11
	v_mad_u64_u32 v[6:7], s[0:1], s8, v14, v[0:1]
	v_add3_u32 v7, v15, v7, v16
	v_or_b32_e32 v3, s47, v7
	v_cmp_ne_u64_e32 vcc, 0, v[2:3]
                                        ; implicit-def: $vgpr12_vgpr13
	s_and_saveexec_b64 s[0:1], vcc
	s_xor_b64 s[54:55], exec, s[0:1]
	s_cbranch_execz .LBB51_13
; %bb.12:                               ;   in Loop: Header=BB51_3 Depth=1
	s_ashr_i32 s56, s47, 31
	s_add_u32 s0, s46, s56
	s_mov_b32 s57, s56
	s_addc_u32 s1, s47, s56
	s_xor_b64 s[58:59], s[0:1], s[56:57]
	v_cvt_f32_u32_e32 v3, s58
	v_cvt_f32_u32_e32 v12, s59
	s_sub_u32 s0, 0, s58
	s_subb_u32 s1, 0, s59
	v_mac_f32_e32 v3, 0x4f800000, v12
	v_rcp_f32_e32 v3, v3
	v_mul_f32_e32 v3, 0x5f7ffffc, v3
	v_mul_f32_e32 v12, 0x2f800000, v3
	v_trunc_f32_e32 v12, v12
	v_mac_f32_e32 v3, 0xcf800000, v12
	v_cvt_u32_f32_e32 v12, v12
	v_cvt_u32_f32_e32 v3, v3
	v_mul_lo_u32 v13, s0, v12
	v_mul_hi_u32 v19, s0, v3
	v_mul_lo_u32 v17, s1, v3
	v_add_u32_e32 v13, v19, v13
	v_mul_lo_u32 v20, s0, v3
	v_add_u32_e32 v13, v13, v17
	v_mul_lo_u32 v19, v3, v13
	v_mul_hi_u32 v21, v3, v20
	v_mul_hi_u32 v17, v3, v13
	v_add_co_u32_e32 v19, vcc, v21, v19
	v_addc_co_u32_e32 v17, vcc, 0, v17, vcc
	v_mul_hi_u32 v22, v12, v20
	v_mul_lo_u32 v20, v12, v20
	v_add_co_u32_e32 v19, vcc, v19, v20
	v_mul_hi_u32 v21, v12, v13
	v_addc_co_u32_e32 v17, vcc, v17, v22, vcc
	v_addc_co_u32_e32 v19, vcc, 0, v21, vcc
	v_mul_lo_u32 v13, v12, v13
	v_add_co_u32_e32 v13, vcc, v17, v13
	v_addc_co_u32_e32 v17, vcc, 0, v19, vcc
	v_add_co_u32_e32 v3, vcc, v3, v13
	v_addc_co_u32_e32 v12, vcc, v12, v17, vcc
	v_mul_lo_u32 v13, s0, v12
	v_mul_hi_u32 v17, s0, v3
	v_add_u32_e32 v13, v17, v13
	v_mul_lo_u32 v17, s1, v3
	v_add_u32_e32 v13, v13, v17
	v_mul_lo_u32 v19, s0, v3
	v_mul_hi_u32 v20, v12, v19
	v_mul_lo_u32 v21, v12, v19
	v_mul_lo_u32 v23, v3, v13
	v_mul_hi_u32 v19, v3, v19
	v_mul_hi_u32 v22, v3, v13
	v_add_co_u32_e32 v19, vcc, v19, v23
	v_addc_co_u32_e32 v22, vcc, 0, v22, vcc
	v_add_co_u32_e32 v19, vcc, v19, v21
	v_mul_hi_u32 v17, v12, v13
	v_addc_co_u32_e32 v19, vcc, v22, v20, vcc
	v_addc_co_u32_e32 v17, vcc, 0, v17, vcc
	v_mul_lo_u32 v13, v12, v13
	v_add_co_u32_e32 v13, vcc, v19, v13
	v_addc_co_u32_e32 v17, vcc, 0, v17, vcc
	v_add_co_u32_e32 v3, vcc, v3, v13
	v_addc_co_u32_e32 v12, vcc, v12, v17, vcc
	v_ashrrev_i32_e32 v17, 31, v7
	v_add_co_u32_e32 v6, vcc, v6, v17
	v_addc_co_u32_e32 v7, vcc, v7, v17, vcc
	v_xor_b32_e32 v20, v6, v17
	v_xor_b32_e32 v19, v7, v17
	v_mad_u64_u32 v[6:7], s[0:1], v20, v12, 0
	v_mul_hi_u32 v13, v20, v3
	v_add_co_u32_e32 v21, vcc, v13, v6
	v_addc_co_u32_e32 v22, vcc, 0, v7, vcc
	v_mad_u64_u32 v[6:7], s[0:1], v19, v12, 0
	v_mad_u64_u32 v[12:13], s[0:1], v19, v3, 0
	v_add_co_u32_e32 v3, vcc, v21, v12
	v_addc_co_u32_e32 v3, vcc, v22, v13, vcc
	v_addc_co_u32_e32 v7, vcc, 0, v7, vcc
	v_add_co_u32_e32 v3, vcc, v3, v6
	v_addc_co_u32_e32 v12, vcc, 0, v7, vcc
	v_mul_lo_u32 v13, s59, v3
	v_mul_lo_u32 v21, s58, v12
	v_mad_u64_u32 v[6:7], s[0:1], s58, v3, 0
	v_add3_u32 v7, v7, v21, v13
	v_sub_u32_e32 v13, v19, v7
	v_mov_b32_e32 v21, s59
	v_sub_co_u32_e32 v6, vcc, v20, v6
	v_subb_co_u32_e64 v13, s[0:1], v13, v21, vcc
	v_subrev_co_u32_e64 v20, s[0:1], s58, v6
	v_subbrev_co_u32_e64 v13, s[0:1], 0, v13, s[0:1]
	v_cmp_le_u32_e64 s[0:1], s59, v13
	v_cndmask_b32_e64 v21, 0, -1, s[0:1]
	v_cmp_le_u32_e64 s[0:1], s58, v20
	v_cndmask_b32_e64 v20, 0, -1, s[0:1]
	v_cmp_eq_u32_e64 s[0:1], s59, v13
	v_cndmask_b32_e64 v13, v21, v20, s[0:1]
	v_add_co_u32_e64 v20, s[0:1], 2, v3
	v_subb_co_u32_e32 v7, vcc, v19, v7, vcc
	v_addc_co_u32_e64 v21, s[0:1], 0, v12, s[0:1]
	v_cmp_le_u32_e32 vcc, s59, v7
	v_add_co_u32_e64 v22, s[0:1], 1, v3
	v_cndmask_b32_e64 v19, 0, -1, vcc
	v_cmp_le_u32_e32 vcc, s58, v6
	v_addc_co_u32_e64 v23, s[0:1], 0, v12, s[0:1]
	v_cndmask_b32_e64 v6, 0, -1, vcc
	v_cmp_eq_u32_e32 vcc, s59, v7
	v_cmp_ne_u32_e64 s[0:1], 0, v13
	v_cndmask_b32_e32 v6, v19, v6, vcc
	v_cmp_ne_u32_e32 vcc, 0, v6
	v_cndmask_b32_e64 v7, v22, v20, s[0:1]
	v_cndmask_b32_e64 v13, v23, v21, s[0:1]
	v_cndmask_b32_e32 v3, v3, v7, vcc
	v_xor_b32_e32 v7, s56, v17
	v_cndmask_b32_e32 v6, v12, v13, vcc
	v_xor_b32_e32 v3, v3, v7
	v_xor_b32_e32 v6, v6, v7
	v_sub_co_u32_e32 v12, vcc, v3, v7
	v_subb_co_u32_e32 v13, vcc, v6, v7, vcc
                                        ; implicit-def: $vgpr6_vgpr7
.LBB51_13:                              ;   in Loop: Header=BB51_3 Depth=1
	s_andn2_saveexec_b64 s[0:1], s[54:55]
	s_cbranch_execz .LBB51_15
; %bb.14:                               ;   in Loop: Header=BB51_3 Depth=1
	v_rcp_iflag_f32_e32 v3, v18
	s_sub_i32 s54, 0, s46
	v_mov_b32_e32 v13, v2
	v_mul_f32_e32 v3, 0x4f7ffffe, v3
	v_cvt_u32_f32_e32 v3, v3
	v_mul_lo_u32 v7, s54, v3
	v_mul_hi_u32 v7, v3, v7
	v_add_u32_e32 v3, v3, v7
	v_mul_hi_u32 v3, v6, v3
	v_mul_lo_u32 v7, v3, s46
	v_sub_u32_e32 v6, v6, v7
	v_add_u32_e32 v12, 1, v3
	v_subrev_u32_e32 v7, s46, v6
	v_cmp_le_u32_e32 vcc, s46, v6
	v_cndmask_b32_e32 v6, v6, v7, vcc
	v_cndmask_b32_e32 v3, v3, v12, vcc
	v_add_u32_e32 v7, 1, v3
	v_cmp_le_u32_e32 vcc, s46, v6
	v_cndmask_b32_e32 v12, v3, v7, vcc
.LBB51_15:                              ;   in Loop: Header=BB51_3 Depth=1
	s_or_b64 exec, exec, s[0:1]
	v_mad_u64_u32 v[6:7], s[0:1], s8, v14, 0
	v_add3_u32 v3, v7, v16, v15
	v_mul_lo_u32 v7, v13, s46
	v_mul_lo_u32 v16, v12, s47
	v_mad_u64_u32 v[14:15], s[0:1], v12, s46, 0
	v_add3_u32 v7, v15, v16, v7
	v_sub_co_u32_e32 v6, vcc, v6, v14
	v_subb_co_u32_e32 v3, vcc, v3, v7, vcc
	v_add_co_u32_e32 v6, vcc, v0, v6
	v_addc_co_u32_e32 v3, vcc, v1, v3, vcc
	v_mul_lo_u32 v3, v3, s6
	v_mul_lo_u32 v14, v6, s7
	v_mad_u64_u32 v[6:7], s[0:1], v6, s6, 0
	v_add3_u32 v7, v7, v14, v3
	v_mul_lo_u32 v3, v13, s4
	v_mul_lo_u32 v14, v12, s5
	v_mad_u64_u32 v[12:13], s[0:1], v12, s4, 0
	v_add3_u32 v13, v13, v14, v3
	v_lshlrev_b64 v[12:13], 3, v[12:13]
	v_mov_b32_e32 v3, s45
	v_add_co_u32_e32 v12, vcc, s44, v12
	v_addc_co_u32_e32 v3, vcc, v3, v13, vcc
	v_lshlrev_b64 v[6:7], 3, v[6:7]
	v_add_co_u32_e32 v6, vcc, v12, v6
	v_addc_co_u32_e32 v7, vcc, v3, v7, vcc
	global_load_dwordx2 v[6:7], v[6:7], off
	v_add_co_u32_e32 v16, vcc, 2, v10
	v_addc_co_u32_e32 v3, vcc, 0, v11, vcc
	v_mul_lo_u32 v17, s9, v16
	v_mul_lo_u32 v19, s8, v3
	v_mad_u64_u32 v[12:13], s[0:1], s8, v16, v[0:1]
	v_add3_u32 v13, v17, v13, v19
	v_or_b32_e32 v3, s47, v13
	v_cmp_ne_u64_e32 vcc, 0, v[2:3]
                                        ; implicit-def: $vgpr14_vgpr15
	s_and_saveexec_b64 s[0:1], vcc
	s_xor_b64 s[54:55], exec, s[0:1]
	s_cbranch_execz .LBB51_17
; %bb.16:                               ;   in Loop: Header=BB51_3 Depth=1
	s_ashr_i32 s56, s47, 31
	s_add_u32 s0, s46, s56
	s_mov_b32 s57, s56
	s_addc_u32 s1, s47, s56
	s_xor_b64 s[58:59], s[0:1], s[56:57]
	v_cvt_f32_u32_e32 v3, s58
	v_cvt_f32_u32_e32 v14, s59
	s_sub_u32 s0, 0, s58
	s_subb_u32 s1, 0, s59
	v_mac_f32_e32 v3, 0x4f800000, v14
	v_rcp_f32_e32 v3, v3
	v_mul_f32_e32 v3, 0x5f7ffffc, v3
	v_mul_f32_e32 v14, 0x2f800000, v3
	v_trunc_f32_e32 v14, v14
	v_mac_f32_e32 v3, 0xcf800000, v14
	v_cvt_u32_f32_e32 v14, v14
	v_cvt_u32_f32_e32 v3, v3
	v_mul_lo_u32 v15, s0, v14
	v_mul_hi_u32 v21, s0, v3
	v_mul_lo_u32 v20, s1, v3
	v_add_u32_e32 v15, v21, v15
	v_mul_lo_u32 v22, s0, v3
	v_add_u32_e32 v15, v15, v20
	v_mul_lo_u32 v21, v3, v15
	v_mul_hi_u32 v23, v3, v22
	v_mul_hi_u32 v20, v3, v15
	v_add_co_u32_e32 v21, vcc, v23, v21
	v_addc_co_u32_e32 v20, vcc, 0, v20, vcc
	v_mul_hi_u32 v24, v14, v22
	v_mul_lo_u32 v22, v14, v22
	v_add_co_u32_e32 v21, vcc, v21, v22
	v_mul_hi_u32 v23, v14, v15
	v_addc_co_u32_e32 v20, vcc, v20, v24, vcc
	v_addc_co_u32_e32 v21, vcc, 0, v23, vcc
	v_mul_lo_u32 v15, v14, v15
	v_add_co_u32_e32 v15, vcc, v20, v15
	v_addc_co_u32_e32 v20, vcc, 0, v21, vcc
	v_add_co_u32_e32 v3, vcc, v3, v15
	v_addc_co_u32_e32 v14, vcc, v14, v20, vcc
	v_mul_lo_u32 v15, s0, v14
	v_mul_hi_u32 v20, s0, v3
	v_add_u32_e32 v15, v20, v15
	v_mul_lo_u32 v20, s1, v3
	v_add_u32_e32 v15, v15, v20
	v_mul_lo_u32 v21, s0, v3
	v_mul_hi_u32 v22, v14, v21
	v_mul_lo_u32 v23, v14, v21
	v_mul_lo_u32 v25, v3, v15
	v_mul_hi_u32 v21, v3, v21
	v_mul_hi_u32 v24, v3, v15
	v_add_co_u32_e32 v21, vcc, v21, v25
	v_addc_co_u32_e32 v24, vcc, 0, v24, vcc
	v_add_co_u32_e32 v21, vcc, v21, v23
	v_mul_hi_u32 v20, v14, v15
	v_addc_co_u32_e32 v21, vcc, v24, v22, vcc
	v_addc_co_u32_e32 v20, vcc, 0, v20, vcc
	v_mul_lo_u32 v15, v14, v15
	v_add_co_u32_e32 v15, vcc, v21, v15
	v_addc_co_u32_e32 v20, vcc, 0, v20, vcc
	v_add_co_u32_e32 v3, vcc, v3, v15
	v_addc_co_u32_e32 v14, vcc, v14, v20, vcc
	v_ashrrev_i32_e32 v20, 31, v13
	v_add_co_u32_e32 v12, vcc, v12, v20
	v_addc_co_u32_e32 v13, vcc, v13, v20, vcc
	v_xor_b32_e32 v22, v12, v20
	v_xor_b32_e32 v21, v13, v20
	v_mad_u64_u32 v[12:13], s[0:1], v22, v14, 0
	v_mul_hi_u32 v15, v22, v3
	v_add_co_u32_e32 v23, vcc, v15, v12
	v_addc_co_u32_e32 v24, vcc, 0, v13, vcc
	v_mad_u64_u32 v[12:13], s[0:1], v21, v14, 0
	v_mad_u64_u32 v[14:15], s[0:1], v21, v3, 0
	v_add_co_u32_e32 v3, vcc, v23, v14
	v_addc_co_u32_e32 v3, vcc, v24, v15, vcc
	v_addc_co_u32_e32 v13, vcc, 0, v13, vcc
	v_add_co_u32_e32 v3, vcc, v3, v12
	v_addc_co_u32_e32 v14, vcc, 0, v13, vcc
	v_mul_lo_u32 v15, s59, v3
	v_mul_lo_u32 v23, s58, v14
	v_mad_u64_u32 v[12:13], s[0:1], s58, v3, 0
	v_add3_u32 v13, v13, v23, v15
	v_sub_u32_e32 v15, v21, v13
	v_mov_b32_e32 v23, s59
	v_sub_co_u32_e32 v12, vcc, v22, v12
	v_subb_co_u32_e64 v15, s[0:1], v15, v23, vcc
	v_subrev_co_u32_e64 v22, s[0:1], s58, v12
	v_subbrev_co_u32_e64 v15, s[0:1], 0, v15, s[0:1]
	v_cmp_le_u32_e64 s[0:1], s59, v15
	v_cndmask_b32_e64 v23, 0, -1, s[0:1]
	v_cmp_le_u32_e64 s[0:1], s58, v22
	v_cndmask_b32_e64 v22, 0, -1, s[0:1]
	v_cmp_eq_u32_e64 s[0:1], s59, v15
	v_cndmask_b32_e64 v15, v23, v22, s[0:1]
	v_add_co_u32_e64 v22, s[0:1], 2, v3
	v_subb_co_u32_e32 v13, vcc, v21, v13, vcc
	v_addc_co_u32_e64 v23, s[0:1], 0, v14, s[0:1]
	v_cmp_le_u32_e32 vcc, s59, v13
	v_add_co_u32_e64 v24, s[0:1], 1, v3
	v_cndmask_b32_e64 v21, 0, -1, vcc
	v_cmp_le_u32_e32 vcc, s58, v12
	v_addc_co_u32_e64 v25, s[0:1], 0, v14, s[0:1]
	v_cndmask_b32_e64 v12, 0, -1, vcc
	v_cmp_eq_u32_e32 vcc, s59, v13
	v_cmp_ne_u32_e64 s[0:1], 0, v15
	v_cndmask_b32_e32 v12, v21, v12, vcc
	v_cmp_ne_u32_e32 vcc, 0, v12
	v_cndmask_b32_e64 v13, v24, v22, s[0:1]
	v_cndmask_b32_e64 v15, v25, v23, s[0:1]
	v_cndmask_b32_e32 v3, v3, v13, vcc
	v_xor_b32_e32 v13, s56, v20
	v_cndmask_b32_e32 v12, v14, v15, vcc
	v_xor_b32_e32 v3, v3, v13
	v_xor_b32_e32 v12, v12, v13
	v_sub_co_u32_e32 v14, vcc, v3, v13
	v_subb_co_u32_e32 v15, vcc, v12, v13, vcc
                                        ; implicit-def: $vgpr12_vgpr13
.LBB51_17:                              ;   in Loop: Header=BB51_3 Depth=1
	s_andn2_saveexec_b64 s[0:1], s[54:55]
	s_cbranch_execz .LBB51_19
; %bb.18:                               ;   in Loop: Header=BB51_3 Depth=1
	v_rcp_iflag_f32_e32 v3, v18
	s_sub_i32 s54, 0, s46
	v_mov_b32_e32 v15, v2
	v_mul_f32_e32 v3, 0x4f7ffffe, v3
	v_cvt_u32_f32_e32 v3, v3
	v_mul_lo_u32 v13, s54, v3
	v_mul_hi_u32 v13, v3, v13
	v_add_u32_e32 v3, v3, v13
	v_mul_hi_u32 v3, v12, v3
	v_mul_lo_u32 v13, v3, s46
	v_sub_u32_e32 v12, v12, v13
	v_add_u32_e32 v14, 1, v3
	v_subrev_u32_e32 v13, s46, v12
	v_cmp_le_u32_e32 vcc, s46, v12
	v_cndmask_b32_e32 v12, v12, v13, vcc
	v_cndmask_b32_e32 v3, v3, v14, vcc
	v_add_u32_e32 v13, 1, v3
	v_cmp_le_u32_e32 vcc, s46, v12
	v_cndmask_b32_e32 v14, v3, v13, vcc
.LBB51_19:                              ;   in Loop: Header=BB51_3 Depth=1
	s_or_b64 exec, exec, s[0:1]
	v_mad_u64_u32 v[12:13], s[0:1], s8, v16, 0
	v_add3_u32 v3, v13, v19, v17
	v_mul_lo_u32 v13, v15, s46
	v_mul_lo_u32 v19, v14, s47
	v_mad_u64_u32 v[16:17], s[0:1], v14, s46, 0
	v_add3_u32 v13, v17, v19, v13
	v_sub_co_u32_e32 v12, vcc, v12, v16
	v_subb_co_u32_e32 v3, vcc, v3, v13, vcc
	v_add_co_u32_e32 v12, vcc, v0, v12
	v_addc_co_u32_e32 v3, vcc, v1, v3, vcc
	v_mul_lo_u32 v3, v3, s6
	v_mul_lo_u32 v16, v12, s7
	v_mad_u64_u32 v[12:13], s[0:1], v12, s6, 0
	v_add3_u32 v13, v13, v16, v3
	v_mul_lo_u32 v3, v15, s4
	v_mul_lo_u32 v16, v14, s5
	v_mad_u64_u32 v[14:15], s[0:1], v14, s4, 0
	v_add3_u32 v15, v15, v16, v3
	v_lshlrev_b64 v[14:15], 3, v[14:15]
	v_mov_b32_e32 v3, s45
	v_add_co_u32_e32 v14, vcc, s44, v14
	v_addc_co_u32_e32 v3, vcc, v3, v15, vcc
	v_lshlrev_b64 v[12:13], 3, v[12:13]
	v_add_co_u32_e32 v12, vcc, v14, v12
	v_addc_co_u32_e32 v13, vcc, v3, v13, vcc
	global_load_dwordx2 v[14:15], v[12:13], off
	v_add_co_u32_e32 v19, vcc, 3, v10
	v_addc_co_u32_e32 v3, vcc, 0, v11, vcc
	v_mul_lo_u32 v20, s9, v19
	v_mul_lo_u32 v21, s8, v3
	v_mad_u64_u32 v[12:13], s[0:1], s8, v19, v[0:1]
	v_add3_u32 v13, v20, v13, v21
	v_or_b32_e32 v3, s47, v13
	v_cmp_ne_u64_e32 vcc, 0, v[2:3]
                                        ; implicit-def: $vgpr16_vgpr17
	s_and_saveexec_b64 s[0:1], vcc
	s_xor_b64 s[54:55], exec, s[0:1]
	s_cbranch_execz .LBB51_21
; %bb.20:                               ;   in Loop: Header=BB51_3 Depth=1
	s_ashr_i32 s56, s47, 31
	s_add_u32 s0, s46, s56
	s_mov_b32 s57, s56
	s_addc_u32 s1, s47, s56
	s_xor_b64 s[58:59], s[0:1], s[56:57]
	v_cvt_f32_u32_e32 v3, s58
	v_cvt_f32_u32_e32 v16, s59
	s_sub_u32 s0, 0, s58
	s_subb_u32 s1, 0, s59
	v_mac_f32_e32 v3, 0x4f800000, v16
	v_rcp_f32_e32 v3, v3
	v_mul_f32_e32 v3, 0x5f7ffffc, v3
	v_mul_f32_e32 v16, 0x2f800000, v3
	v_trunc_f32_e32 v16, v16
	v_mac_f32_e32 v3, 0xcf800000, v16
	v_cvt_u32_f32_e32 v16, v16
	v_cvt_u32_f32_e32 v3, v3
	v_mul_lo_u32 v17, s0, v16
	v_mul_hi_u32 v23, s0, v3
	v_mul_lo_u32 v22, s1, v3
	v_add_u32_e32 v17, v23, v17
	v_mul_lo_u32 v24, s0, v3
	v_add_u32_e32 v17, v17, v22
	v_mul_lo_u32 v23, v3, v17
	v_mul_hi_u32 v25, v3, v24
	v_mul_hi_u32 v22, v3, v17
	v_add_co_u32_e32 v23, vcc, v25, v23
	v_addc_co_u32_e32 v22, vcc, 0, v22, vcc
	v_mul_hi_u32 v26, v16, v24
	v_mul_lo_u32 v24, v16, v24
	v_add_co_u32_e32 v23, vcc, v23, v24
	v_mul_hi_u32 v25, v16, v17
	v_addc_co_u32_e32 v22, vcc, v22, v26, vcc
	v_addc_co_u32_e32 v23, vcc, 0, v25, vcc
	v_mul_lo_u32 v17, v16, v17
	v_add_co_u32_e32 v17, vcc, v22, v17
	v_addc_co_u32_e32 v22, vcc, 0, v23, vcc
	v_add_co_u32_e32 v3, vcc, v3, v17
	v_addc_co_u32_e32 v16, vcc, v16, v22, vcc
	v_mul_lo_u32 v17, s0, v16
	v_mul_hi_u32 v22, s0, v3
	v_add_u32_e32 v17, v22, v17
	v_mul_lo_u32 v22, s1, v3
	v_add_u32_e32 v17, v17, v22
	v_mul_lo_u32 v23, s0, v3
	v_mul_hi_u32 v24, v16, v23
	v_mul_lo_u32 v25, v16, v23
	v_mul_lo_u32 v27, v3, v17
	v_mul_hi_u32 v23, v3, v23
	v_mul_hi_u32 v26, v3, v17
	v_add_co_u32_e32 v23, vcc, v23, v27
	v_addc_co_u32_e32 v26, vcc, 0, v26, vcc
	v_add_co_u32_e32 v23, vcc, v23, v25
	v_mul_hi_u32 v22, v16, v17
	v_addc_co_u32_e32 v23, vcc, v26, v24, vcc
	v_addc_co_u32_e32 v22, vcc, 0, v22, vcc
	v_mul_lo_u32 v17, v16, v17
	v_add_co_u32_e32 v17, vcc, v23, v17
	v_addc_co_u32_e32 v22, vcc, 0, v22, vcc
	v_add_co_u32_e32 v3, vcc, v3, v17
	v_addc_co_u32_e32 v16, vcc, v16, v22, vcc
	v_ashrrev_i32_e32 v22, 31, v13
	v_add_co_u32_e32 v12, vcc, v12, v22
	v_addc_co_u32_e32 v13, vcc, v13, v22, vcc
	v_xor_b32_e32 v24, v12, v22
	v_xor_b32_e32 v23, v13, v22
	v_mad_u64_u32 v[12:13], s[0:1], v24, v16, 0
	v_mul_hi_u32 v17, v24, v3
	v_add_co_u32_e32 v25, vcc, v17, v12
	v_addc_co_u32_e32 v26, vcc, 0, v13, vcc
	v_mad_u64_u32 v[12:13], s[0:1], v23, v16, 0
	v_mad_u64_u32 v[16:17], s[0:1], v23, v3, 0
	v_add_co_u32_e32 v3, vcc, v25, v16
	v_addc_co_u32_e32 v3, vcc, v26, v17, vcc
	v_addc_co_u32_e32 v13, vcc, 0, v13, vcc
	v_add_co_u32_e32 v3, vcc, v3, v12
	v_addc_co_u32_e32 v16, vcc, 0, v13, vcc
	v_mul_lo_u32 v17, s59, v3
	v_mul_lo_u32 v25, s58, v16
	v_mad_u64_u32 v[12:13], s[0:1], s58, v3, 0
	v_add3_u32 v13, v13, v25, v17
	v_sub_u32_e32 v17, v23, v13
	v_mov_b32_e32 v25, s59
	v_sub_co_u32_e32 v12, vcc, v24, v12
	v_subb_co_u32_e64 v17, s[0:1], v17, v25, vcc
	v_subrev_co_u32_e64 v24, s[0:1], s58, v12
	v_subbrev_co_u32_e64 v17, s[0:1], 0, v17, s[0:1]
	v_cmp_le_u32_e64 s[0:1], s59, v17
	v_cndmask_b32_e64 v25, 0, -1, s[0:1]
	v_cmp_le_u32_e64 s[0:1], s58, v24
	v_cndmask_b32_e64 v24, 0, -1, s[0:1]
	v_cmp_eq_u32_e64 s[0:1], s59, v17
	v_cndmask_b32_e64 v17, v25, v24, s[0:1]
	v_add_co_u32_e64 v24, s[0:1], 2, v3
	v_subb_co_u32_e32 v13, vcc, v23, v13, vcc
	v_addc_co_u32_e64 v25, s[0:1], 0, v16, s[0:1]
	v_cmp_le_u32_e32 vcc, s59, v13
	v_add_co_u32_e64 v26, s[0:1], 1, v3
	v_cndmask_b32_e64 v23, 0, -1, vcc
	v_cmp_le_u32_e32 vcc, s58, v12
	v_addc_co_u32_e64 v27, s[0:1], 0, v16, s[0:1]
	v_cndmask_b32_e64 v12, 0, -1, vcc
	v_cmp_eq_u32_e32 vcc, s59, v13
	v_cmp_ne_u32_e64 s[0:1], 0, v17
	v_cndmask_b32_e32 v12, v23, v12, vcc
	v_cmp_ne_u32_e32 vcc, 0, v12
	v_cndmask_b32_e64 v13, v26, v24, s[0:1]
	v_cndmask_b32_e64 v17, v27, v25, s[0:1]
	v_cndmask_b32_e32 v3, v3, v13, vcc
	v_xor_b32_e32 v13, s56, v22
	v_cndmask_b32_e32 v12, v16, v17, vcc
	v_xor_b32_e32 v3, v3, v13
	v_xor_b32_e32 v12, v12, v13
	v_sub_co_u32_e32 v16, vcc, v3, v13
	v_subb_co_u32_e32 v17, vcc, v12, v13, vcc
                                        ; implicit-def: $vgpr12_vgpr13
.LBB51_21:                              ;   in Loop: Header=BB51_3 Depth=1
	s_andn2_saveexec_b64 s[0:1], s[54:55]
	s_cbranch_execz .LBB51_23
; %bb.22:                               ;   in Loop: Header=BB51_3 Depth=1
	v_rcp_iflag_f32_e32 v3, v18
	s_sub_i32 s54, 0, s46
	v_mov_b32_e32 v17, v2
	v_mul_f32_e32 v3, 0x4f7ffffe, v3
	v_cvt_u32_f32_e32 v3, v3
	v_mul_lo_u32 v13, s54, v3
	v_mul_hi_u32 v13, v3, v13
	v_add_u32_e32 v3, v3, v13
	v_mul_hi_u32 v3, v12, v3
	v_mul_lo_u32 v13, v3, s46
	v_sub_u32_e32 v12, v12, v13
	v_add_u32_e32 v16, 1, v3
	v_subrev_u32_e32 v13, s46, v12
	v_cmp_le_u32_e32 vcc, s46, v12
	v_cndmask_b32_e32 v12, v12, v13, vcc
	v_cndmask_b32_e32 v3, v3, v16, vcc
	v_add_u32_e32 v13, 1, v3
	v_cmp_le_u32_e32 vcc, s46, v12
	v_cndmask_b32_e32 v16, v3, v13, vcc
.LBB51_23:                              ;   in Loop: Header=BB51_3 Depth=1
	s_or_b64 exec, exec, s[0:1]
	v_mad_u64_u32 v[12:13], s[0:1], s8, v19, 0
	v_add3_u32 v3, v13, v21, v20
	v_mul_lo_u32 v13, v17, s46
	v_mul_lo_u32 v19, v16, s47
	v_mad_u64_u32 v[20:21], s[0:1], v16, s46, 0
	v_add3_u32 v13, v21, v19, v13
	v_sub_co_u32_e32 v12, vcc, v12, v20
	v_subb_co_u32_e32 v3, vcc, v3, v13, vcc
	v_add_co_u32_e32 v12, vcc, v0, v12
	v_addc_co_u32_e32 v3, vcc, v1, v3, vcc
	v_mul_lo_u32 v3, v3, s6
	v_mul_lo_u32 v19, v12, s7
	v_mad_u64_u32 v[12:13], s[0:1], v12, s6, 0
	v_add3_u32 v13, v13, v19, v3
	v_mul_lo_u32 v3, v17, s4
	v_mul_lo_u32 v19, v16, s5
	v_mad_u64_u32 v[16:17], s[0:1], v16, s4, 0
	v_add3_u32 v17, v17, v19, v3
	v_lshlrev_b64 v[16:17], 3, v[16:17]
	v_mov_b32_e32 v3, s45
	v_add_co_u32_e32 v16, vcc, s44, v16
	v_addc_co_u32_e32 v3, vcc, v3, v17, vcc
	v_lshlrev_b64 v[12:13], 3, v[12:13]
	v_add_co_u32_e32 v12, vcc, v16, v12
	v_addc_co_u32_e32 v13, vcc, v3, v13, vcc
	global_load_dwordx2 v[16:17], v[12:13], off
	v_add_co_u32_e32 v19, vcc, 4, v10
	v_addc_co_u32_e32 v3, vcc, 0, v11, vcc
	v_mul_lo_u32 v20, s9, v19
	v_mul_lo_u32 v21, s8, v3
	v_mad_u64_u32 v[10:11], s[0:1], s8, v19, v[0:1]
	v_add3_u32 v11, v20, v11, v21
	v_or_b32_e32 v3, s47, v11
	v_cmp_ne_u64_e32 vcc, 0, v[2:3]
                                        ; implicit-def: $vgpr12_vgpr13
	s_and_saveexec_b64 s[0:1], vcc
	s_xor_b64 s[54:55], exec, s[0:1]
	s_cbranch_execz .LBB51_25
; %bb.24:                               ;   in Loop: Header=BB51_3 Depth=1
	s_ashr_i32 s56, s47, 31
	s_add_u32 s0, s46, s56
	s_mov_b32 s57, s56
	s_addc_u32 s1, s47, s56
	s_xor_b64 s[58:59], s[0:1], s[56:57]
	v_cvt_f32_u32_e32 v3, s58
	v_cvt_f32_u32_e32 v12, s59
	s_sub_u32 s0, 0, s58
	s_subb_u32 s1, 0, s59
	v_mac_f32_e32 v3, 0x4f800000, v12
	v_rcp_f32_e32 v3, v3
	v_mul_f32_e32 v3, 0x5f7ffffc, v3
	v_mul_f32_e32 v12, 0x2f800000, v3
	v_trunc_f32_e32 v12, v12
	v_mac_f32_e32 v3, 0xcf800000, v12
	v_cvt_u32_f32_e32 v12, v12
	v_cvt_u32_f32_e32 v3, v3
	v_mul_lo_u32 v13, s0, v12
	v_mul_hi_u32 v22, s0, v3
	v_mul_lo_u32 v18, s1, v3
	v_add_u32_e32 v13, v22, v13
	v_mul_lo_u32 v23, s0, v3
	v_add_u32_e32 v13, v13, v18
	v_mul_lo_u32 v22, v3, v13
	v_mul_hi_u32 v24, v3, v23
	v_mul_hi_u32 v18, v3, v13
	v_add_co_u32_e32 v22, vcc, v24, v22
	v_addc_co_u32_e32 v18, vcc, 0, v18, vcc
	v_mul_hi_u32 v25, v12, v23
	v_mul_lo_u32 v23, v12, v23
	v_add_co_u32_e32 v22, vcc, v22, v23
	v_mul_hi_u32 v24, v12, v13
	v_addc_co_u32_e32 v18, vcc, v18, v25, vcc
	v_addc_co_u32_e32 v22, vcc, 0, v24, vcc
	v_mul_lo_u32 v13, v12, v13
	v_add_co_u32_e32 v13, vcc, v18, v13
	v_addc_co_u32_e32 v18, vcc, 0, v22, vcc
	v_add_co_u32_e32 v3, vcc, v3, v13
	v_addc_co_u32_e32 v12, vcc, v12, v18, vcc
	v_mul_lo_u32 v13, s0, v12
	v_mul_hi_u32 v18, s0, v3
	v_add_u32_e32 v13, v18, v13
	v_mul_lo_u32 v18, s1, v3
	v_add_u32_e32 v13, v13, v18
	v_mul_lo_u32 v22, s0, v3
	v_mul_hi_u32 v23, v12, v22
	v_mul_lo_u32 v24, v12, v22
	v_mul_lo_u32 v26, v3, v13
	v_mul_hi_u32 v22, v3, v22
	v_mul_hi_u32 v25, v3, v13
	v_add_co_u32_e32 v22, vcc, v22, v26
	v_addc_co_u32_e32 v25, vcc, 0, v25, vcc
	v_add_co_u32_e32 v22, vcc, v22, v24
	v_mul_hi_u32 v18, v12, v13
	v_addc_co_u32_e32 v22, vcc, v25, v23, vcc
	v_addc_co_u32_e32 v18, vcc, 0, v18, vcc
	v_mul_lo_u32 v13, v12, v13
	v_add_co_u32_e32 v13, vcc, v22, v13
	v_addc_co_u32_e32 v18, vcc, 0, v18, vcc
	v_add_co_u32_e32 v3, vcc, v3, v13
	v_addc_co_u32_e32 v12, vcc, v12, v18, vcc
	v_ashrrev_i32_e32 v18, 31, v11
	v_add_co_u32_e32 v10, vcc, v10, v18
	v_addc_co_u32_e32 v11, vcc, v11, v18, vcc
	v_xor_b32_e32 v23, v10, v18
	v_xor_b32_e32 v22, v11, v18
	v_mad_u64_u32 v[10:11], s[0:1], v23, v12, 0
	v_mul_hi_u32 v13, v23, v3
	v_add_co_u32_e32 v24, vcc, v13, v10
	v_addc_co_u32_e32 v25, vcc, 0, v11, vcc
	v_mad_u64_u32 v[10:11], s[0:1], v22, v12, 0
	v_mad_u64_u32 v[12:13], s[0:1], v22, v3, 0
	v_add_co_u32_e32 v3, vcc, v24, v12
	v_addc_co_u32_e32 v3, vcc, v25, v13, vcc
	v_addc_co_u32_e32 v11, vcc, 0, v11, vcc
	v_add_co_u32_e32 v3, vcc, v3, v10
	v_addc_co_u32_e32 v12, vcc, 0, v11, vcc
	v_mul_lo_u32 v13, s59, v3
	v_mul_lo_u32 v24, s58, v12
	v_mad_u64_u32 v[10:11], s[0:1], s58, v3, 0
	v_add3_u32 v11, v11, v24, v13
	v_sub_u32_e32 v13, v22, v11
	v_mov_b32_e32 v24, s59
	v_sub_co_u32_e32 v10, vcc, v23, v10
	v_subb_co_u32_e64 v13, s[0:1], v13, v24, vcc
	v_subrev_co_u32_e64 v23, s[0:1], s58, v10
	v_subbrev_co_u32_e64 v13, s[0:1], 0, v13, s[0:1]
	v_cmp_le_u32_e64 s[0:1], s59, v13
	v_cndmask_b32_e64 v24, 0, -1, s[0:1]
	v_cmp_le_u32_e64 s[0:1], s58, v23
	v_cndmask_b32_e64 v23, 0, -1, s[0:1]
	v_cmp_eq_u32_e64 s[0:1], s59, v13
	v_cndmask_b32_e64 v13, v24, v23, s[0:1]
	v_add_co_u32_e64 v23, s[0:1], 2, v3
	v_subb_co_u32_e32 v11, vcc, v22, v11, vcc
	v_addc_co_u32_e64 v24, s[0:1], 0, v12, s[0:1]
	v_cmp_le_u32_e32 vcc, s59, v11
	v_add_co_u32_e64 v25, s[0:1], 1, v3
	v_cndmask_b32_e64 v22, 0, -1, vcc
	v_cmp_le_u32_e32 vcc, s58, v10
	v_addc_co_u32_e64 v26, s[0:1], 0, v12, s[0:1]
	v_cndmask_b32_e64 v10, 0, -1, vcc
	v_cmp_eq_u32_e32 vcc, s59, v11
	v_cmp_ne_u32_e64 s[0:1], 0, v13
	v_cndmask_b32_e32 v10, v22, v10, vcc
	v_cmp_ne_u32_e32 vcc, 0, v10
	v_cndmask_b32_e64 v11, v25, v23, s[0:1]
	v_cndmask_b32_e64 v13, v26, v24, s[0:1]
	v_cndmask_b32_e32 v3, v3, v11, vcc
	v_xor_b32_e32 v11, s56, v18
	v_cndmask_b32_e32 v10, v12, v13, vcc
	v_xor_b32_e32 v3, v3, v11
	v_xor_b32_e32 v10, v10, v11
	v_sub_co_u32_e32 v12, vcc, v3, v11
	v_subb_co_u32_e32 v13, vcc, v10, v11, vcc
                                        ; implicit-def: $vgpr18
                                        ; implicit-def: $vgpr10_vgpr11
.LBB51_25:                              ;   in Loop: Header=BB51_3 Depth=1
	s_andn2_saveexec_b64 s[0:1], s[54:55]
	s_cbranch_execz .LBB51_27
; %bb.26:                               ;   in Loop: Header=BB51_3 Depth=1
	v_rcp_iflag_f32_e32 v3, v18
	s_sub_i32 s54, 0, s46
	v_mov_b32_e32 v13, v2
	v_mul_f32_e32 v3, 0x4f7ffffe, v3
	v_cvt_u32_f32_e32 v3, v3
	v_mul_lo_u32 v11, s54, v3
	v_mul_hi_u32 v11, v3, v11
	v_add_u32_e32 v3, v3, v11
	v_mul_hi_u32 v3, v10, v3
	v_mul_lo_u32 v11, v3, s46
	v_sub_u32_e32 v10, v10, v11
	v_add_u32_e32 v12, 1, v3
	v_subrev_u32_e32 v11, s46, v10
	v_cmp_le_u32_e32 vcc, s46, v10
	v_cndmask_b32_e32 v10, v10, v11, vcc
	v_cndmask_b32_e32 v3, v3, v12, vcc
	v_add_u32_e32 v11, 1, v3
	v_cmp_le_u32_e32 vcc, s46, v10
	v_cndmask_b32_e32 v12, v3, v11, vcc
.LBB51_27:                              ;   in Loop: Header=BB51_3 Depth=1
	s_or_b64 exec, exec, s[0:1]
	v_mad_u64_u32 v[10:11], s[0:1], s8, v19, 0
	v_add3_u32 v3, v11, v21, v20
	v_mul_lo_u32 v11, v13, s46
	v_mul_lo_u32 v20, v12, s47
	v_mad_u64_u32 v[18:19], s[0:1], v12, s46, 0
	v_add3_u32 v11, v19, v20, v11
	v_sub_co_u32_e32 v10, vcc, v10, v18
	v_subb_co_u32_e32 v3, vcc, v3, v11, vcc
	v_add_co_u32_e32 v10, vcc, v0, v10
	v_addc_co_u32_e32 v3, vcc, v1, v3, vcc
	v_mul_lo_u32 v3, v3, s6
	v_mul_lo_u32 v18, v10, s7
	v_mad_u64_u32 v[10:11], s[0:1], v10, s6, 0
	v_add3_u32 v11, v11, v18, v3
	v_mul_lo_u32 v3, v13, s4
	v_mul_lo_u32 v18, v12, s5
	v_mad_u64_u32 v[12:13], s[0:1], v12, s4, 0
	v_add3_u32 v13, v13, v18, v3
	v_lshlrev_b64 v[12:13], 3, v[12:13]
	v_mov_b32_e32 v3, s45
	v_add_co_u32_e32 v12, vcc, s44, v12
	v_addc_co_u32_e32 v3, vcc, v3, v13, vcc
	v_lshlrev_b64 v[10:11], 3, v[10:11]
	v_add_co_u32_e32 v10, vcc, v12, v10
	v_addc_co_u32_e32 v11, vcc, v3, v11, vcc
	global_load_dwordx2 v[20:21], v[10:11], off
	v_or_b32_e32 v3, s39, v1
	v_cmp_ne_u64_e32 vcc, 0, v[2:3]
                                        ; implicit-def: $vgpr10_vgpr11
	s_and_saveexec_b64 s[0:1], vcc
	s_xor_b64 s[54:55], exec, s[0:1]
	s_cbranch_execz .LBB51_29
; %bb.28:                               ;   in Loop: Header=BB51_3 Depth=1
	s_ashr_i32 s56, s39, 31
	s_add_u32 s0, s38, s56
	s_mov_b32 s57, s56
	s_addc_u32 s1, s39, s56
	s_xor_b64 s[58:59], s[0:1], s[56:57]
	v_cvt_f32_u32_e32 v3, s58
	v_cvt_f32_u32_e32 v10, s59
	s_sub_u32 s0, 0, s58
	s_subb_u32 s1, 0, s59
	v_mac_f32_e32 v3, 0x4f800000, v10
	v_rcp_f32_e32 v3, v3
	v_mul_f32_e32 v3, 0x5f7ffffc, v3
	v_mul_f32_e32 v10, 0x2f800000, v3
	v_trunc_f32_e32 v10, v10
	v_mac_f32_e32 v3, 0xcf800000, v10
	v_cvt_u32_f32_e32 v10, v10
	v_cvt_u32_f32_e32 v3, v3
	v_mul_lo_u32 v11, s0, v10
	v_mul_hi_u32 v13, s0, v3
	v_mul_lo_u32 v12, s1, v3
	v_add_u32_e32 v11, v13, v11
	v_mul_lo_u32 v18, s0, v3
	v_add_u32_e32 v11, v11, v12
	v_mul_lo_u32 v13, v3, v11
	v_mul_hi_u32 v19, v3, v18
	v_mul_hi_u32 v12, v3, v11
	v_add_co_u32_e32 v13, vcc, v19, v13
	v_addc_co_u32_e32 v12, vcc, 0, v12, vcc
	v_mul_hi_u32 v22, v10, v18
	v_mul_lo_u32 v18, v10, v18
	v_add_co_u32_e32 v13, vcc, v13, v18
	v_mul_hi_u32 v19, v10, v11
	v_addc_co_u32_e32 v12, vcc, v12, v22, vcc
	v_addc_co_u32_e32 v13, vcc, 0, v19, vcc
	v_mul_lo_u32 v11, v10, v11
	v_add_co_u32_e32 v11, vcc, v12, v11
	v_addc_co_u32_e32 v12, vcc, 0, v13, vcc
	v_add_co_u32_e32 v3, vcc, v3, v11
	v_addc_co_u32_e32 v10, vcc, v10, v12, vcc
	v_mul_lo_u32 v11, s0, v10
	v_mul_hi_u32 v12, s0, v3
	v_add_u32_e32 v11, v12, v11
	v_mul_lo_u32 v12, s1, v3
	v_add_u32_e32 v11, v11, v12
	v_mul_lo_u32 v13, s0, v3
	v_mul_hi_u32 v18, v10, v13
	v_mul_lo_u32 v19, v10, v13
	v_mul_lo_u32 v23, v3, v11
	v_mul_hi_u32 v13, v3, v13
	v_mul_hi_u32 v22, v3, v11
	v_add_co_u32_e32 v13, vcc, v13, v23
	v_addc_co_u32_e32 v22, vcc, 0, v22, vcc
	v_add_co_u32_e32 v13, vcc, v13, v19
	v_mul_hi_u32 v12, v10, v11
	v_addc_co_u32_e32 v13, vcc, v22, v18, vcc
	v_addc_co_u32_e32 v12, vcc, 0, v12, vcc
	v_mul_lo_u32 v11, v10, v11
	v_add_co_u32_e32 v11, vcc, v13, v11
	v_addc_co_u32_e32 v12, vcc, 0, v12, vcc
	v_add_co_u32_e32 v3, vcc, v3, v11
	v_addc_co_u32_e32 v12, vcc, v10, v12, vcc
	;; [unrolled: 2-line block ×3, first 2 shown]
	v_xor_b32_e32 v19, v10, v33
	v_xor_b32_e32 v18, v11, v33
	v_mad_u64_u32 v[10:11], s[0:1], v19, v12, 0
	v_mul_hi_u32 v13, v19, v3
	v_add_co_u32_e32 v22, vcc, v13, v10
	v_addc_co_u32_e32 v23, vcc, 0, v11, vcc
	v_mad_u64_u32 v[10:11], s[0:1], v18, v12, 0
	v_mad_u64_u32 v[12:13], s[0:1], v18, v3, 0
	v_add_co_u32_e32 v3, vcc, v22, v12
	v_addc_co_u32_e32 v3, vcc, v23, v13, vcc
	v_addc_co_u32_e32 v11, vcc, 0, v11, vcc
	v_add_co_u32_e32 v3, vcc, v3, v10
	v_addc_co_u32_e32 v12, vcc, 0, v11, vcc
	v_mul_lo_u32 v13, s59, v3
	v_mul_lo_u32 v22, s58, v12
	v_mad_u64_u32 v[10:11], s[0:1], s58, v3, 0
	v_add3_u32 v11, v11, v22, v13
	v_sub_u32_e32 v13, v18, v11
	v_mov_b32_e32 v22, s59
	v_sub_co_u32_e32 v10, vcc, v19, v10
	v_subb_co_u32_e64 v13, s[0:1], v13, v22, vcc
	v_subrev_co_u32_e64 v19, s[0:1], s58, v10
	v_subbrev_co_u32_e64 v13, s[0:1], 0, v13, s[0:1]
	v_cmp_le_u32_e64 s[0:1], s59, v13
	v_cndmask_b32_e64 v22, 0, -1, s[0:1]
	v_cmp_le_u32_e64 s[0:1], s58, v19
	v_cndmask_b32_e64 v19, 0, -1, s[0:1]
	v_cmp_eq_u32_e64 s[0:1], s59, v13
	v_cndmask_b32_e64 v13, v22, v19, s[0:1]
	v_add_co_u32_e64 v19, s[0:1], 2, v3
	v_subb_co_u32_e32 v11, vcc, v18, v11, vcc
	v_addc_co_u32_e64 v22, s[0:1], 0, v12, s[0:1]
	v_cmp_le_u32_e32 vcc, s59, v11
	v_add_co_u32_e64 v23, s[0:1], 1, v3
	v_cndmask_b32_e64 v18, 0, -1, vcc
	v_cmp_le_u32_e32 vcc, s58, v10
	v_addc_co_u32_e64 v24, s[0:1], 0, v12, s[0:1]
	v_cndmask_b32_e64 v10, 0, -1, vcc
	v_cmp_eq_u32_e32 vcc, s59, v11
	v_cmp_ne_u32_e64 s[0:1], 0, v13
	v_cndmask_b32_e32 v10, v18, v10, vcc
	v_cmp_ne_u32_e32 vcc, 0, v10
	v_cndmask_b32_e64 v11, v23, v19, s[0:1]
	v_cndmask_b32_e64 v13, v24, v22, s[0:1]
	v_cndmask_b32_e32 v3, v3, v11, vcc
	v_xor_b32_e32 v11, s56, v33
	v_cndmask_b32_e32 v10, v12, v13, vcc
	v_xor_b32_e32 v3, v3, v11
	v_xor_b32_e32 v12, v10, v11
	v_sub_co_u32_e32 v10, vcc, v3, v11
	v_subb_co_u32_e32 v11, vcc, v12, v11, vcc
.LBB51_29:                              ;   in Loop: Header=BB51_3 Depth=1
	s_andn2_saveexec_b64 s[0:1], s[54:55]
	s_cbranch_execz .LBB51_31
; %bb.30:                               ;   in Loop: Header=BB51_3 Depth=1
	v_cvt_f32_u32_e32 v3, s38
	s_sub_i32 s54, 0, s38
	v_rcp_iflag_f32_e32 v3, v3
	v_mul_f32_e32 v3, 0x4f7ffffe, v3
	v_cvt_u32_f32_e32 v3, v3
	v_mul_lo_u32 v10, s54, v3
	v_mul_hi_u32 v10, v3, v10
	v_add_u32_e32 v3, v3, v10
	v_mul_hi_u32 v3, v0, v3
	v_mul_lo_u32 v10, v3, s38
	v_sub_u32_e32 v10, v0, v10
	v_add_u32_e32 v11, 1, v3
	v_subrev_u32_e32 v12, s38, v10
	v_cmp_le_u32_e32 vcc, s38, v10
	v_cndmask_b32_e32 v10, v10, v12, vcc
	v_cndmask_b32_e32 v3, v3, v11, vcc
	v_add_u32_e32 v11, 1, v3
	v_cmp_le_u32_e32 vcc, s38, v10
	v_cndmask_b32_e32 v10, v3, v11, vcc
	v_mov_b32_e32 v11, v2
.LBB51_31:                              ;   in Loop: Header=BB51_3 Depth=1
	s_or_b64 exec, exec, s[0:1]
	v_mad_u64_u32 v[12:13], s[0:1], s61, v10, v[0:1]
	v_mul_lo_u32 v3, s61, v11
	v_mul_lo_u32 v18, s62, v10
	v_add3_u32 v3, v18, v13, v3
	v_mul_lo_u32 v18, v12, s23
	v_mul_lo_u32 v3, v3, s22
	v_mad_u64_u32 v[12:13], s[0:1], v12, s22, 0
	v_add3_u32 v13, v13, v18, v3
	v_mul_lo_u32 v3, v11, s20
	v_mul_lo_u32 v18, v10, s21
	v_mad_u64_u32 v[10:11], s[0:1], v10, s20, 0
	v_add3_u32 v11, v11, v18, v3
	v_lshlrev_b64 v[10:11], 3, v[10:11]
	v_mov_b32_e32 v3, s37
	v_add_co_u32_e32 v18, vcc, s36, v10
	v_addc_co_u32_e32 v3, vcc, v3, v11, vcc
	v_lshlrev_b64 v[10:11], 3, v[12:13]
	v_add_co_u32_e32 v10, vcc, v18, v10
	v_addc_co_u32_e32 v11, vcc, v3, v11, vcc
	global_load_dwordx2 v[10:11], v[10:11], off
	v_mul_lo_u32 v12, s51, v8
	v_mul_lo_u32 v13, s50, v9
	v_mad_u64_u32 v[18:19], s[0:1], s50, v8, v[0:1]
	v_add3_u32 v19, v12, v19, v13
	v_or_b32_e32 v3, s29, v19
	v_cmp_ne_u64_e32 vcc, 0, v[2:3]
	v_ashrrev_i32_e32 v34, 31, v19
                                        ; implicit-def: $vgpr24_vgpr25
	s_and_saveexec_b64 s[0:1], vcc
	s_xor_b64 s[54:55], exec, s[0:1]
	s_cbranch_execz .LBB51_33
; %bb.32:                               ;   in Loop: Header=BB51_3 Depth=1
	s_ashr_i32 s56, s29, 31
	s_add_u32 s0, s28, s56
	s_mov_b32 s57, s56
	s_addc_u32 s1, s29, s56
	s_xor_b64 s[58:59], s[0:1], s[56:57]
	v_cvt_f32_u32_e32 v3, s58
	v_cvt_f32_u32_e32 v22, s59
	s_sub_u32 s0, 0, s58
	s_subb_u32 s1, 0, s59
	v_mac_f32_e32 v3, 0x4f800000, v22
	v_rcp_f32_e32 v3, v3
	v_mul_f32_e32 v3, 0x5f7ffffc, v3
	v_mul_f32_e32 v22, 0x2f800000, v3
	v_trunc_f32_e32 v22, v22
	v_mac_f32_e32 v3, 0xcf800000, v22
	v_cvt_u32_f32_e32 v22, v22
	v_cvt_u32_f32_e32 v3, v3
	v_mul_lo_u32 v23, s0, v22
	v_mul_hi_u32 v25, s0, v3
	v_mul_lo_u32 v24, s1, v3
	v_add_u32_e32 v23, v25, v23
	v_mul_lo_u32 v26, s0, v3
	v_add_u32_e32 v23, v23, v24
	v_mul_lo_u32 v25, v3, v23
	v_mul_hi_u32 v27, v3, v26
	v_mul_hi_u32 v24, v3, v23
	v_add_co_u32_e32 v25, vcc, v27, v25
	v_addc_co_u32_e32 v24, vcc, 0, v24, vcc
	v_mul_hi_u32 v28, v22, v26
	v_mul_lo_u32 v26, v22, v26
	v_add_co_u32_e32 v25, vcc, v25, v26
	v_mul_hi_u32 v27, v22, v23
	v_addc_co_u32_e32 v24, vcc, v24, v28, vcc
	v_addc_co_u32_e32 v25, vcc, 0, v27, vcc
	v_mul_lo_u32 v23, v22, v23
	v_add_co_u32_e32 v23, vcc, v24, v23
	v_addc_co_u32_e32 v24, vcc, 0, v25, vcc
	v_add_co_u32_e32 v3, vcc, v3, v23
	v_addc_co_u32_e32 v22, vcc, v22, v24, vcc
	v_mul_lo_u32 v23, s0, v22
	v_mul_hi_u32 v24, s0, v3
	v_add_u32_e32 v23, v24, v23
	v_mul_lo_u32 v24, s1, v3
	v_add_u32_e32 v23, v23, v24
	v_mul_lo_u32 v25, s0, v3
	v_mul_hi_u32 v26, v22, v25
	v_mul_lo_u32 v27, v22, v25
	v_mul_lo_u32 v29, v3, v23
	v_mul_hi_u32 v25, v3, v25
	v_mul_hi_u32 v28, v3, v23
	v_add_co_u32_e32 v25, vcc, v25, v29
	v_addc_co_u32_e32 v28, vcc, 0, v28, vcc
	v_add_co_u32_e32 v25, vcc, v25, v27
	v_mul_hi_u32 v24, v22, v23
	v_addc_co_u32_e32 v25, vcc, v28, v26, vcc
	v_addc_co_u32_e32 v24, vcc, 0, v24, vcc
	v_mul_lo_u32 v23, v22, v23
	v_add_co_u32_e32 v23, vcc, v25, v23
	v_addc_co_u32_e32 v24, vcc, 0, v24, vcc
	v_add_co_u32_e32 v3, vcc, v3, v23
	v_addc_co_u32_e32 v24, vcc, v22, v24, vcc
	;; [unrolled: 2-line block ×3, first 2 shown]
	v_xor_b32_e32 v27, v22, v34
	v_xor_b32_e32 v26, v23, v34
	v_mad_u64_u32 v[22:23], s[0:1], v27, v24, 0
	v_mul_hi_u32 v25, v27, v3
	v_add_co_u32_e32 v28, vcc, v25, v22
	v_addc_co_u32_e32 v29, vcc, 0, v23, vcc
	v_mad_u64_u32 v[22:23], s[0:1], v26, v24, 0
	v_mad_u64_u32 v[24:25], s[0:1], v26, v3, 0
	v_add_co_u32_e32 v3, vcc, v28, v24
	v_addc_co_u32_e32 v3, vcc, v29, v25, vcc
	v_addc_co_u32_e32 v23, vcc, 0, v23, vcc
	v_add_co_u32_e32 v3, vcc, v3, v22
	v_addc_co_u32_e32 v24, vcc, 0, v23, vcc
	v_mul_lo_u32 v25, s59, v3
	v_mul_lo_u32 v28, s58, v24
	v_mad_u64_u32 v[22:23], s[0:1], s58, v3, 0
	v_add3_u32 v23, v23, v28, v25
	v_sub_u32_e32 v25, v26, v23
	v_mov_b32_e32 v28, s59
	v_sub_co_u32_e32 v22, vcc, v27, v22
	v_subb_co_u32_e64 v25, s[0:1], v25, v28, vcc
	v_subrev_co_u32_e64 v27, s[0:1], s58, v22
	v_subbrev_co_u32_e64 v25, s[0:1], 0, v25, s[0:1]
	v_cmp_le_u32_e64 s[0:1], s59, v25
	v_cndmask_b32_e64 v28, 0, -1, s[0:1]
	v_cmp_le_u32_e64 s[0:1], s58, v27
	v_cndmask_b32_e64 v27, 0, -1, s[0:1]
	v_cmp_eq_u32_e64 s[0:1], s59, v25
	v_cndmask_b32_e64 v25, v28, v27, s[0:1]
	v_add_co_u32_e64 v27, s[0:1], 2, v3
	v_subb_co_u32_e32 v23, vcc, v26, v23, vcc
	v_addc_co_u32_e64 v28, s[0:1], 0, v24, s[0:1]
	v_cmp_le_u32_e32 vcc, s59, v23
	v_add_co_u32_e64 v29, s[0:1], 1, v3
	v_cndmask_b32_e64 v26, 0, -1, vcc
	v_cmp_le_u32_e32 vcc, s58, v22
	v_addc_co_u32_e64 v30, s[0:1], 0, v24, s[0:1]
	v_cndmask_b32_e64 v22, 0, -1, vcc
	v_cmp_eq_u32_e32 vcc, s59, v23
	v_cmp_ne_u32_e64 s[0:1], 0, v25
	v_cndmask_b32_e32 v22, v26, v22, vcc
	v_cmp_ne_u32_e32 vcc, 0, v22
	v_cndmask_b32_e64 v23, v29, v27, s[0:1]
	v_cndmask_b32_e64 v25, v30, v28, s[0:1]
	v_cndmask_b32_e32 v3, v3, v23, vcc
	v_xor_b32_e32 v23, s56, v34
	v_cndmask_b32_e32 v22, v24, v25, vcc
	v_xor_b32_e32 v3, v3, v23
	v_xor_b32_e32 v22, v22, v23
	v_sub_co_u32_e32 v24, vcc, v3, v23
	v_subb_co_u32_e32 v25, vcc, v22, v23, vcc
.LBB51_33:                              ;   in Loop: Header=BB51_3 Depth=1
	s_or_saveexec_b64 s[0:1], s[54:55]
	v_cvt_f32_u32_e32 v37, s28
	s_xor_b64 exec, exec, s[0:1]
	s_cbranch_execz .LBB51_35
; %bb.34:                               ;   in Loop: Header=BB51_3 Depth=1
	v_rcp_iflag_f32_e32 v3, v37
	s_sub_i32 s54, 0, s28
	v_mov_b32_e32 v25, v2
	v_mul_f32_e32 v3, 0x4f7ffffe, v3
	v_cvt_u32_f32_e32 v3, v3
	v_mul_lo_u32 v22, s54, v3
	v_mul_hi_u32 v22, v3, v22
	v_add_u32_e32 v3, v3, v22
	v_mul_hi_u32 v3, v18, v3
	v_mul_lo_u32 v22, v3, s28
	v_sub_u32_e32 v22, v18, v22
	v_add_u32_e32 v23, 1, v3
	v_subrev_u32_e32 v24, s28, v22
	v_cmp_le_u32_e32 vcc, s28, v22
	v_cndmask_b32_e32 v22, v22, v24, vcc
	v_cndmask_b32_e32 v3, v3, v23, vcc
	v_add_u32_e32 v23, 1, v3
	v_cmp_le_u32_e32 vcc, s28, v22
	v_cndmask_b32_e32 v24, v3, v23, vcc
.LBB51_35:                              ;   in Loop: Header=BB51_3 Depth=1
	s_or_b64 exec, exec, s[0:1]
	v_mad_u64_u32 v[22:23], s[0:1], s50, v8, 0
	s_waitcnt vmcnt(4)
	v_add_f64 v[26:27], -v[6:7], 1.0
	v_add3_u32 v35, v23, v13, v12
	s_waitcnt vmcnt(0)
	v_mul_f64 v[12:13], v[26:27], v[10:11]
	v_fma_f64 v[28:29], -v[14:15], v[14:15], 1.0
	v_mul_f64 v[12:13], v[28:29], v[12:13]
	v_mul_f64 v[20:21], v[20:21], v[12:13]
	v_add_f64 v[28:29], -v[4:5], 1.0
	v_mul_f64 v[20:21], v[28:29], v[20:21]
	v_mul_lo_u32 v3, v25, s28
	v_mul_lo_u32 v23, v24, s29
	v_mad_u64_u32 v[28:29], s[0:1], v24, s28, 0
	v_add3_u32 v3, v29, v23, v3
	v_sub_co_u32_e32 v23, vcc, v22, v28
	v_subb_co_u32_e32 v3, vcc, v35, v3, vcc
	v_add_co_u32_e32 v23, vcc, v0, v23
	v_addc_co_u32_e32 v3, vcc, v1, v3, vcc
	v_mul_lo_u32 v3, v3, s14
	v_mul_lo_u32 v30, v23, s15
	v_mad_u64_u32 v[28:29], s[0:1], v23, s14, 0
	v_add3_u32 v29, v29, v30, v3
	v_mul_lo_u32 v3, v25, s12
	v_mul_lo_u32 v23, v24, s13
	v_mad_u64_u32 v[24:25], s[0:1], v24, s12, 0
	v_add3_u32 v25, v25, v23, v3
	v_lshlrev_b64 v[24:25], 3, v[24:25]
	v_mov_b32_e32 v3, s3
	v_add_co_u32_e32 v23, vcc, s2, v24
	v_addc_co_u32_e32 v3, vcc, v3, v25, vcc
	v_lshlrev_b64 v[24:25], 3, v[28:29]
	v_add_co_u32_e32 v24, vcc, v23, v24
	v_mul_f64 v[20:21], v[4:5], v[20:21]
	v_addc_co_u32_e32 v25, vcc, v3, v25, vcc
	v_lshlrev_b64 v[28:29], 1, v[8:9]
	global_store_dwordx2 v[24:25], v[20:21], off
	v_or_b32_e32 v24, 1, v28
	v_mul_lo_u32 v36, s9, v24
	v_mul_lo_u32 v38, s8, v29
	v_mad_u64_u32 v[8:9], s[0:1], s8, v24, v[0:1]
	v_add3_u32 v9, v36, v9, v38
	v_or_b32_e32 v3, s29, v9
	v_cmp_ne_u64_e32 vcc, 0, v[2:3]
	v_ashrrev_i32_e32 v23, 31, v9
                                        ; implicit-def: $vgpr30_vgpr31
	s_and_saveexec_b64 s[0:1], vcc
	s_xor_b64 s[54:55], exec, s[0:1]
	s_cbranch_execz .LBB51_37
; %bb.36:                               ;   in Loop: Header=BB51_3 Depth=1
	s_ashr_i32 s56, s29, 31
	s_add_u32 s0, s28, s56
	s_mov_b32 s57, s56
	s_addc_u32 s1, s29, s56
	s_xor_b64 s[58:59], s[0:1], s[56:57]
	v_cvt_f32_u32_e32 v3, s58
	v_cvt_f32_u32_e32 v25, s59
	s_sub_u32 s0, 0, s58
	s_subb_u32 s1, 0, s59
	v_mac_f32_e32 v3, 0x4f800000, v25
	v_rcp_f32_e32 v3, v3
	v_mul_f32_e32 v3, 0x5f7ffffc, v3
	v_mul_f32_e32 v25, 0x2f800000, v3
	v_trunc_f32_e32 v25, v25
	v_mac_f32_e32 v3, 0xcf800000, v25
	v_cvt_u32_f32_e32 v25, v25
	v_cvt_u32_f32_e32 v3, v3
	v_mul_lo_u32 v30, s0, v25
	v_mul_hi_u32 v39, s0, v3
	v_mul_lo_u32 v31, s1, v3
	v_add_u32_e32 v30, v39, v30
	v_mul_lo_u32 v40, s0, v3
	v_add_u32_e32 v30, v30, v31
	v_mul_lo_u32 v39, v3, v30
	v_mul_hi_u32 v41, v3, v40
	v_mul_hi_u32 v31, v3, v30
	v_add_co_u32_e32 v39, vcc, v41, v39
	v_addc_co_u32_e32 v31, vcc, 0, v31, vcc
	v_mul_hi_u32 v42, v25, v40
	v_mul_lo_u32 v40, v25, v40
	v_add_co_u32_e32 v39, vcc, v39, v40
	v_mul_hi_u32 v41, v25, v30
	v_addc_co_u32_e32 v31, vcc, v31, v42, vcc
	v_addc_co_u32_e32 v39, vcc, 0, v41, vcc
	v_mul_lo_u32 v30, v25, v30
	v_add_co_u32_e32 v30, vcc, v31, v30
	v_addc_co_u32_e32 v31, vcc, 0, v39, vcc
	v_add_co_u32_e32 v3, vcc, v3, v30
	v_addc_co_u32_e32 v25, vcc, v25, v31, vcc
	v_mul_lo_u32 v30, s0, v25
	v_mul_hi_u32 v31, s0, v3
	v_add_u32_e32 v30, v31, v30
	v_mul_lo_u32 v31, s1, v3
	v_add_u32_e32 v30, v30, v31
	v_mul_lo_u32 v39, s0, v3
	v_mul_hi_u32 v40, v25, v39
	v_mul_lo_u32 v41, v25, v39
	v_mul_lo_u32 v43, v3, v30
	v_mul_hi_u32 v39, v3, v39
	v_mul_hi_u32 v42, v3, v30
	v_add_co_u32_e32 v39, vcc, v39, v43
	v_addc_co_u32_e32 v42, vcc, 0, v42, vcc
	v_add_co_u32_e32 v39, vcc, v39, v41
	v_mul_hi_u32 v31, v25, v30
	v_addc_co_u32_e32 v39, vcc, v42, v40, vcc
	v_addc_co_u32_e32 v31, vcc, 0, v31, vcc
	v_mul_lo_u32 v30, v25, v30
	v_add_co_u32_e32 v30, vcc, v39, v30
	v_addc_co_u32_e32 v31, vcc, 0, v31, vcc
	v_add_co_u32_e32 v3, vcc, v3, v30
	v_addc_co_u32_e32 v25, vcc, v25, v31, vcc
	;; [unrolled: 2-line block ×3, first 2 shown]
	v_xor_b32_e32 v42, v30, v23
	v_xor_b32_e32 v39, v31, v23
	v_mad_u64_u32 v[30:31], s[0:1], v42, v25, 0
	v_mul_hi_u32 v40, v42, v3
	v_add_co_u32_e32 v43, vcc, v40, v30
	v_addc_co_u32_e32 v44, vcc, 0, v31, vcc
	v_mad_u64_u32 v[40:41], s[0:1], v39, v3, 0
	v_add_co_u32_e32 v3, vcc, v43, v40
	v_mad_u64_u32 v[30:31], s[0:1], v39, v25, 0
	v_addc_co_u32_e32 v3, vcc, v44, v41, vcc
	v_addc_co_u32_e32 v25, vcc, 0, v31, vcc
	v_add_co_u32_e32 v3, vcc, v3, v30
	v_addc_co_u32_e32 v25, vcc, 0, v25, vcc
	v_mul_lo_u32 v40, s59, v3
	v_mul_lo_u32 v41, s58, v25
	v_mad_u64_u32 v[30:31], s[0:1], s58, v3, 0
	v_add3_u32 v31, v31, v41, v40
	v_sub_u32_e32 v40, v39, v31
	v_mov_b32_e32 v41, s59
	v_sub_co_u32_e32 v30, vcc, v42, v30
	v_subb_co_u32_e64 v40, s[0:1], v40, v41, vcc
	v_subrev_co_u32_e64 v41, s[0:1], s58, v30
	v_subbrev_co_u32_e64 v40, s[0:1], 0, v40, s[0:1]
	v_cmp_le_u32_e64 s[0:1], s59, v40
	v_cndmask_b32_e64 v42, 0, -1, s[0:1]
	v_cmp_le_u32_e64 s[0:1], s58, v41
	v_cndmask_b32_e64 v41, 0, -1, s[0:1]
	v_cmp_eq_u32_e64 s[0:1], s59, v40
	v_cndmask_b32_e64 v40, v42, v41, s[0:1]
	v_add_co_u32_e64 v41, s[0:1], 2, v3
	v_subb_co_u32_e32 v31, vcc, v39, v31, vcc
	v_addc_co_u32_e64 v42, s[0:1], 0, v25, s[0:1]
	v_cmp_le_u32_e32 vcc, s59, v31
	v_add_co_u32_e64 v43, s[0:1], 1, v3
	v_cndmask_b32_e64 v39, 0, -1, vcc
	v_cmp_le_u32_e32 vcc, s58, v30
	v_addc_co_u32_e64 v44, s[0:1], 0, v25, s[0:1]
	v_cndmask_b32_e64 v30, 0, -1, vcc
	v_cmp_eq_u32_e32 vcc, s59, v31
	v_cmp_ne_u32_e64 s[0:1], 0, v40
	v_cndmask_b32_e32 v30, v39, v30, vcc
	v_cmp_ne_u32_e32 vcc, 0, v30
	v_cndmask_b32_e64 v30, v43, v41, s[0:1]
	v_cndmask_b32_e64 v40, v44, v42, s[0:1]
	v_cndmask_b32_e32 v3, v3, v30, vcc
	v_xor_b32_e32 v31, s56, v23
	v_cndmask_b32_e32 v25, v25, v40, vcc
	v_xor_b32_e32 v3, v3, v31
	v_xor_b32_e32 v25, v25, v31
	v_sub_co_u32_e32 v30, vcc, v3, v31
	v_subb_co_u32_e32 v31, vcc, v25, v31, vcc
.LBB51_37:                              ;   in Loop: Header=BB51_3 Depth=1
	s_andn2_saveexec_b64 s[0:1], s[54:55]
	s_cbranch_execz .LBB51_39
; %bb.38:                               ;   in Loop: Header=BB51_3 Depth=1
	v_rcp_iflag_f32_e32 v3, v37
	s_sub_i32 s54, 0, s28
	v_mul_f32_e32 v3, 0x4f7ffffe, v3
	v_cvt_u32_f32_e32 v3, v3
	v_mul_lo_u32 v25, s54, v3
	v_mul_hi_u32 v25, v3, v25
	v_add_u32_e32 v3, v3, v25
	v_mul_hi_u32 v3, v8, v3
	v_mul_lo_u32 v25, v3, s28
	v_sub_u32_e32 v25, v8, v25
	v_add_u32_e32 v30, 1, v3
	v_subrev_u32_e32 v31, s28, v25
	v_cmp_le_u32_e32 vcc, s28, v25
	v_cndmask_b32_e32 v25, v25, v31, vcc
	v_cndmask_b32_e32 v3, v3, v30, vcc
	v_add_u32_e32 v30, 1, v3
	v_cmp_le_u32_e32 vcc, s28, v25
	v_cndmask_b32_e32 v30, v3, v30, vcc
	v_mov_b32_e32 v31, v2
.LBB51_39:                              ;   in Loop: Header=BB51_3 Depth=1
	s_or_b64 exec, exec, s[0:1]
	v_add_f64 v[14:15], v[16:17], -v[14:15]
	v_mul_f64 v[14:15], v[14:15], v[10:11]
	v_mad_u64_u32 v[24:25], s[0:1], s8, v24, 0
	v_mul_f64 v[14:15], v[26:27], v[14:15]
	v_add3_u32 v36, v25, v38, v36
	v_mul_f64 v[16:17], v[6:7], v[14:15]
	v_mul_lo_u32 v3, v31, s28
	v_mul_lo_u32 v25, v30, s29
	v_mad_u64_u32 v[14:15], s[0:1], v30, s28, 0
	v_add3_u32 v3, v15, v25, v3
	v_sub_co_u32_e32 v14, vcc, v24, v14
	v_subb_co_u32_e32 v3, vcc, v36, v3, vcc
	v_add_co_u32_e32 v14, vcc, v0, v14
	v_addc_co_u32_e32 v3, vcc, v1, v3, vcc
	v_mul_lo_u32 v3, v3, s14
	v_mul_lo_u32 v25, v14, s15
	v_mad_u64_u32 v[14:15], s[0:1], v14, s14, 0
	v_add3_u32 v15, v15, v25, v3
	v_mul_lo_u32 v3, v31, s12
	v_mul_lo_u32 v25, v30, s13
	v_mad_u64_u32 v[26:27], s[0:1], v30, s12, 0
	v_add3_u32 v27, v27, v25, v3
	v_lshlrev_b64 v[26:27], 3, v[26:27]
	v_mov_b32_e32 v3, s3
	v_add_co_u32_e32 v25, vcc, s2, v26
	v_addc_co_u32_e32 v3, vcc, v3, v27, vcc
	v_lshlrev_b64 v[14:15], 3, v[14:15]
	v_add_co_u32_e32 v14, vcc, v25, v14
	v_addc_co_u32_e32 v15, vcc, v3, v15, vcc
	v_add_co_u32_e32 v26, vcc, 2, v28
	v_addc_co_u32_e32 v3, vcc, 0, v29, vcc
	global_store_dwordx2 v[14:15], v[16:17], off
	v_mul_lo_u32 v30, s9, v26
	v_mul_lo_u32 v31, s8, v3
	v_mad_u64_u32 v[14:15], s[0:1], s8, v26, v[0:1]
	v_add3_u32 v15, v30, v15, v31
	v_or_b32_e32 v3, s29, v15
	v_cmp_ne_u64_e32 vcc, 0, v[2:3]
	v_ashrrev_i32_e32 v25, 31, v15
                                        ; implicit-def: $vgpr28_vgpr29
	s_and_saveexec_b64 s[0:1], vcc
	s_xor_b64 s[54:55], exec, s[0:1]
	s_cbranch_execz .LBB51_41
; %bb.40:                               ;   in Loop: Header=BB51_3 Depth=1
	s_ashr_i32 s56, s29, 31
	s_add_u32 s0, s28, s56
	s_mov_b32 s57, s56
	s_addc_u32 s1, s29, s56
	s_xor_b64 s[58:59], s[0:1], s[56:57]
	v_cvt_f32_u32_e32 v3, s58
	v_cvt_f32_u32_e32 v27, s59
	s_sub_u32 s0, 0, s58
	s_subb_u32 s1, 0, s59
	v_mac_f32_e32 v3, 0x4f800000, v27
	v_rcp_f32_e32 v3, v3
	v_mul_f32_e32 v3, 0x5f7ffffc, v3
	v_mul_f32_e32 v27, 0x2f800000, v3
	v_trunc_f32_e32 v27, v27
	v_mac_f32_e32 v3, 0xcf800000, v27
	v_cvt_u32_f32_e32 v27, v27
	v_cvt_u32_f32_e32 v3, v3
	v_mul_lo_u32 v28, s0, v27
	v_mul_hi_u32 v37, s0, v3
	v_mul_lo_u32 v29, s1, v3
	v_add_u32_e32 v28, v37, v28
	v_mul_lo_u32 v38, s0, v3
	v_add_u32_e32 v28, v28, v29
	v_mul_lo_u32 v37, v3, v28
	v_mul_hi_u32 v39, v3, v38
	v_mul_hi_u32 v29, v3, v28
	v_add_co_u32_e32 v37, vcc, v39, v37
	v_addc_co_u32_e32 v29, vcc, 0, v29, vcc
	v_mul_hi_u32 v40, v27, v38
	v_mul_lo_u32 v38, v27, v38
	v_add_co_u32_e32 v37, vcc, v37, v38
	v_mul_hi_u32 v39, v27, v28
	v_addc_co_u32_e32 v29, vcc, v29, v40, vcc
	v_addc_co_u32_e32 v37, vcc, 0, v39, vcc
	v_mul_lo_u32 v28, v27, v28
	v_add_co_u32_e32 v28, vcc, v29, v28
	v_addc_co_u32_e32 v29, vcc, 0, v37, vcc
	v_add_co_u32_e32 v3, vcc, v3, v28
	v_addc_co_u32_e32 v27, vcc, v27, v29, vcc
	v_mul_lo_u32 v28, s0, v27
	v_mul_hi_u32 v29, s0, v3
	v_add_u32_e32 v28, v29, v28
	v_mul_lo_u32 v29, s1, v3
	v_add_u32_e32 v28, v28, v29
	v_mul_lo_u32 v37, s0, v3
	v_mul_hi_u32 v38, v27, v37
	v_mul_lo_u32 v39, v27, v37
	v_mul_lo_u32 v41, v3, v28
	v_mul_hi_u32 v37, v3, v37
	v_mul_hi_u32 v40, v3, v28
	v_add_co_u32_e32 v37, vcc, v37, v41
	v_addc_co_u32_e32 v40, vcc, 0, v40, vcc
	v_add_co_u32_e32 v37, vcc, v37, v39
	v_mul_hi_u32 v29, v27, v28
	v_addc_co_u32_e32 v37, vcc, v40, v38, vcc
	v_addc_co_u32_e32 v29, vcc, 0, v29, vcc
	v_mul_lo_u32 v28, v27, v28
	v_add_co_u32_e32 v28, vcc, v37, v28
	v_addc_co_u32_e32 v29, vcc, 0, v29, vcc
	v_add_co_u32_e32 v3, vcc, v3, v28
	v_addc_co_u32_e32 v27, vcc, v27, v29, vcc
	;; [unrolled: 2-line block ×3, first 2 shown]
	v_xor_b32_e32 v40, v28, v25
	v_xor_b32_e32 v37, v29, v25
	v_mad_u64_u32 v[28:29], s[0:1], v40, v27, 0
	v_mul_hi_u32 v38, v40, v3
	v_add_co_u32_e32 v41, vcc, v38, v28
	v_addc_co_u32_e32 v42, vcc, 0, v29, vcc
	v_mad_u64_u32 v[38:39], s[0:1], v37, v3, 0
	v_add_co_u32_e32 v3, vcc, v41, v38
	v_mad_u64_u32 v[28:29], s[0:1], v37, v27, 0
	v_addc_co_u32_e32 v3, vcc, v42, v39, vcc
	v_addc_co_u32_e32 v27, vcc, 0, v29, vcc
	v_add_co_u32_e32 v3, vcc, v3, v28
	v_addc_co_u32_e32 v27, vcc, 0, v27, vcc
	v_mul_lo_u32 v38, s59, v3
	v_mul_lo_u32 v39, s58, v27
	v_mad_u64_u32 v[28:29], s[0:1], s58, v3, 0
	v_add3_u32 v29, v29, v39, v38
	v_sub_u32_e32 v38, v37, v29
	v_mov_b32_e32 v39, s59
	v_sub_co_u32_e32 v28, vcc, v40, v28
	v_subb_co_u32_e64 v38, s[0:1], v38, v39, vcc
	v_subrev_co_u32_e64 v39, s[0:1], s58, v28
	v_subbrev_co_u32_e64 v38, s[0:1], 0, v38, s[0:1]
	v_cmp_le_u32_e64 s[0:1], s59, v38
	v_cndmask_b32_e64 v40, 0, -1, s[0:1]
	v_cmp_le_u32_e64 s[0:1], s58, v39
	v_cndmask_b32_e64 v39, 0, -1, s[0:1]
	v_cmp_eq_u32_e64 s[0:1], s59, v38
	v_cndmask_b32_e64 v38, v40, v39, s[0:1]
	v_add_co_u32_e64 v39, s[0:1], 2, v3
	v_subb_co_u32_e32 v29, vcc, v37, v29, vcc
	v_addc_co_u32_e64 v40, s[0:1], 0, v27, s[0:1]
	v_cmp_le_u32_e32 vcc, s59, v29
	v_add_co_u32_e64 v41, s[0:1], 1, v3
	v_cndmask_b32_e64 v37, 0, -1, vcc
	v_cmp_le_u32_e32 vcc, s58, v28
	v_addc_co_u32_e64 v42, s[0:1], 0, v27, s[0:1]
	v_cndmask_b32_e64 v28, 0, -1, vcc
	v_cmp_eq_u32_e32 vcc, s59, v29
	v_cmp_ne_u32_e64 s[0:1], 0, v38
	v_cndmask_b32_e32 v28, v37, v28, vcc
	v_cmp_ne_u32_e32 vcc, 0, v28
	v_cndmask_b32_e64 v28, v41, v39, s[0:1]
	v_cndmask_b32_e64 v38, v42, v40, s[0:1]
	v_cndmask_b32_e32 v3, v3, v28, vcc
	v_xor_b32_e32 v29, s56, v25
	v_cndmask_b32_e32 v27, v27, v38, vcc
	v_xor_b32_e32 v3, v3, v29
	v_xor_b32_e32 v27, v27, v29
	v_sub_co_u32_e32 v28, vcc, v3, v29
	v_subb_co_u32_e32 v29, vcc, v27, v29, vcc
                                        ; implicit-def: $vgpr37
.LBB51_41:                              ;   in Loop: Header=BB51_3 Depth=1
	s_andn2_saveexec_b64 s[0:1], s[54:55]
	s_cbranch_execz .LBB51_43
; %bb.42:                               ;   in Loop: Header=BB51_3 Depth=1
	v_rcp_iflag_f32_e32 v3, v37
	s_sub_i32 s54, 0, s28
	v_mul_f32_e32 v3, 0x4f7ffffe, v3
	v_cvt_u32_f32_e32 v3, v3
	v_mul_lo_u32 v27, s54, v3
	v_mul_hi_u32 v27, v3, v27
	v_add_u32_e32 v3, v3, v27
	v_mul_hi_u32 v3, v14, v3
	v_mul_lo_u32 v27, v3, s28
	v_sub_u32_e32 v27, v14, v27
	v_add_u32_e32 v28, 1, v3
	v_subrev_u32_e32 v29, s28, v27
	v_cmp_le_u32_e32 vcc, s28, v27
	v_cndmask_b32_e32 v27, v27, v29, vcc
	v_cndmask_b32_e32 v3, v3, v28, vcc
	v_add_u32_e32 v28, 1, v3
	v_cmp_le_u32_e32 vcc, s28, v27
	v_cndmask_b32_e32 v28, v3, v28, vcc
	v_mov_b32_e32 v29, v2
.LBB51_43:                              ;   in Loop: Header=BB51_3 Depth=1
	s_or_b64 exec, exec, s[0:1]
	v_mad_u64_u32 v[26:27], s[0:1], s8, v26, 0
	v_add3_u32 v27, v27, v31, v30
	v_mul_lo_u32 v3, v29, s28
	v_mul_lo_u32 v37, v28, s29
	v_mad_u64_u32 v[30:31], s[0:1], v28, s28, 0
	v_add3_u32 v3, v31, v37, v3
	v_sub_co_u32_e32 v30, vcc, v26, v30
	v_subb_co_u32_e32 v3, vcc, v27, v3, vcc
	v_add_co_u32_e32 v30, vcc, v0, v30
	v_addc_co_u32_e32 v3, vcc, v1, v3, vcc
	v_mul_lo_u32 v3, v3, s14
	v_mul_lo_u32 v37, v30, s15
	v_mad_u64_u32 v[30:31], s[0:1], v30, s14, 0
	v_add3_u32 v31, v31, v37, v3
	v_mul_lo_u32 v3, v29, s12
	v_mul_lo_u32 v37, v28, s13
	v_mad_u64_u32 v[28:29], s[0:1], v28, s12, 0
	v_add3_u32 v29, v29, v37, v3
	v_lshlrev_b64 v[28:29], 3, v[28:29]
	v_mov_b32_e32 v3, s3
	v_add_co_u32_e32 v37, vcc, s2, v28
	v_addc_co_u32_e32 v3, vcc, v3, v29, vcc
	v_lshlrev_b64 v[28:29], 3, v[30:31]
	v_add_co_u32_e32 v28, vcc, v37, v28
	v_addc_co_u32_e32 v29, vcc, v3, v29, vcc
	v_or_b32_e32 v3, s35, v19
	v_cmp_ne_u64_e32 vcc, 0, v[2:3]
	global_store_dwordx2 v[28:29], v[12:13], off
                                        ; implicit-def: $vgpr28_vgpr29
	s_and_saveexec_b64 s[0:1], vcc
	s_xor_b64 s[54:55], exec, s[0:1]
	s_cbranch_execz .LBB51_45
; %bb.44:                               ;   in Loop: Header=BB51_3 Depth=1
	s_ashr_i32 s56, s35, 31
	s_add_u32 s0, s34, s56
	s_mov_b32 s57, s56
	s_addc_u32 s1, s35, s56
	s_xor_b64 s[58:59], s[0:1], s[56:57]
	v_cvt_f32_u32_e32 v3, s58
	v_cvt_f32_u32_e32 v28, s59
	s_sub_u32 s0, 0, s58
	s_subb_u32 s1, 0, s59
	v_mac_f32_e32 v3, 0x4f800000, v28
	v_rcp_f32_e32 v3, v3
	v_mul_f32_e32 v3, 0x5f7ffffc, v3
	v_mul_f32_e32 v28, 0x2f800000, v3
	v_trunc_f32_e32 v28, v28
	v_mac_f32_e32 v3, 0xcf800000, v28
	v_cvt_u32_f32_e32 v28, v28
	v_cvt_u32_f32_e32 v3, v3
	v_mul_lo_u32 v29, s0, v28
	v_mul_hi_u32 v31, s0, v3
	v_mul_lo_u32 v30, s1, v3
	v_add_u32_e32 v29, v31, v29
	v_mul_lo_u32 v37, s0, v3
	v_add_u32_e32 v29, v29, v30
	v_mul_lo_u32 v31, v3, v29
	v_mul_hi_u32 v38, v3, v37
	v_mul_hi_u32 v30, v3, v29
	v_add_co_u32_e32 v31, vcc, v38, v31
	v_addc_co_u32_e32 v30, vcc, 0, v30, vcc
	v_mul_hi_u32 v39, v28, v37
	v_mul_lo_u32 v37, v28, v37
	v_add_co_u32_e32 v31, vcc, v31, v37
	v_mul_hi_u32 v38, v28, v29
	v_addc_co_u32_e32 v30, vcc, v30, v39, vcc
	v_addc_co_u32_e32 v31, vcc, 0, v38, vcc
	v_mul_lo_u32 v29, v28, v29
	v_add_co_u32_e32 v29, vcc, v30, v29
	v_addc_co_u32_e32 v30, vcc, 0, v31, vcc
	v_add_co_u32_e32 v3, vcc, v3, v29
	v_addc_co_u32_e32 v28, vcc, v28, v30, vcc
	v_mul_lo_u32 v29, s0, v28
	v_mul_hi_u32 v30, s0, v3
	v_add_u32_e32 v29, v30, v29
	v_mul_lo_u32 v30, s1, v3
	v_add_u32_e32 v29, v29, v30
	v_mul_lo_u32 v31, s0, v3
	v_mul_hi_u32 v37, v28, v31
	v_mul_lo_u32 v38, v28, v31
	v_mul_lo_u32 v40, v3, v29
	v_mul_hi_u32 v31, v3, v31
	v_mul_hi_u32 v39, v3, v29
	v_add_co_u32_e32 v31, vcc, v31, v40
	v_addc_co_u32_e32 v39, vcc, 0, v39, vcc
	v_add_co_u32_e32 v31, vcc, v31, v38
	v_mul_hi_u32 v30, v28, v29
	v_addc_co_u32_e32 v31, vcc, v39, v37, vcc
	v_addc_co_u32_e32 v30, vcc, 0, v30, vcc
	v_mul_lo_u32 v29, v28, v29
	v_add_co_u32_e32 v29, vcc, v31, v29
	v_addc_co_u32_e32 v30, vcc, 0, v30, vcc
	v_add_co_u32_e32 v3, vcc, v3, v29
	v_addc_co_u32_e32 v28, vcc, v28, v30, vcc
	v_add_co_u32_e32 v18, vcc, v18, v34
	v_addc_co_u32_e32 v19, vcc, v19, v34, vcc
	v_xor_b32_e32 v31, v18, v34
	v_xor_b32_e32 v30, v19, v34
	v_mad_u64_u32 v[18:19], s[0:1], v31, v28, 0
	v_mul_hi_u32 v29, v31, v3
	v_add_co_u32_e32 v37, vcc, v29, v18
	v_addc_co_u32_e32 v38, vcc, 0, v19, vcc
	v_mad_u64_u32 v[18:19], s[0:1], v30, v28, 0
	v_mad_u64_u32 v[28:29], s[0:1], v30, v3, 0
	v_add_co_u32_e32 v3, vcc, v37, v28
	v_addc_co_u32_e32 v3, vcc, v38, v29, vcc
	v_addc_co_u32_e32 v19, vcc, 0, v19, vcc
	v_add_co_u32_e32 v3, vcc, v3, v18
	v_addc_co_u32_e32 v28, vcc, 0, v19, vcc
	v_mul_lo_u32 v29, s59, v3
	v_mul_lo_u32 v37, s58, v28
	v_mad_u64_u32 v[18:19], s[0:1], s58, v3, 0
	v_add3_u32 v19, v19, v37, v29
	v_sub_u32_e32 v29, v30, v19
	v_mov_b32_e32 v37, s59
	v_sub_co_u32_e32 v18, vcc, v31, v18
	v_subb_co_u32_e64 v29, s[0:1], v29, v37, vcc
	v_subrev_co_u32_e64 v31, s[0:1], s58, v18
	v_subbrev_co_u32_e64 v29, s[0:1], 0, v29, s[0:1]
	v_cmp_le_u32_e64 s[0:1], s59, v29
	v_cndmask_b32_e64 v37, 0, -1, s[0:1]
	v_cmp_le_u32_e64 s[0:1], s58, v31
	v_cndmask_b32_e64 v31, 0, -1, s[0:1]
	v_cmp_eq_u32_e64 s[0:1], s59, v29
	v_cndmask_b32_e64 v29, v37, v31, s[0:1]
	v_add_co_u32_e64 v31, s[0:1], 2, v3
	v_subb_co_u32_e32 v19, vcc, v30, v19, vcc
	v_addc_co_u32_e64 v37, s[0:1], 0, v28, s[0:1]
	v_cmp_le_u32_e32 vcc, s59, v19
	v_add_co_u32_e64 v38, s[0:1], 1, v3
	v_cndmask_b32_e64 v30, 0, -1, vcc
	v_cmp_le_u32_e32 vcc, s58, v18
	v_addc_co_u32_e64 v39, s[0:1], 0, v28, s[0:1]
	v_cndmask_b32_e64 v18, 0, -1, vcc
	v_cmp_eq_u32_e32 vcc, s59, v19
	v_cmp_ne_u32_e64 s[0:1], 0, v29
	v_cndmask_b32_e32 v18, v30, v18, vcc
	v_cmp_ne_u32_e32 vcc, 0, v18
	v_cndmask_b32_e64 v19, v38, v31, s[0:1]
	v_cndmask_b32_e64 v29, v39, v37, s[0:1]
	v_cndmask_b32_e32 v3, v3, v19, vcc
	v_xor_b32_e32 v19, s56, v34
	v_cndmask_b32_e32 v18, v28, v29, vcc
	v_xor_b32_e32 v3, v3, v19
	v_xor_b32_e32 v18, v18, v19
	v_sub_co_u32_e32 v28, vcc, v3, v19
	v_subb_co_u32_e32 v29, vcc, v18, v19, vcc
                                        ; implicit-def: $vgpr18_vgpr19
.LBB51_45:                              ;   in Loop: Header=BB51_3 Depth=1
	s_or_saveexec_b64 s[0:1], s[54:55]
	v_cvt_f32_u32_e32 v30, s34
	s_xor_b64 exec, exec, s[0:1]
	s_cbranch_execz .LBB51_47
; %bb.46:                               ;   in Loop: Header=BB51_3 Depth=1
	v_rcp_iflag_f32_e32 v3, v30
	s_sub_i32 s54, 0, s34
	v_mov_b32_e32 v29, v2
	v_mul_f32_e32 v3, 0x4f7ffffe, v3
	v_cvt_u32_f32_e32 v3, v3
	v_mul_lo_u32 v19, s54, v3
	v_mul_hi_u32 v19, v3, v19
	v_add_u32_e32 v3, v3, v19
	v_mul_hi_u32 v3, v18, v3
	v_mul_lo_u32 v19, v3, s34
	v_sub_u32_e32 v18, v18, v19
	v_add_u32_e32 v28, 1, v3
	v_subrev_u32_e32 v19, s34, v18
	v_cmp_le_u32_e32 vcc, s34, v18
	v_cndmask_b32_e32 v18, v18, v19, vcc
	v_cndmask_b32_e32 v3, v3, v28, vcc
	v_add_u32_e32 v19, 1, v3
	v_cmp_le_u32_e32 vcc, s34, v18
	v_cndmask_b32_e32 v28, v3, v19, vcc
.LBB51_47:                              ;   in Loop: Header=BB51_3 Depth=1
	s_or_b64 exec, exec, s[0:1]
	v_mul_lo_u32 v3, v29, s34
	v_mul_lo_u32 v31, v28, s35
	v_mad_u64_u32 v[18:19], s[0:1], v28, s34, 0
	v_add3_u32 v3, v19, v31, v3
	v_sub_co_u32_e32 v18, vcc, v22, v18
	v_subb_co_u32_e32 v3, vcc, v35, v3, vcc
	v_add_co_u32_e32 v18, vcc, v0, v18
	v_addc_co_u32_e32 v3, vcc, v1, v3, vcc
	v_mul_lo_u32 v3, v3, s18
	v_mul_lo_u32 v22, v18, s19
	v_mad_u64_u32 v[18:19], s[0:1], v18, s18, 0
	v_add3_u32 v19, v19, v22, v3
	v_mul_lo_u32 v3, v29, s16
	v_mul_lo_u32 v22, v28, s17
	v_mad_u64_u32 v[28:29], s[0:1], v28, s16, 0
	v_add3_u32 v29, v29, v22, v3
	v_lshlrev_b64 v[28:29], 3, v[28:29]
	v_mov_b32_e32 v3, s31
	v_add_co_u32_e32 v22, vcc, s30, v28
	v_addc_co_u32_e32 v3, vcc, v3, v29, vcc
	v_lshlrev_b64 v[18:19], 3, v[18:19]
	v_add_co_u32_e32 v18, vcc, v22, v18
	v_addc_co_u32_e32 v19, vcc, v3, v19, vcc
	v_or_b32_e32 v3, s35, v9
	v_cmp_ne_u64_e32 vcc, 0, v[2:3]
	global_store_dwordx2 v[18:19], v[20:21], off
                                        ; implicit-def: $vgpr18_vgpr19
	s_and_saveexec_b64 s[0:1], vcc
	s_xor_b64 s[54:55], exec, s[0:1]
	s_cbranch_execz .LBB51_49
; %bb.48:                               ;   in Loop: Header=BB51_3 Depth=1
	s_ashr_i32 s56, s35, 31
	s_add_u32 s0, s34, s56
	s_mov_b32 s57, s56
	s_addc_u32 s1, s35, s56
	s_xor_b64 s[58:59], s[0:1], s[56:57]
	v_cvt_f32_u32_e32 v3, s58
	v_cvt_f32_u32_e32 v18, s59
	s_sub_u32 s0, 0, s58
	s_subb_u32 s1, 0, s59
	v_mac_f32_e32 v3, 0x4f800000, v18
	v_rcp_f32_e32 v3, v3
	v_mul_f32_e32 v3, 0x5f7ffffc, v3
	v_mul_f32_e32 v18, 0x2f800000, v3
	v_trunc_f32_e32 v18, v18
	v_mac_f32_e32 v3, 0xcf800000, v18
	v_cvt_u32_f32_e32 v18, v18
	v_cvt_u32_f32_e32 v3, v3
	v_mul_lo_u32 v19, s0, v18
	v_mul_hi_u32 v21, s0, v3
	v_mul_lo_u32 v20, s1, v3
	v_add_u32_e32 v19, v21, v19
	v_mul_lo_u32 v22, s0, v3
	v_add_u32_e32 v19, v19, v20
	v_mul_lo_u32 v21, v3, v19
	v_mul_hi_u32 v28, v3, v22
	v_mul_hi_u32 v20, v3, v19
	v_add_co_u32_e32 v21, vcc, v28, v21
	v_addc_co_u32_e32 v20, vcc, 0, v20, vcc
	v_mul_hi_u32 v29, v18, v22
	v_mul_lo_u32 v22, v18, v22
	v_add_co_u32_e32 v21, vcc, v21, v22
	v_mul_hi_u32 v28, v18, v19
	v_addc_co_u32_e32 v20, vcc, v20, v29, vcc
	v_addc_co_u32_e32 v21, vcc, 0, v28, vcc
	v_mul_lo_u32 v19, v18, v19
	v_add_co_u32_e32 v19, vcc, v20, v19
	v_addc_co_u32_e32 v20, vcc, 0, v21, vcc
	v_add_co_u32_e32 v3, vcc, v3, v19
	v_addc_co_u32_e32 v18, vcc, v18, v20, vcc
	v_mul_lo_u32 v19, s0, v18
	v_mul_hi_u32 v20, s0, v3
	v_add_u32_e32 v19, v20, v19
	v_mul_lo_u32 v20, s1, v3
	v_add_u32_e32 v19, v19, v20
	v_mul_lo_u32 v21, s0, v3
	v_mul_hi_u32 v22, v18, v21
	v_mul_lo_u32 v28, v18, v21
	v_mul_lo_u32 v31, v3, v19
	v_mul_hi_u32 v21, v3, v21
	v_mul_hi_u32 v29, v3, v19
	v_add_co_u32_e32 v21, vcc, v21, v31
	v_addc_co_u32_e32 v29, vcc, 0, v29, vcc
	v_add_co_u32_e32 v21, vcc, v21, v28
	v_mul_hi_u32 v20, v18, v19
	v_addc_co_u32_e32 v21, vcc, v29, v22, vcc
	v_addc_co_u32_e32 v20, vcc, 0, v20, vcc
	v_mul_lo_u32 v19, v18, v19
	v_add_co_u32_e32 v19, vcc, v21, v19
	v_addc_co_u32_e32 v20, vcc, 0, v20, vcc
	v_add_co_u32_e32 v3, vcc, v3, v19
	v_addc_co_u32_e32 v18, vcc, v18, v20, vcc
	;; [unrolled: 2-line block ×3, first 2 shown]
	v_xor_b32_e32 v21, v8, v23
	v_xor_b32_e32 v20, v9, v23
	v_mad_u64_u32 v[8:9], s[0:1], v21, v18, 0
	v_mul_hi_u32 v19, v21, v3
	v_add_co_u32_e32 v22, vcc, v19, v8
	v_addc_co_u32_e32 v28, vcc, 0, v9, vcc
	v_mad_u64_u32 v[8:9], s[0:1], v20, v18, 0
	v_mad_u64_u32 v[18:19], s[0:1], v20, v3, 0
	v_add_co_u32_e32 v3, vcc, v22, v18
	v_addc_co_u32_e32 v3, vcc, v28, v19, vcc
	v_addc_co_u32_e32 v9, vcc, 0, v9, vcc
	v_add_co_u32_e32 v3, vcc, v3, v8
	v_addc_co_u32_e32 v18, vcc, 0, v9, vcc
	v_mul_lo_u32 v19, s59, v3
	v_mul_lo_u32 v22, s58, v18
	v_mad_u64_u32 v[8:9], s[0:1], s58, v3, 0
	v_add3_u32 v9, v9, v22, v19
	v_sub_u32_e32 v19, v20, v9
	v_mov_b32_e32 v22, s59
	v_sub_co_u32_e32 v8, vcc, v21, v8
	v_subb_co_u32_e64 v19, s[0:1], v19, v22, vcc
	v_subrev_co_u32_e64 v21, s[0:1], s58, v8
	v_subbrev_co_u32_e64 v19, s[0:1], 0, v19, s[0:1]
	v_cmp_le_u32_e64 s[0:1], s59, v19
	v_cndmask_b32_e64 v22, 0, -1, s[0:1]
	v_cmp_le_u32_e64 s[0:1], s58, v21
	v_cndmask_b32_e64 v21, 0, -1, s[0:1]
	v_cmp_eq_u32_e64 s[0:1], s59, v19
	v_cndmask_b32_e64 v19, v22, v21, s[0:1]
	v_add_co_u32_e64 v21, s[0:1], 2, v3
	v_subb_co_u32_e32 v9, vcc, v20, v9, vcc
	v_addc_co_u32_e64 v22, s[0:1], 0, v18, s[0:1]
	v_cmp_le_u32_e32 vcc, s59, v9
	v_add_co_u32_e64 v28, s[0:1], 1, v3
	v_cndmask_b32_e64 v20, 0, -1, vcc
	v_cmp_le_u32_e32 vcc, s58, v8
	v_addc_co_u32_e64 v29, s[0:1], 0, v18, s[0:1]
	v_cndmask_b32_e64 v8, 0, -1, vcc
	v_cmp_eq_u32_e32 vcc, s59, v9
	v_cmp_ne_u32_e64 s[0:1], 0, v19
	v_cndmask_b32_e32 v8, v20, v8, vcc
	v_cmp_ne_u32_e32 vcc, 0, v8
	v_cndmask_b32_e64 v9, v28, v21, s[0:1]
	v_cndmask_b32_e64 v19, v29, v22, s[0:1]
	v_cndmask_b32_e32 v3, v3, v9, vcc
	v_xor_b32_e32 v9, s56, v23
	v_cndmask_b32_e32 v8, v18, v19, vcc
	v_xor_b32_e32 v3, v3, v9
	v_xor_b32_e32 v8, v8, v9
	v_sub_co_u32_e32 v18, vcc, v3, v9
	v_subb_co_u32_e32 v19, vcc, v8, v9, vcc
                                        ; implicit-def: $vgpr8_vgpr9
.LBB51_49:                              ;   in Loop: Header=BB51_3 Depth=1
	s_andn2_saveexec_b64 s[0:1], s[54:55]
	s_cbranch_execz .LBB51_51
; %bb.50:                               ;   in Loop: Header=BB51_3 Depth=1
	v_rcp_iflag_f32_e32 v3, v30
	s_sub_i32 s54, 0, s34
	v_mov_b32_e32 v19, v2
	v_mul_f32_e32 v3, 0x4f7ffffe, v3
	v_cvt_u32_f32_e32 v3, v3
	v_mul_lo_u32 v9, s54, v3
	v_mul_hi_u32 v9, v3, v9
	v_add_u32_e32 v3, v3, v9
	v_mul_hi_u32 v3, v8, v3
	v_mul_lo_u32 v9, v3, s34
	v_sub_u32_e32 v8, v8, v9
	v_add_u32_e32 v18, 1, v3
	v_subrev_u32_e32 v9, s34, v8
	v_cmp_le_u32_e32 vcc, s34, v8
	v_cndmask_b32_e32 v8, v8, v9, vcc
	v_cndmask_b32_e32 v3, v3, v18, vcc
	v_add_u32_e32 v9, 1, v3
	v_cmp_le_u32_e32 vcc, s34, v8
	v_cndmask_b32_e32 v18, v3, v9, vcc
.LBB51_51:                              ;   in Loop: Header=BB51_3 Depth=1
	s_or_b64 exec, exec, s[0:1]
	v_mul_lo_u32 v3, v19, s34
	v_mul_lo_u32 v20, v18, s35
	v_mad_u64_u32 v[8:9], s[0:1], v18, s34, 0
	v_add3_u32 v3, v9, v20, v3
	v_sub_co_u32_e32 v8, vcc, v24, v8
	v_subb_co_u32_e32 v3, vcc, v36, v3, vcc
	v_add_co_u32_e32 v8, vcc, v0, v8
	v_addc_co_u32_e32 v3, vcc, v1, v3, vcc
	v_mul_lo_u32 v3, v3, s18
	v_mul_lo_u32 v20, v8, s19
	v_mad_u64_u32 v[8:9], s[0:1], v8, s18, 0
	v_add3_u32 v9, v9, v20, v3
	v_mul_lo_u32 v3, v19, s16
	v_mul_lo_u32 v20, v18, s17
	v_mad_u64_u32 v[18:19], s[0:1], v18, s16, 0
	v_add3_u32 v19, v19, v20, v3
	v_lshlrev_b64 v[18:19], 3, v[18:19]
	v_mov_b32_e32 v3, s31
	v_add_co_u32_e32 v18, vcc, s30, v18
	v_addc_co_u32_e32 v3, vcc, v3, v19, vcc
	v_lshlrev_b64 v[8:9], 3, v[8:9]
	v_add_co_u32_e32 v8, vcc, v18, v8
	v_addc_co_u32_e32 v9, vcc, v3, v9, vcc
	v_or_b32_e32 v3, s35, v15
	v_cmp_ne_u64_e32 vcc, 0, v[2:3]
	global_store_dwordx2 v[8:9], v[16:17], off
                                        ; implicit-def: $vgpr8_vgpr9
	s_and_saveexec_b64 s[0:1], vcc
	s_xor_b64 s[54:55], exec, s[0:1]
	s_cbranch_execz .LBB51_53
; %bb.52:                               ;   in Loop: Header=BB51_3 Depth=1
	s_ashr_i32 s56, s35, 31
	s_add_u32 s0, s34, s56
	s_mov_b32 s57, s56
	s_addc_u32 s1, s35, s56
	s_xor_b64 s[58:59], s[0:1], s[56:57]
	v_cvt_f32_u32_e32 v3, s58
	v_cvt_f32_u32_e32 v8, s59
	s_sub_u32 s0, 0, s58
	s_subb_u32 s1, 0, s59
                                        ; implicit-def: $vgpr30
	v_mac_f32_e32 v3, 0x4f800000, v8
	v_rcp_f32_e32 v3, v3
	v_mul_f32_e32 v3, 0x5f7ffffc, v3
	v_mul_f32_e32 v8, 0x2f800000, v3
	v_trunc_f32_e32 v8, v8
	v_mac_f32_e32 v3, 0xcf800000, v8
	v_cvt_u32_f32_e32 v8, v8
	v_cvt_u32_f32_e32 v3, v3
	v_mul_lo_u32 v9, s0, v8
	v_mul_hi_u32 v17, s0, v3
	v_mul_lo_u32 v16, s1, v3
	v_add_u32_e32 v9, v17, v9
	v_mul_lo_u32 v18, s0, v3
	v_add_u32_e32 v9, v9, v16
	v_mul_lo_u32 v17, v3, v9
	v_mul_hi_u32 v19, v3, v18
	v_mul_hi_u32 v16, v3, v9
	v_add_co_u32_e32 v17, vcc, v19, v17
	v_addc_co_u32_e32 v16, vcc, 0, v16, vcc
	v_mul_hi_u32 v20, v8, v18
	v_mul_lo_u32 v18, v8, v18
	v_add_co_u32_e32 v17, vcc, v17, v18
	v_mul_hi_u32 v19, v8, v9
	v_addc_co_u32_e32 v16, vcc, v16, v20, vcc
	v_addc_co_u32_e32 v17, vcc, 0, v19, vcc
	v_mul_lo_u32 v9, v8, v9
	v_add_co_u32_e32 v9, vcc, v16, v9
	v_addc_co_u32_e32 v16, vcc, 0, v17, vcc
	v_add_co_u32_e32 v3, vcc, v3, v9
	v_addc_co_u32_e32 v8, vcc, v8, v16, vcc
	v_mul_lo_u32 v9, s0, v8
	v_mul_hi_u32 v16, s0, v3
	v_add_u32_e32 v9, v16, v9
	v_mul_lo_u32 v16, s1, v3
	v_add_u32_e32 v9, v9, v16
	v_mul_lo_u32 v17, s0, v3
	v_mul_hi_u32 v18, v8, v17
	v_mul_lo_u32 v19, v8, v17
	v_mul_lo_u32 v21, v3, v9
	v_mul_hi_u32 v17, v3, v17
	v_mul_hi_u32 v20, v3, v9
	v_add_co_u32_e32 v17, vcc, v17, v21
	v_addc_co_u32_e32 v20, vcc, 0, v20, vcc
	v_add_co_u32_e32 v17, vcc, v17, v19
	v_mul_hi_u32 v16, v8, v9
	v_addc_co_u32_e32 v17, vcc, v20, v18, vcc
	v_addc_co_u32_e32 v16, vcc, 0, v16, vcc
	v_mul_lo_u32 v9, v8, v9
	v_add_co_u32_e32 v9, vcc, v17, v9
	v_addc_co_u32_e32 v16, vcc, 0, v16, vcc
	v_add_co_u32_e32 v3, vcc, v3, v9
	v_addc_co_u32_e32 v16, vcc, v8, v16, vcc
	;; [unrolled: 2-line block ×3, first 2 shown]
	v_xor_b32_e32 v18, v8, v25
	v_xor_b32_e32 v17, v9, v25
	v_mad_u64_u32 v[8:9], s[0:1], v18, v16, 0
	v_mul_hi_u32 v14, v18, v3
	v_add_co_u32_e32 v19, vcc, v14, v8
	v_addc_co_u32_e32 v20, vcc, 0, v9, vcc
	v_mad_u64_u32 v[14:15], s[0:1], v17, v3, 0
	v_add_co_u32_e32 v3, vcc, v19, v14
	v_mad_u64_u32 v[8:9], s[0:1], v17, v16, 0
	v_addc_co_u32_e32 v3, vcc, v20, v15, vcc
	v_addc_co_u32_e32 v9, vcc, 0, v9, vcc
	v_add_co_u32_e32 v3, vcc, v3, v8
	v_addc_co_u32_e32 v14, vcc, 0, v9, vcc
	v_mul_lo_u32 v15, s59, v3
	v_mul_lo_u32 v16, s58, v14
	v_mad_u64_u32 v[8:9], s[0:1], s58, v3, 0
	v_add3_u32 v9, v9, v16, v15
	v_sub_u32_e32 v15, v17, v9
	v_mov_b32_e32 v16, s59
	v_sub_co_u32_e32 v8, vcc, v18, v8
	v_subb_co_u32_e64 v15, s[0:1], v15, v16, vcc
	v_subrev_co_u32_e64 v16, s[0:1], s58, v8
	v_subbrev_co_u32_e64 v15, s[0:1], 0, v15, s[0:1]
	v_cmp_le_u32_e64 s[0:1], s59, v15
	v_cndmask_b32_e64 v18, 0, -1, s[0:1]
	v_cmp_le_u32_e64 s[0:1], s58, v16
	v_cndmask_b32_e64 v16, 0, -1, s[0:1]
	v_cmp_eq_u32_e64 s[0:1], s59, v15
	v_cndmask_b32_e64 v15, v18, v16, s[0:1]
	v_add_co_u32_e64 v16, s[0:1], 2, v3
	v_subb_co_u32_e32 v9, vcc, v17, v9, vcc
	v_addc_co_u32_e64 v18, s[0:1], 0, v14, s[0:1]
	v_cmp_le_u32_e32 vcc, s59, v9
	v_add_co_u32_e64 v19, s[0:1], 1, v3
	v_cndmask_b32_e64 v17, 0, -1, vcc
	v_cmp_le_u32_e32 vcc, s58, v8
	v_addc_co_u32_e64 v20, s[0:1], 0, v14, s[0:1]
	v_cndmask_b32_e64 v8, 0, -1, vcc
	v_cmp_eq_u32_e32 vcc, s59, v9
	v_cmp_ne_u32_e64 s[0:1], 0, v15
	v_cndmask_b32_e32 v8, v17, v8, vcc
	v_cmp_ne_u32_e32 vcc, 0, v8
	v_cndmask_b32_e64 v9, v19, v16, s[0:1]
	v_cndmask_b32_e64 v15, v20, v18, s[0:1]
	v_cndmask_b32_e32 v3, v3, v9, vcc
	v_xor_b32_e32 v9, s56, v25
	v_cndmask_b32_e32 v8, v14, v15, vcc
	v_xor_b32_e32 v3, v3, v9
	v_xor_b32_e32 v14, v8, v9
	v_sub_co_u32_e32 v8, vcc, v3, v9
	v_subb_co_u32_e32 v9, vcc, v14, v9, vcc
                                        ; implicit-def: $vgpr14_vgpr15
.LBB51_53:                              ;   in Loop: Header=BB51_3 Depth=1
	s_andn2_saveexec_b64 s[0:1], s[54:55]
	s_cbranch_execz .LBB51_55
; %bb.54:                               ;   in Loop: Header=BB51_3 Depth=1
	v_rcp_iflag_f32_e32 v3, v30
	s_sub_i32 s54, 0, s34
	v_mul_f32_e32 v3, 0x4f7ffffe, v3
	v_cvt_u32_f32_e32 v3, v3
	v_mul_lo_u32 v8, s54, v3
	v_mul_hi_u32 v8, v3, v8
	v_add_u32_e32 v3, v3, v8
	v_mul_hi_u32 v3, v14, v3
	v_mul_lo_u32 v8, v3, s34
	v_sub_u32_e32 v8, v14, v8
	v_add_u32_e32 v9, 1, v3
	v_subrev_u32_e32 v14, s34, v8
	v_cmp_le_u32_e32 vcc, s34, v8
	v_cndmask_b32_e32 v8, v8, v14, vcc
	v_cndmask_b32_e32 v3, v3, v9, vcc
	v_add_u32_e32 v9, 1, v3
	v_cmp_le_u32_e32 vcc, s34, v8
	v_cndmask_b32_e32 v8, v3, v9, vcc
	v_mov_b32_e32 v9, v2
.LBB51_55:                              ;   in Loop: Header=BB51_3 Depth=1
	s_or_b64 exec, exec, s[0:1]
	v_mul_f64 v[4:5], v[4:5], v[12:13]
	v_mul_lo_u32 v3, v9, s34
	v_mul_lo_u32 v14, v8, s35
	v_mad_u64_u32 v[12:13], s[0:1], v8, s34, 0
	v_add3_u32 v3, v13, v14, v3
	v_sub_co_u32_e32 v12, vcc, v26, v12
	v_subb_co_u32_e32 v3, vcc, v27, v3, vcc
	v_add_co_u32_e32 v12, vcc, v0, v12
	v_addc_co_u32_e32 v3, vcc, v1, v3, vcc
	v_mul_lo_u32 v3, v3, s18
	v_mul_lo_u32 v14, v12, s19
	v_mad_u64_u32 v[12:13], s[0:1], v12, s18, 0
	v_add3_u32 v13, v13, v14, v3
	v_mul_lo_u32 v3, v9, s16
	v_mul_lo_u32 v14, v8, s17
	v_mad_u64_u32 v[8:9], s[0:1], v8, s16, 0
	v_add3_u32 v9, v9, v14, v3
	v_lshlrev_b64 v[8:9], 3, v[8:9]
	v_mov_b32_e32 v3, s31
	v_add_co_u32_e32 v14, vcc, s30, v8
	v_addc_co_u32_e32 v3, vcc, v3, v9, vcc
	v_lshlrev_b64 v[8:9], 3, v[12:13]
	v_add_co_u32_e32 v8, vcc, v14, v8
	v_addc_co_u32_e32 v9, vcc, v3, v9, vcc
	v_or_b32_e32 v3, s43, v1
	v_cmp_ne_u64_e32 vcc, 0, v[2:3]
	global_store_dwordx2 v[8:9], v[4:5], off
                                        ; implicit-def: $vgpr4_vgpr5
	s_and_saveexec_b64 s[0:1], vcc
	s_xor_b64 s[54:55], exec, s[0:1]
	s_cbranch_execz .LBB51_57
; %bb.56:                               ;   in Loop: Header=BB51_3 Depth=1
	s_ashr_i32 s56, s43, 31
	s_add_u32 s0, s42, s56
	s_mov_b32 s57, s56
	s_addc_u32 s1, s43, s56
	s_xor_b64 s[58:59], s[0:1], s[56:57]
	v_cvt_f32_u32_e32 v3, s58
	v_cvt_f32_u32_e32 v4, s59
	s_sub_u32 s0, 0, s58
	s_subb_u32 s1, 0, s59
	v_mac_f32_e32 v3, 0x4f800000, v4
	v_rcp_f32_e32 v3, v3
	v_mul_f32_e32 v3, 0x5f7ffffc, v3
	v_mul_f32_e32 v4, 0x2f800000, v3
	v_trunc_f32_e32 v4, v4
	v_mac_f32_e32 v3, 0xcf800000, v4
	v_cvt_u32_f32_e32 v4, v4
	v_cvt_u32_f32_e32 v3, v3
	v_mul_lo_u32 v5, s0, v4
	v_mul_hi_u32 v9, s0, v3
	v_mul_lo_u32 v8, s1, v3
	v_add_u32_e32 v5, v9, v5
	v_mul_lo_u32 v12, s0, v3
	v_add_u32_e32 v5, v5, v8
	v_mul_lo_u32 v9, v3, v5
	v_mul_hi_u32 v13, v3, v12
	v_mul_hi_u32 v8, v3, v5
	v_add_co_u32_e32 v9, vcc, v13, v9
	v_addc_co_u32_e32 v8, vcc, 0, v8, vcc
	v_mul_hi_u32 v14, v4, v12
	v_mul_lo_u32 v12, v4, v12
	v_add_co_u32_e32 v9, vcc, v9, v12
	v_mul_hi_u32 v13, v4, v5
	v_addc_co_u32_e32 v8, vcc, v8, v14, vcc
	v_addc_co_u32_e32 v9, vcc, 0, v13, vcc
	v_mul_lo_u32 v5, v4, v5
	v_add_co_u32_e32 v5, vcc, v8, v5
	v_addc_co_u32_e32 v8, vcc, 0, v9, vcc
	v_add_co_u32_e32 v3, vcc, v3, v5
	v_addc_co_u32_e32 v4, vcc, v4, v8, vcc
	v_mul_lo_u32 v5, s0, v4
	v_mul_hi_u32 v8, s0, v3
	v_add_u32_e32 v5, v8, v5
	v_mul_lo_u32 v8, s1, v3
	v_add_u32_e32 v5, v5, v8
	v_mul_lo_u32 v9, s0, v3
	v_mul_hi_u32 v12, v4, v9
	v_mul_lo_u32 v13, v4, v9
	v_mul_lo_u32 v15, v3, v5
	v_mul_hi_u32 v9, v3, v9
	v_mul_hi_u32 v14, v3, v5
	v_add_co_u32_e32 v9, vcc, v9, v15
	v_addc_co_u32_e32 v14, vcc, 0, v14, vcc
	v_add_co_u32_e32 v9, vcc, v9, v13
	v_mul_hi_u32 v8, v4, v5
	v_addc_co_u32_e32 v9, vcc, v14, v12, vcc
	v_addc_co_u32_e32 v8, vcc, 0, v8, vcc
	v_mul_lo_u32 v5, v4, v5
	v_add_co_u32_e32 v5, vcc, v9, v5
	v_addc_co_u32_e32 v8, vcc, 0, v8, vcc
	v_add_co_u32_e32 v3, vcc, v3, v5
	v_addc_co_u32_e32 v8, vcc, v4, v8, vcc
	;; [unrolled: 2-line block ×3, first 2 shown]
	v_xor_b32_e32 v13, v4, v33
	v_xor_b32_e32 v12, v5, v33
	v_mad_u64_u32 v[4:5], s[0:1], v13, v8, 0
	v_mul_hi_u32 v9, v13, v3
	v_add_co_u32_e32 v14, vcc, v9, v4
	v_addc_co_u32_e32 v15, vcc, 0, v5, vcc
	v_mad_u64_u32 v[4:5], s[0:1], v12, v8, 0
	v_mad_u64_u32 v[8:9], s[0:1], v12, v3, 0
	v_add_co_u32_e32 v3, vcc, v14, v8
	v_addc_co_u32_e32 v3, vcc, v15, v9, vcc
	v_addc_co_u32_e32 v5, vcc, 0, v5, vcc
	v_add_co_u32_e32 v3, vcc, v3, v4
	v_addc_co_u32_e32 v8, vcc, 0, v5, vcc
	v_mul_lo_u32 v9, s59, v3
	v_mul_lo_u32 v14, s58, v8
	v_mad_u64_u32 v[4:5], s[0:1], s58, v3, 0
	v_add3_u32 v5, v5, v14, v9
	v_sub_u32_e32 v9, v12, v5
	v_mov_b32_e32 v14, s59
	v_sub_co_u32_e32 v4, vcc, v13, v4
	v_subb_co_u32_e64 v9, s[0:1], v9, v14, vcc
	v_subrev_co_u32_e64 v13, s[0:1], s58, v4
	v_subbrev_co_u32_e64 v9, s[0:1], 0, v9, s[0:1]
	v_cmp_le_u32_e64 s[0:1], s59, v9
	v_cndmask_b32_e64 v14, 0, -1, s[0:1]
	v_cmp_le_u32_e64 s[0:1], s58, v13
	v_cndmask_b32_e64 v13, 0, -1, s[0:1]
	v_cmp_eq_u32_e64 s[0:1], s59, v9
	v_cndmask_b32_e64 v9, v14, v13, s[0:1]
	v_add_co_u32_e64 v13, s[0:1], 2, v3
	v_subb_co_u32_e32 v5, vcc, v12, v5, vcc
	v_addc_co_u32_e64 v14, s[0:1], 0, v8, s[0:1]
	v_cmp_le_u32_e32 vcc, s59, v5
	v_add_co_u32_e64 v15, s[0:1], 1, v3
	v_cndmask_b32_e64 v12, 0, -1, vcc
	v_cmp_le_u32_e32 vcc, s58, v4
	v_addc_co_u32_e64 v16, s[0:1], 0, v8, s[0:1]
	v_cndmask_b32_e64 v4, 0, -1, vcc
	v_cmp_eq_u32_e32 vcc, s59, v5
	v_cmp_ne_u32_e64 s[0:1], 0, v9
	v_cndmask_b32_e32 v4, v12, v4, vcc
	v_cmp_ne_u32_e32 vcc, 0, v4
	v_cndmask_b32_e64 v5, v15, v13, s[0:1]
	v_cndmask_b32_e64 v9, v16, v14, s[0:1]
	v_cndmask_b32_e32 v3, v3, v5, vcc
	v_xor_b32_e32 v5, s56, v33
	v_cndmask_b32_e32 v4, v8, v9, vcc
	v_xor_b32_e32 v3, v3, v5
	v_xor_b32_e32 v8, v4, v5
	v_sub_co_u32_e32 v4, vcc, v3, v5
	v_subb_co_u32_e32 v5, vcc, v8, v5, vcc
.LBB51_57:                              ;   in Loop: Header=BB51_3 Depth=1
	s_andn2_saveexec_b64 s[0:1], s[54:55]
	s_cbranch_execz .LBB51_2
; %bb.58:                               ;   in Loop: Header=BB51_3 Depth=1
	v_cvt_f32_u32_e32 v3, s42
	s_sub_i32 s54, 0, s42
	v_rcp_iflag_f32_e32 v3, v3
	v_mul_f32_e32 v3, 0x4f7ffffe, v3
	v_cvt_u32_f32_e32 v3, v3
	v_mul_lo_u32 v4, s54, v3
	v_mul_hi_u32 v4, v3, v4
	v_add_u32_e32 v3, v3, v4
	v_mul_hi_u32 v3, v0, v3
	v_mul_lo_u32 v4, v3, s42
	v_sub_u32_e32 v4, v0, v4
	v_add_u32_e32 v5, 1, v3
	v_subrev_u32_e32 v8, s42, v4
	v_cmp_le_u32_e32 vcc, s42, v4
	v_cndmask_b32_e32 v4, v4, v8, vcc
	v_cndmask_b32_e32 v3, v3, v5, vcc
	v_add_u32_e32 v5, 1, v3
	v_cmp_le_u32_e32 vcc, s42, v4
	v_cndmask_b32_e32 v4, v3, v5, vcc
	v_mov_b32_e32 v5, v2
	s_branch .LBB51_2
.LBB51_59:
	s_endpgm
	.section	.rodata,"a",@progbits
	.p2align	6, 0x0
	.amdhsa_kernel _ZN2at6native12_GLOBAL__N_16kernel17gru_cell_backwardIddlLi2EEEvNS_4cuda6detail10TensorInfoIT_T1_EES9_S9_S9_S9_S8_S8_
		.amdhsa_group_segment_fixed_size 0
		.amdhsa_private_segment_fixed_size 0
		.amdhsa_kernarg_size 2352
		.amdhsa_user_sgpr_count 6
		.amdhsa_user_sgpr_private_segment_buffer 1
		.amdhsa_user_sgpr_dispatch_ptr 0
		.amdhsa_user_sgpr_queue_ptr 0
		.amdhsa_user_sgpr_kernarg_segment_ptr 1
		.amdhsa_user_sgpr_dispatch_id 0
		.amdhsa_user_sgpr_flat_scratch_init 0
		.amdhsa_user_sgpr_kernarg_preload_length 0
		.amdhsa_user_sgpr_kernarg_preload_offset 0
		.amdhsa_user_sgpr_private_segment_size 0
		.amdhsa_uses_dynamic_stack 0
		.amdhsa_system_sgpr_private_segment_wavefront_offset 0
		.amdhsa_system_sgpr_workgroup_id_x 1
		.amdhsa_system_sgpr_workgroup_id_y 0
		.amdhsa_system_sgpr_workgroup_id_z 0
		.amdhsa_system_sgpr_workgroup_info 0
		.amdhsa_system_vgpr_workitem_id 0
		.amdhsa_next_free_vgpr 45
		.amdhsa_next_free_sgpr 65
		.amdhsa_accum_offset 48
		.amdhsa_reserve_vcc 1
		.amdhsa_reserve_flat_scratch 0
		.amdhsa_float_round_mode_32 0
		.amdhsa_float_round_mode_16_64 0
		.amdhsa_float_denorm_mode_32 3
		.amdhsa_float_denorm_mode_16_64 3
		.amdhsa_dx10_clamp 1
		.amdhsa_ieee_mode 1
		.amdhsa_fp16_overflow 0
		.amdhsa_tg_split 0
		.amdhsa_exception_fp_ieee_invalid_op 0
		.amdhsa_exception_fp_denorm_src 0
		.amdhsa_exception_fp_ieee_div_zero 0
		.amdhsa_exception_fp_ieee_overflow 0
		.amdhsa_exception_fp_ieee_underflow 0
		.amdhsa_exception_fp_ieee_inexact 0
		.amdhsa_exception_int_div_zero 0
	.end_amdhsa_kernel
	.section	.text._ZN2at6native12_GLOBAL__N_16kernel17gru_cell_backwardIddlLi2EEEvNS_4cuda6detail10TensorInfoIT_T1_EES9_S9_S9_S9_S8_S8_,"axG",@progbits,_ZN2at6native12_GLOBAL__N_16kernel17gru_cell_backwardIddlLi2EEEvNS_4cuda6detail10TensorInfoIT_T1_EES9_S9_S9_S9_S8_S8_,comdat
.Lfunc_end51:
	.size	_ZN2at6native12_GLOBAL__N_16kernel17gru_cell_backwardIddlLi2EEEvNS_4cuda6detail10TensorInfoIT_T1_EES9_S9_S9_S9_S8_S8_, .Lfunc_end51-_ZN2at6native12_GLOBAL__N_16kernel17gru_cell_backwardIddlLi2EEEvNS_4cuda6detail10TensorInfoIT_T1_EES9_S9_S9_S9_S8_S8_
                                        ; -- End function
	.section	.AMDGPU.csdata,"",@progbits
; Kernel info:
; codeLenInByte = 13996
; NumSgprs: 69
; NumVgprs: 45
; NumAgprs: 0
; TotalNumVgprs: 45
; ScratchSize: 0
; MemoryBound: 0
; FloatMode: 240
; IeeeMode: 1
; LDSByteSize: 0 bytes/workgroup (compile time only)
; SGPRBlocks: 8
; VGPRBlocks: 5
; NumSGPRsForWavesPerEU: 69
; NumVGPRsForWavesPerEU: 45
; AccumOffset: 48
; Occupancy: 8
; WaveLimiterHint : 1
; COMPUTE_PGM_RSRC2:SCRATCH_EN: 0
; COMPUTE_PGM_RSRC2:USER_SGPR: 6
; COMPUTE_PGM_RSRC2:TRAP_HANDLER: 0
; COMPUTE_PGM_RSRC2:TGID_X_EN: 1
; COMPUTE_PGM_RSRC2:TGID_Y_EN: 0
; COMPUTE_PGM_RSRC2:TGID_Z_EN: 0
; COMPUTE_PGM_RSRC2:TIDIG_COMP_CNT: 0
; COMPUTE_PGM_RSRC3_GFX90A:ACCUM_OFFSET: 11
; COMPUTE_PGM_RSRC3_GFX90A:TG_SPLIT: 0
	.section	.text._ZN2at6native12_GLOBAL__N_16kernel17gru_cell_backwardIffiLi1EEEvNS_4cuda6detail10TensorInfoIT_T1_EES9_S9_S9_S9_S8_S8_,"axG",@progbits,_ZN2at6native12_GLOBAL__N_16kernel17gru_cell_backwardIffiLi1EEEvNS_4cuda6detail10TensorInfoIT_T1_EES9_S9_S9_S9_S8_S8_,comdat
	.globl	_ZN2at6native12_GLOBAL__N_16kernel17gru_cell_backwardIffiLi1EEEvNS_4cuda6detail10TensorInfoIT_T1_EES9_S9_S9_S9_S8_S8_ ; -- Begin function _ZN2at6native12_GLOBAL__N_16kernel17gru_cell_backwardIffiLi1EEEvNS_4cuda6detail10TensorInfoIT_T1_EES9_S9_S9_S9_S8_S8_
	.p2align	8
	.type	_ZN2at6native12_GLOBAL__N_16kernel17gru_cell_backwardIffiLi1EEEvNS_4cuda6detail10TensorInfoIT_T1_EES9_S9_S9_S9_S8_S8_,@function
_ZN2at6native12_GLOBAL__N_16kernel17gru_cell_backwardIffiLi1EEEvNS_4cuda6detail10TensorInfoIT_T1_EES9_S9_S9_S9_S8_S8_: ; @_ZN2at6native12_GLOBAL__N_16kernel17gru_cell_backwardIffiLi1EEEvNS_4cuda6detail10TensorInfoIT_T1_EES9_S9_S9_S9_S8_S8_
; %bb.0:
	s_load_dword s7, s[4:5], 0x44c
	s_load_dwordx2 s[2:3], s[4:5], 0x438
	s_add_u32 s0, s4, 0x440
	s_addc_u32 s1, s5, 0
	s_waitcnt lgkmcnt(0)
	s_and_b32 s20, s7, 0xffff
	s_mul_i32 s6, s6, s20
	v_add_u32_e32 v0, s6, v0
	v_cmp_gt_i32_e32 vcc, s3, v0
	s_and_saveexec_b64 s[6:7], vcc
	s_cbranch_execz .LBB52_3
; %bb.1:
	s_abs_i32 s18, s2
	v_cvt_f32_u32_e32 v1, s18
	s_load_dwordx2 s[6:7], s[4:5], 0x0
	s_load_dword s16, s[4:5], 0x6c
	s_load_dwordx2 s[8:9], s[4:5], 0xd8
	s_load_dword s17, s[4:5], 0x144
	;; [unrolled: 2-line block ×4, first 2 shown]
	s_load_dword s21, s[0:1], 0x0
	s_load_dwordx2 s[14:15], s[4:5], 0x360
	s_load_dword s19, s[4:5], 0x3cc
	v_rcp_iflag_f32_e32 v1, v1
	s_sub_i32 s0, 0, s18
	s_waitcnt lgkmcnt(0)
	s_mul_i32 s20, s21, s20
	s_ashr_i32 s21, s2, 31
	v_mul_f32_e32 v1, 0x4f7ffffe, v1
	v_cvt_u32_f32_e32 v1, v1
	s_lshl_b32 s22, s2, 2
	s_lshl_b32 s23, s2, 1
	v_mul_lo_u32 v4, v0, s25
	v_mul_lo_u32 v2, s0, v1
	v_mul_hi_u32 v2, v1, v2
	v_add_u32_e32 v1, v1, v2
	v_mul_lo_u32 v2, v0, s24
	s_mul_i32 s24, s20, s24
	s_mul_i32 s25, s20, s25
	s_mov_b64 s[4:5], 0
	v_mov_b32_e32 v6, s15
	v_mov_b32_e32 v7, s11
	;; [unrolled: 1-line block ×5, first 2 shown]
.LBB52_2:                               ; =>This Inner Loop Header: Depth=1
	v_sub_u32_e32 v12, 0, v0
	v_ashrrev_i32_e32 v3, 31, v2
	v_max_i32_e32 v16, v0, v12
	v_lshlrev_b64 v[12:13], 2, v[2:3]
	v_mul_hi_u32 v3, v16, v1
	v_add_co_u32_e32 v12, vcc, s10, v12
	v_addc_co_u32_e32 v13, vcc, v7, v13, vcc
	v_mul_lo_u32 v17, v3, s18
	global_load_dword v26, v[12:13], off
	v_sub_u32_e32 v12, v16, v17
	v_add_u32_e32 v18, 1, v3
	v_cmp_le_u32_e32 vcc, s18, v12
	v_subrev_u32_e32 v13, s18, v12
	v_cndmask_b32_e32 v3, v3, v18, vcc
	v_cndmask_b32_e32 v12, v12, v13, vcc
	v_ashrrev_i32_e32 v11, 31, v0
	v_add_u32_e32 v13, 1, v3
	v_cmp_le_u32_e32 vcc, s18, v12
	v_xor_b32_e32 v11, s21, v11
	v_cndmask_b32_e32 v3, v3, v13, vcc
	v_xor_b32_e32 v3, v3, v11
	v_ashrrev_i32_e32 v5, 31, v4
	v_sub_u32_e32 v24, v3, v11
	v_lshlrev_b64 v[14:15], 2, v[4:5]
	v_lshlrev_b32_e32 v5, 2, v11
	v_lshlrev_b32_e32 v16, 2, v3
	v_mad_u64_u32 v[12:13], s[0:1], s22, v24, v[0:1]
	v_sub_u32_e32 v5, v16, v5
	v_mul_lo_u32 v12, v12, s19
	v_or_b32_e32 v16, 1, v5
	v_ashrrev_i32_e32 v13, 31, v12
	v_mad_u64_u32 v[16:17], s[0:1], s2, v16, v[0:1]
	v_lshlrev_b64 v[12:13], 2, v[12:13]
	v_or_b32_e32 v18, 2, v5
	v_mul_lo_u32 v16, v16, s19
	v_add_co_u32_e32 v12, vcc, s14, v12
	v_or_b32_e32 v20, 3, v5
	v_add_u32_e32 v5, 4, v5
	v_mad_u64_u32 v[18:19], s[0:1], s2, v18, v[0:1]
	v_addc_co_u32_e32 v13, vcc, v6, v13, vcc
	v_ashrrev_i32_e32 v17, 31, v16
	v_mad_u64_u32 v[22:23], s[0:1], s2, v5, v[0:1]
	v_mul_lo_u32 v18, v18, s19
	global_load_dword v5, v[12:13], off
	v_lshlrev_b64 v[12:13], 2, v[16:17]
	v_mad_u64_u32 v[20:21], s[0:1], s2, v20, v[0:1]
	v_ashrrev_i32_e32 v19, 31, v18
	v_add_co_u32_e32 v12, vcc, s14, v12
	v_mul_lo_u32 v20, v20, s19
	v_lshlrev_b64 v[16:17], 2, v[18:19]
	v_addc_co_u32_e32 v13, vcc, v6, v13, vcc
	v_ashrrev_i32_e32 v21, 31, v20
	v_add_co_u32_e32 v16, vcc, s14, v16
	v_mul_lo_u32 v22, v22, s19
	v_lshlrev_b64 v[18:19], 2, v[20:21]
	v_addc_co_u32_e32 v17, vcc, v6, v17, vcc
	v_ashrrev_i32_e32 v23, 31, v22
	v_add_co_u32_e32 v18, vcc, s14, v18
	v_lshlrev_b64 v[20:21], 2, v[22:23]
	v_addc_co_u32_e32 v19, vcc, v6, v19, vcc
	v_add_co_u32_e32 v20, vcc, s14, v20
	v_addc_co_u32_e32 v21, vcc, v6, v21, vcc
	global_load_dword v27, v[16:17], off
	global_load_dword v28, v[18:19], off
	;; [unrolled: 1-line block ×4, first 2 shown]
	v_lshlrev_b32_e32 v11, 1, v11
	v_lshlrev_b32_e32 v3, 1, v3
	v_sub_u32_e32 v3, v3, v11
	v_or_b32_e32 v11, 1, v3
	v_mad_u64_u32 v[18:19], s[0:1], s2, v11, v[0:1]
	v_add_co_u32_e32 v12, vcc, s12, v14
	v_add_u32_e32 v3, 2, v3
	v_mul_lo_u32 v22, v18, s16
	v_addc_co_u32_e32 v13, vcc, v10, v15, vcc
	v_mad_u64_u32 v[14:15], s[0:1], s23, v24, v[0:1]
	v_mad_u64_u32 v[20:21], s[0:1], s2, v3, v[0:1]
	v_add_u32_e32 v0, s20, v0
	v_ashrrev_i32_e32 v23, 31, v22
	v_mul_lo_u32 v24, v20, s16
	v_cmp_le_i32_e32 vcc, s3, v0
	v_lshlrev_b64 v[22:23], 2, v[22:23]
	v_ashrrev_i32_e32 v25, 31, v24
	s_or_b64 s[4:5], vcc, s[4:5]
	v_add_co_u32_e32 v22, vcc, s6, v22
	v_mul_lo_u32 v16, v14, s16
	v_mul_lo_u32 v18, v18, s17
	v_lshlrev_b64 v[24:25], 2, v[24:25]
	v_addc_co_u32_e32 v23, vcc, v8, v23, vcc
	v_ashrrev_i32_e32 v17, 31, v16
	v_ashrrev_i32_e32 v19, 31, v18
	v_add_co_u32_e32 v24, vcc, s6, v24
	v_mul_lo_u32 v14, v14, s17
	v_lshlrev_b64 v[16:17], 2, v[16:17]
	v_mul_lo_u32 v20, v20, s17
	v_lshlrev_b64 v[18:19], 2, v[18:19]
	v_addc_co_u32_e32 v25, vcc, v8, v25, vcc
	v_ashrrev_i32_e32 v15, 31, v14
	v_add_co_u32_e64 v16, s[0:1], s6, v16
	v_ashrrev_i32_e32 v21, 31, v20
	v_add_co_u32_e32 v18, vcc, s8, v18
	v_lshlrev_b64 v[14:15], 2, v[14:15]
	v_addc_co_u32_e64 v17, s[0:1], v8, v17, s[0:1]
	v_lshlrev_b64 v[20:21], 2, v[20:21]
	v_addc_co_u32_e32 v19, vcc, v9, v19, vcc
	s_waitcnt vmcnt(4)
	v_sub_f32_e32 v3, 1.0, v5
	v_add_u32_e32 v2, s24, v2
	v_add_u32_e32 v4, s25, v4
	v_add_co_u32_e64 v14, s[0:1], s8, v14
	v_add_co_u32_e32 v20, vcc, s8, v20
	v_addc_co_u32_e64 v15, s[0:1], v9, v15, s[0:1]
	v_addc_co_u32_e32 v21, vcc, v9, v21, vcc
	s_waitcnt vmcnt(2)
	v_sub_f32_e32 v11, v28, v27
	s_waitcnt vmcnt(1)
	v_sub_f32_e32 v28, 1.0, v29
	v_mul_f32_e32 v31, v29, v26
	v_fma_f32 v27, -v27, v27, 1.0
	v_mul_f32_e32 v11, v11, v26
	v_mul_f32_e32 v26, v28, v26
	;; [unrolled: 1-line block ×4, first 2 shown]
	s_waitcnt vmcnt(0)
	v_mul_f32_e32 v28, v30, v26
	v_mul_f32_e32 v3, v3, v28
	;; [unrolled: 1-line block ×5, first 2 shown]
	global_store_dword v[16:17], v3, off
	global_store_dword v[22:23], v11, off
	global_store_dword v[24:25], v26, off
	global_store_dword v[14:15], v3, off
	global_store_dword v[18:19], v11, off
	global_store_dword v[20:21], v27, off
	global_store_dword v[12:13], v31, off
	s_andn2_b64 exec, exec, s[4:5]
	s_cbranch_execnz .LBB52_2
.LBB52_3:
	s_endpgm
	.section	.rodata,"a",@progbits
	.p2align	6, 0x0
	.amdhsa_kernel _ZN2at6native12_GLOBAL__N_16kernel17gru_cell_backwardIffiLi1EEEvNS_4cuda6detail10TensorInfoIT_T1_EES9_S9_S9_S9_S8_S8_
		.amdhsa_group_segment_fixed_size 0
		.amdhsa_private_segment_fixed_size 0
		.amdhsa_kernarg_size 1344
		.amdhsa_user_sgpr_count 6
		.amdhsa_user_sgpr_private_segment_buffer 1
		.amdhsa_user_sgpr_dispatch_ptr 0
		.amdhsa_user_sgpr_queue_ptr 0
		.amdhsa_user_sgpr_kernarg_segment_ptr 1
		.amdhsa_user_sgpr_dispatch_id 0
		.amdhsa_user_sgpr_flat_scratch_init 0
		.amdhsa_user_sgpr_kernarg_preload_length 0
		.amdhsa_user_sgpr_kernarg_preload_offset 0
		.amdhsa_user_sgpr_private_segment_size 0
		.amdhsa_uses_dynamic_stack 0
		.amdhsa_system_sgpr_private_segment_wavefront_offset 0
		.amdhsa_system_sgpr_workgroup_id_x 1
		.amdhsa_system_sgpr_workgroup_id_y 0
		.amdhsa_system_sgpr_workgroup_id_z 0
		.amdhsa_system_sgpr_workgroup_info 0
		.amdhsa_system_vgpr_workitem_id 0
		.amdhsa_next_free_vgpr 32
		.amdhsa_next_free_sgpr 26
		.amdhsa_accum_offset 32
		.amdhsa_reserve_vcc 1
		.amdhsa_reserve_flat_scratch 0
		.amdhsa_float_round_mode_32 0
		.amdhsa_float_round_mode_16_64 0
		.amdhsa_float_denorm_mode_32 3
		.amdhsa_float_denorm_mode_16_64 3
		.amdhsa_dx10_clamp 1
		.amdhsa_ieee_mode 1
		.amdhsa_fp16_overflow 0
		.amdhsa_tg_split 0
		.amdhsa_exception_fp_ieee_invalid_op 0
		.amdhsa_exception_fp_denorm_src 0
		.amdhsa_exception_fp_ieee_div_zero 0
		.amdhsa_exception_fp_ieee_overflow 0
		.amdhsa_exception_fp_ieee_underflow 0
		.amdhsa_exception_fp_ieee_inexact 0
		.amdhsa_exception_int_div_zero 0
	.end_amdhsa_kernel
	.section	.text._ZN2at6native12_GLOBAL__N_16kernel17gru_cell_backwardIffiLi1EEEvNS_4cuda6detail10TensorInfoIT_T1_EES9_S9_S9_S9_S8_S8_,"axG",@progbits,_ZN2at6native12_GLOBAL__N_16kernel17gru_cell_backwardIffiLi1EEEvNS_4cuda6detail10TensorInfoIT_T1_EES9_S9_S9_S9_S8_S8_,comdat
.Lfunc_end52:
	.size	_ZN2at6native12_GLOBAL__N_16kernel17gru_cell_backwardIffiLi1EEEvNS_4cuda6detail10TensorInfoIT_T1_EES9_S9_S9_S9_S8_S8_, .Lfunc_end52-_ZN2at6native12_GLOBAL__N_16kernel17gru_cell_backwardIffiLi1EEEvNS_4cuda6detail10TensorInfoIT_T1_EES9_S9_S9_S9_S8_S8_
                                        ; -- End function
	.section	.AMDGPU.csdata,"",@progbits
; Kernel info:
; codeLenInByte = 1028
; NumSgprs: 30
; NumVgprs: 32
; NumAgprs: 0
; TotalNumVgprs: 32
; ScratchSize: 0
; MemoryBound: 0
; FloatMode: 240
; IeeeMode: 1
; LDSByteSize: 0 bytes/workgroup (compile time only)
; SGPRBlocks: 3
; VGPRBlocks: 3
; NumSGPRsForWavesPerEU: 30
; NumVGPRsForWavesPerEU: 32
; AccumOffset: 32
; Occupancy: 8
; WaveLimiterHint : 1
; COMPUTE_PGM_RSRC2:SCRATCH_EN: 0
; COMPUTE_PGM_RSRC2:USER_SGPR: 6
; COMPUTE_PGM_RSRC2:TRAP_HANDLER: 0
; COMPUTE_PGM_RSRC2:TGID_X_EN: 1
; COMPUTE_PGM_RSRC2:TGID_Y_EN: 0
; COMPUTE_PGM_RSRC2:TGID_Z_EN: 0
; COMPUTE_PGM_RSRC2:TIDIG_COMP_CNT: 0
; COMPUTE_PGM_RSRC3_GFX90A:ACCUM_OFFSET: 7
; COMPUTE_PGM_RSRC3_GFX90A:TG_SPLIT: 0
	.section	.text._ZN2at6native12_GLOBAL__N_16kernel17gru_cell_backwardIffiLi2EEEvNS_4cuda6detail10TensorInfoIT_T1_EES9_S9_S9_S9_S8_S8_,"axG",@progbits,_ZN2at6native12_GLOBAL__N_16kernel17gru_cell_backwardIffiLi2EEEvNS_4cuda6detail10TensorInfoIT_T1_EES9_S9_S9_S9_S8_S8_,comdat
	.globl	_ZN2at6native12_GLOBAL__N_16kernel17gru_cell_backwardIffiLi2EEEvNS_4cuda6detail10TensorInfoIT_T1_EES9_S9_S9_S9_S8_S8_ ; -- Begin function _ZN2at6native12_GLOBAL__N_16kernel17gru_cell_backwardIffiLi2EEEvNS_4cuda6detail10TensorInfoIT_T1_EES9_S9_S9_S9_S8_S8_
	.p2align	8
	.type	_ZN2at6native12_GLOBAL__N_16kernel17gru_cell_backwardIffiLi2EEEvNS_4cuda6detail10TensorInfoIT_T1_EES9_S9_S9_S9_S8_S8_,@function
_ZN2at6native12_GLOBAL__N_16kernel17gru_cell_backwardIffiLi2EEEvNS_4cuda6detail10TensorInfoIT_T1_EES9_S9_S9_S9_S8_S8_: ; @_ZN2at6native12_GLOBAL__N_16kernel17gru_cell_backwardIffiLi2EEEvNS_4cuda6detail10TensorInfoIT_T1_EES9_S9_S9_S9_S8_S8_
; %bb.0:
	s_load_dword s2, s[4:5], 0x44c
	s_load_dwordx2 s[14:15], s[4:5], 0x438
	s_add_u32 s0, s4, 0x440
	s_addc_u32 s1, s5, 0
	s_waitcnt lgkmcnt(0)
	s_and_b32 s2, s2, 0xffff
	s_mul_i32 s6, s6, s2
	v_add_u32_e32 v0, s6, v0
	v_cmp_gt_i32_e32 vcc, s15, v0
	s_and_saveexec_b64 s[6:7], vcc
	s_cbranch_execz .LBB53_3
; %bb.1:
	s_abs_i32 s41, s14
	v_cvt_f32_u32_e32 v1, s41
	s_load_dwordx2 s[16:17], s[4:5], 0x0
	s_load_dword s33, s[4:5], 0xc
	s_load_dwordx2 s[18:19], s[4:5], 0x6c
	s_load_dwordx2 s[20:21], s[4:5], 0xd8
	s_load_dword s40, s[4:5], 0xe4
	s_load_dwordx2 s[22:23], s[4:5], 0x144
	s_load_dwordx2 s[24:25], s[4:5], 0x1b0
	s_load_dword s3, s[4:5], 0x1bc
	s_load_dwordx2 s[26:27], s[4:5], 0x360
	s_load_dword s42, s[4:5], 0x36c
	s_load_dword s43, s[0:1], 0x0
	s_sub_i32 s1, 0, s41
	v_rcp_iflag_f32_e32 v1, v1
	s_waitcnt lgkmcnt(0)
	s_abs_i32 s48, s33
	s_abs_i32 s44, s42
	v_cvt_f32_u32_e32 v2, s44
	v_mul_f32_e32 v1, 0x4f7ffffe, v1
	v_cvt_u32_f32_e32 v1, v1
	s_abs_i32 s46, s3
	v_rcp_iflag_f32_e32 v2, v2
	s_load_dwordx2 s[28:29], s[4:5], 0x21c
	s_load_dwordx2 s[30:31], s[4:5], 0x288
	s_load_dword s0, s[4:5], 0x294
	s_load_dwordx2 s[34:35], s[4:5], 0x2f4
	s_load_dwordx2 s[36:37], s[4:5], 0x3cc
	v_mul_lo_u32 v3, s1, v1
	v_mul_hi_u32 v3, v1, v3
	v_add_u32_e32 v1, v1, v3
	v_cvt_f32_u32_e32 v3, s46
	v_mul_f32_e32 v2, 0x4f7ffffe, v2
	v_cvt_u32_f32_e32 v2, v2
	s_sub_i32 s1, 0, s44
	v_rcp_iflag_f32_e32 v3, v3
	s_abs_i32 s51, s40
	v_mul_lo_u32 v4, s1, v2
	v_mul_hi_u32 v4, v2, v4
	v_add_u32_e32 v4, v2, v4
	v_mul_f32_e32 v2, 0x4f7ffffe, v3
	v_cvt_f32_u32_e32 v3, s48
	v_cvt_u32_f32_e32 v2, v2
	s_sub_i32 s1, 0, s46
	s_waitcnt lgkmcnt(0)
	s_abs_i32 s52, s0
	v_rcp_iflag_f32_e32 v3, v3
	v_mul_lo_u32 v5, s1, v2
	v_mul_hi_u32 v5, v2, v5
	v_add_u32_e32 v5, v2, v5
	v_mul_f32_e32 v2, 0x4f7ffffe, v3
	v_cvt_u32_f32_e32 v2, v2
	s_sub_i32 s1, 0, s48
	v_cvt_f32_u32_e32 v3, s51
	s_mul_i32 s43, s43, s2
	v_mul_lo_u32 v6, s1, v2
	v_mul_hi_u32 v6, v2, v6
	v_add_u32_e32 v6, v2, v6
	v_cvt_f32_u32_e32 v2, s52
	v_rcp_iflag_f32_e32 v3, v3
	s_sub_i32 s1, 0, s51
	s_ashr_i32 s45, s14, 31
	v_rcp_iflag_f32_e32 v2, v2
	v_mul_f32_e32 v3, 0x4f7ffffe, v3
	v_cvt_u32_f32_e32 v3, v3
	s_ashr_i32 s47, s42, 31
	v_mul_f32_e32 v2, 0x4f7ffffe, v2
	v_cvt_u32_f32_e32 v2, v2
	v_mul_lo_u32 v7, s1, v3
	v_mul_hi_u32 v7, v3, v7
	s_sub_i32 s1, 0, s52
	v_add_u32_e32 v7, v3, v7
	v_mul_lo_u32 v3, s1, v2
	v_mul_hi_u32 v3, v2, v3
	s_ashr_i32 s49, s3, 31
	s_ashr_i32 s50, s33, 31
	;; [unrolled: 1-line block ×4, first 2 shown]
	v_add_u32_e32 v8, v2, v3
	s_lshl_b32 s55, s14, 2
	s_lshl_b32 s56, s14, 1
	s_sub_i32 s57, 0, s3
	s_sub_i32 s58, 0, s0
	s_mov_b64 s[38:39], 0
	v_mov_b32_e32 v9, s27
	v_mov_b32_e32 v10, s25
	;; [unrolled: 1-line block ×5, first 2 shown]
.LBB53_2:                               ; =>This Inner Loop Header: Depth=1
	v_sub_u32_e32 v3, 0, v0
	v_max_i32_e32 v3, v0, v3
	v_mul_hi_u32 v16, v3, v1
	v_mul_hi_u32 v18, v3, v5
	v_mul_lo_u32 v21, v16, s41
	v_mul_lo_u32 v23, v18, s46
	v_sub_u32_e32 v21, v3, v21
	v_mul_hi_u32 v20, v3, v8
	v_add_u32_e32 v22, 1, v16
	v_sub_u32_e32 v23, v3, v23
	v_cmp_le_u32_e32 vcc, s41, v21
	v_add_u32_e32 v24, 1, v18
	v_mul_lo_u32 v25, v20, s52
	v_cndmask_b32_e32 v16, v16, v22, vcc
	v_subrev_u32_e32 v22, s41, v21
	v_cmp_le_u32_e64 s[0:1], s46, v23
	v_sub_u32_e32 v3, v3, v25
	v_cndmask_b32_e64 v18, v18, v24, s[0:1]
	v_subrev_u32_e32 v24, s46, v23
	v_cndmask_b32_e32 v21, v21, v22, vcc
	v_add_u32_e32 v26, 1, v20
	v_cmp_le_u32_e64 s[2:3], s52, v3
	v_subrev_u32_e32 v25, s52, v3
	v_add_u32_e32 v22, 1, v16
	v_cndmask_b32_e64 v23, v23, v24, s[0:1]
	v_cmp_le_u32_e32 vcc, s41, v21
	v_ashrrev_i32_e32 v14, 31, v0
	v_cndmask_b32_e64 v20, v20, v26, s[2:3]
	v_add_u32_e32 v24, 1, v18
	v_cndmask_b32_e64 v3, v3, v25, s[2:3]
	v_cndmask_b32_e32 v16, v16, v22, vcc
	v_cmp_le_u32_e32 vcc, s46, v23
	v_xor_b32_e32 v2, s45, v14
	v_xor_b32_e32 v15, s49, v14
	v_add_u32_e32 v25, 1, v20
	v_cndmask_b32_e32 v18, v18, v24, vcc
	v_cmp_le_u32_e32 vcc, s52, v3
	v_xor_b32_e32 v14, s54, v14
	v_cndmask_b32_e32 v3, v20, v25, vcc
	v_xor_b32_e32 v16, v16, v2
	v_xor_b32_e32 v18, v18, v15
	v_lshlrev_b32_e32 v17, 2, v2
	v_lshlrev_b32_e32 v19, 1, v2
	v_xor_b32_e32 v3, v3, v14
	v_sub_u32_e32 v20, v16, v2
	v_lshlrev_b32_e32 v2, 2, v16
	v_sub_u32_e32 v18, v18, v15
	v_lshlrev_b32_e32 v15, 1, v16
	v_sub_u32_e32 v21, v3, v14
	v_sub_u32_e32 v16, v2, v17
	v_mad_u64_u32 v[2:3], s[0:1], s57, v18, v[0:1]
	v_mul_lo_u32 v22, s55, v20
	v_mul_lo_u32 v20, s56, v20
	v_sub_u32_e32 v3, v15, v19
	v_mul_lo_u32 v2, v2, s29
	v_mad_u64_u32 v[14:15], s[0:1], s58, v21, v[0:1]
	v_add_u32_e32 v25, v0, v20
	v_or_b32_e32 v26, 1, v3
	v_add_u32_e32 v27, 2, v3
	v_mad_u64_u32 v[2:3], s[0:1], v18, s28, v[2:3]
	v_add_u32_e32 v15, v0, v22
	v_or_b32_e32 v17, 1, v16
	v_or_b32_e32 v19, 2, v16
	;; [unrolled: 1-line block ×3, first 2 shown]
	v_add_u32_e32 v24, 4, v16
	v_mul_lo_u32 v16, v14, s35
	v_ashrrev_i32_e32 v18, 31, v25
	v_ashrrev_i32_e32 v3, 31, v2
	;; [unrolled: 1-line block ×3, first 2 shown]
	v_mul_lo_u32 v29, s14, v17
	v_mul_lo_u32 v30, s14, v19
	v_mad_u64_u32 v[16:17], s[0:1], v21, s34, v[16:17]
	v_add3_u32 v33, v18, v20, v0
	v_lshlrev_b64 v[2:3], 2, v[2:3]
	v_mul_lo_u32 v23, s14, v23
	v_mul_lo_u32 v14, s14, v26
	v_add3_u32 v19, v28, v22, v0
	v_add_u32_e32 v26, v0, v30
	v_xor_b32_e32 v32, s50, v18
	v_xor_b32_e32 v36, s53, v18
	v_ashrrev_i32_e32 v17, 31, v16
	v_xor_b32_e32 v33, v33, v18
	v_add_co_u32_e32 v18, vcc, s24, v2
	v_mul_lo_u32 v15, s14, v27
	v_xor_b32_e32 v21, s47, v28
	v_add_u32_e32 v27, v0, v23
	v_xor_b32_e32 v28, v19, v28
	v_ashrrev_i32_e32 v26, 31, v26
	v_lshlrev_b64 v[16:17], 2, v[16:17]
	v_addc_co_u32_e32 v19, vcc, v10, v3, vcc
	v_mul_hi_u32 v46, v33, v6
	v_mul_lo_u32 v24, s14, v24
	v_add_u32_e32 v25, v0, v29
	v_ashrrev_i32_e32 v27, 31, v27
	v_mul_hi_u32 v37, v28, v4
	v_add3_u32 v41, v26, v30, v0
	v_add_co_u32_e32 v2, vcc, s30, v16
	global_load_dword v16, v[18:19], off
	v_mul_lo_u32 v18, v46, s48
	v_add_u32_e32 v31, v0, v24
	v_add_u32_e32 v34, v0, v14
	v_ashrrev_i32_e32 v25, 31, v25
	v_xor_b32_e32 v40, s47, v26
	v_add3_u32 v43, v27, v23, v0
	v_addc_co_u32_e32 v3, vcc, v13, v17, vcc
	v_mul_lo_u32 v17, v37, s44
	v_xor_b32_e32 v26, v41, v26
	v_sub_u32_e32 v18, v33, v18
	v_add_u32_e32 v35, v0, v15
	v_ashrrev_i32_e32 v31, 31, v31
	v_ashrrev_i32_e32 v34, 31, v34
	v_add3_u32 v39, v25, v29, v0
	v_xor_b32_e32 v42, s47, v27
	v_mul_hi_u32 v51, v33, v7
	v_xor_b32_e32 v27, v43, v27
	v_add_u32_e32 v19, 1, v46
	v_sub_u32_e32 v17, v28, v17
	v_mul_hi_u32 v43, v26, v4
	v_cmp_le_u32_e64 s[0:1], s48, v18
	v_ashrrev_i32_e32 v35, 31, v35
	v_xor_b32_e32 v38, s47, v25
	v_add3_u32 v45, v31, v24, v0
	v_add3_u32 v48, v34, v14, v0
	v_add_u32_e32 v54, 1, v37
	v_xor_b32_e32 v25, v39, v25
	v_mul_lo_u32 v39, v51, s51
	v_cmp_le_u32_e32 vcc, s44, v17
	v_cndmask_b32_e64 v19, v46, v19, s[0:1]
	v_mul_lo_u32 v46, v43, s44
	v_xor_b32_e32 v44, s47, v31
	v_xor_b32_e32 v47, s50, v34
	v_add3_u32 v50, v35, v15, v0
	v_xor_b32_e32 v52, s53, v34
	v_xor_b32_e32 v31, v45, v31
	;; [unrolled: 1-line block ×3, first 2 shown]
	v_mul_hi_u32 v28, v25, v4
	v_mul_hi_u32 v45, v27, v4
	v_sub_u32_e32 v33, v33, v39
	v_cndmask_b32_e32 v37, v37, v54, vcc
	v_subrev_u32_e32 v54, s44, v17
	v_sub_u32_e32 v26, v26, v46
	v_subrev_u32_e32 v46, s48, v18
	v_xor_b32_e32 v49, s50, v35
	v_xor_b32_e32 v53, s53, v35
	;; [unrolled: 1-line block ×3, first 2 shown]
	v_mul_hi_u32 v48, v31, v4
	v_mul_hi_u32 v50, v34, v6
	;; [unrolled: 1-line block ×3, first 2 shown]
	v_mul_lo_u32 v57, v28, s44
	v_cmp_le_u32_e64 s[2:3], s51, v33
	v_cndmask_b32_e32 v17, v17, v54, vcc
	v_mul_lo_u32 v54, v45, s44
	v_cndmask_b32_e64 v18, v18, v46, s[0:1]
	v_subrev_u32_e32 v46, s51, v33
	v_mul_hi_u32 v55, v35, v6
	v_mul_hi_u32 v56, v35, v7
	v_sub_u32_e32 v25, v25, v57
	v_mul_lo_u32 v57, v48, s44
	v_sub_u32_e32 v27, v27, v54
	v_mul_lo_u32 v54, v50, s48
	v_cndmask_b32_e64 v33, v33, v46, s[2:3]
	v_mul_lo_u32 v46, v39, s51
	v_sub_u32_e32 v31, v31, v57
	v_mul_lo_u32 v57, v55, s48
	v_sub_u32_e32 v54, v34, v54
	v_sub_u32_e32 v34, v34, v46
	v_mul_lo_u32 v46, v56, s51
	v_sub_u32_e32 v57, v35, v57
	v_sub_u32_e32 v35, v35, v46
	v_add_u32_e32 v46, 1, v37
	v_cmp_le_u32_e32 vcc, s44, v17
	v_cndmask_b32_e32 v37, v37, v46, vcc
	v_add_u32_e32 v46, 1, v48
	v_cmp_le_u32_e64 s[4:5], s44, v31
	v_add_u32_e32 v41, 1, v51
	v_add_u32_e32 v58, 1, v28
	v_cmp_le_u32_e32 vcc, s44, v25
	v_cndmask_b32_e64 v46, v48, v46, s[4:5]
	v_add_u32_e32 v48, 1, v19
	v_cmp_le_u32_e64 s[6:7], s48, v18
	v_cndmask_b32_e64 v41, v51, v41, s[2:3]
	v_add_u32_e32 v51, 1, v43
	v_cndmask_b32_e32 v28, v28, v58, vcc
	v_add_u32_e32 v58, 1, v50
	v_cmp_le_u32_e64 s[0:1], s44, v26
	v_cndmask_b32_e64 v19, v19, v48, s[6:7]
	v_cmp_le_u32_e64 s[6:7], s48, v54
	v_cndmask_b32_e64 v43, v43, v51, s[0:1]
	v_add_u32_e32 v51, 1, v55
	v_cndmask_b32_e64 v50, v50, v58, s[6:7]
	v_subrev_u32_e32 v58, s44, v25
	v_cmp_le_u32_e64 s[8:9], s48, v57
	v_add_u32_e32 v17, 1, v45
	v_cmp_le_u32_e64 s[2:3], s44, v27
	v_add_u32_e32 v48, 1, v41
	v_cndmask_b32_e64 v51, v55, v51, s[8:9]
	v_subrev_u32_e32 v55, s44, v26
	v_cmp_le_u32_e64 s[10:11], s51, v33
	v_subrev_u32_e32 v33, s44, v27
	v_cndmask_b32_e32 v25, v25, v58, vcc
	v_cndmask_b32_e64 v17, v45, v17, s[2:3]
	v_add_u32_e32 v45, 1, v39
	v_cndmask_b32_e64 v41, v41, v48, s[10:11]
	v_subrev_u32_e32 v48, s44, v31
	v_cmp_le_u32_e64 s[10:11], s51, v34
	v_cndmask_b32_e64 v26, v26, v55, s[0:1]
	v_cndmask_b32_e64 v27, v27, v33, s[2:3]
	v_add_u32_e32 v33, 1, v28
	v_cmp_le_u32_e32 vcc, s44, v25
	v_add_u32_e32 v18, 1, v56
	v_cndmask_b32_e64 v39, v39, v45, s[10:11]
	v_subrev_u32_e32 v45, s48, v54
	v_cmp_le_u32_e64 s[12:13], s51, v35
	v_cndmask_b32_e64 v31, v31, v48, s[4:5]
	v_add_u32_e32 v48, 1, v43
	v_cndmask_b32_e32 v28, v28, v33, vcc
	v_cmp_le_u32_e32 vcc, s44, v26
	v_cndmask_b32_e64 v18, v56, v18, s[12:13]
	v_subrev_u32_e32 v56, s48, v57
	v_cndmask_b32_e64 v45, v54, v45, s[6:7]
	v_add_u32_e32 v54, 1, v17
	v_cndmask_b32_e32 v26, v43, v48, vcc
	v_cmp_le_u32_e32 vcc, s44, v27
	v_subrev_u32_e32 v58, s51, v34
	v_cndmask_b32_e64 v56, v57, v56, s[8:9]
	v_add_u32_e32 v57, 1, v46
	v_cndmask_b32_e32 v17, v17, v54, vcc
	v_cmp_le_u32_e32 vcc, s44, v31
	v_subrev_u32_e32 v55, s51, v35
	v_xor_b32_e32 v19, v19, v32
	v_cndmask_b32_e64 v34, v34, v58, s[10:11]
	v_add_u32_e32 v58, 1, v50
	v_cndmask_b32_e32 v27, v46, v57, vcc
	v_cmp_le_u32_e32 vcc, s48, v45
	v_xor_b32_e32 v37, v37, v21
	v_cndmask_b32_e64 v35, v35, v55, s[12:13]
	v_add_u32_e32 v55, 1, v51
	v_sub_u32_e32 v31, v19, v32
	v_cndmask_b32_e32 v19, v50, v58, vcc
	v_cmp_le_u32_e32 vcc, s48, v56
	v_sub_u32_e32 v21, v37, v21
	v_add_u32_e32 v37, 1, v39
	v_cndmask_b32_e32 v32, v51, v55, vcc
	v_cmp_le_u32_e32 vcc, s51, v34
	v_xor_b32_e32 v41, v41, v36
	v_add_u32_e32 v25, 1, v18
	v_cndmask_b32_e32 v34, v39, v37, vcc
	v_cmp_le_u32_e32 vcc, s51, v35
	v_sub_u32_e32 v33, v41, v36
	v_cndmask_b32_e32 v18, v18, v25, vcc
	v_mul_lo_u32 v25, v21, s42
	v_xor_b32_e32 v28, v28, v38
	v_xor_b32_e32 v26, v26, v40
	v_mul_lo_u32 v35, v31, s33
	v_xor_b32_e32 v19, v19, v47
	v_mul_lo_u32 v36, v33, s40
	v_xor_b32_e32 v18, v18, v53
	v_sub_u32_e32 v22, v22, v25
	v_xor_b32_e32 v17, v17, v42
	v_sub_u32_e32 v25, v28, v38
	v_sub_u32_e32 v37, v26, v40
	;; [unrolled: 1-line block ×6, first 2 shown]
	v_add_u32_e32 v18, v0, v22
	v_xor_b32_e32 v27, v27, v44
	v_sub_u32_e32 v17, v17, v42
	v_mul_lo_u32 v20, v25, s42
	v_mul_lo_u32 v18, v18, s37
	v_sub_u32_e32 v38, v27, v44
	v_mul_lo_u32 v22, v37, s42
	v_mul_lo_u32 v27, v17, s42
	v_add_u32_e32 v41, v0, v19
	v_sub_u32_e32 v29, v29, v20
	v_mad_u64_u32 v[18:19], s[0:1], v21, s36, v[18:19]
	v_mul_lo_u32 v28, v38, s42
	v_add_u32_e32 v26, v0, v26
	v_sub_u32_e32 v22, v30, v22
	v_sub_u32_e32 v23, v23, v27
	v_add_u32_e32 v21, v0, v29
	v_ashrrev_i32_e32 v19, 31, v18
	v_sub_u32_e32 v24, v24, v28
	v_mul_lo_u32 v20, v26, s19
	v_add_u32_e32 v26, v0, v22
	v_add_u32_e32 v23, v0, v23
	v_mul_lo_u32 v22, v21, s37
	v_lshlrev_b64 v[18:19], 2, v[18:19]
	v_add_u32_e32 v27, v0, v24
	v_mul_lo_u32 v24, v26, s37
	v_mul_lo_u32 v26, v23, s37
	v_mad_u64_u32 v[22:23], s[0:1], v25, s36, v[22:23]
	v_add_co_u32_e32 v18, vcc, s26, v18
	v_addc_co_u32_e32 v19, vcc, v9, v19, vcc
	v_ashrrev_i32_e32 v23, 31, v22
	v_mul_lo_u32 v28, v27, s37
	v_mad_u64_u32 v[24:25], s[0:1], v37, s36, v[24:25]
	v_mad_u64_u32 v[26:27], s[0:1], v17, s36, v[26:27]
	global_load_dword v17, v[18:19], off
	v_lshlrev_b64 v[18:19], 2, v[22:23]
	v_ashrrev_i32_e32 v25, 31, v24
	v_add_co_u32_e32 v18, vcc, s26, v18
	v_lshlrev_b64 v[22:23], 2, v[24:25]
	v_addc_co_u32_e32 v19, vcc, v9, v19, vcc
	v_ashrrev_i32_e32 v27, 31, v26
	v_add_co_u32_e32 v22, vcc, s26, v22
	v_mad_u64_u32 v[28:29], s[0:1], v38, s36, v[28:29]
	v_lshlrev_b64 v[24:25], 2, v[26:27]
	v_addc_co_u32_e32 v23, vcc, v9, v23, vcc
	v_ashrrev_i32_e32 v29, 31, v28
	v_add_co_u32_e32 v24, vcc, s26, v24
	v_lshlrev_b64 v[26:27], 2, v[28:29]
	v_addc_co_u32_e32 v25, vcc, v9, v25, vcc
	v_add_co_u32_e32 v26, vcc, s26, v26
	v_addc_co_u32_e32 v27, vcc, v9, v27, vcc
	global_load_dword v28, v[22:23], off
	global_load_dword v29, v[24:25], off
	global_load_dword v37, v[18:19], off
	global_load_dword v38, v[26:27], off
	v_xor_b32_e32 v34, v34, v52
	v_xor_b32_e32 v32, v32, v49
	v_sub_u32_e32 v34, v34, v52
	v_sub_u32_e32 v32, v32, v49
	v_mul_lo_u32 v42, v34, s40
	v_mul_lo_u32 v39, v35, s33
	;; [unrolled: 1-line block ×4, first 2 shown]
	v_sub_u32_e32 v21, v14, v42
	v_sub_u32_e32 v30, v14, v39
	;; [unrolled: 1-line block ×4, first 2 shown]
	v_mad_u64_u32 v[14:15], s[0:1], v31, s18, v[20:21]
	v_mul_lo_u32 v18, v41, s23
	v_add_u32_e32 v20, v0, v30
	v_add_u32_e32 v23, v0, v39
	;; [unrolled: 1-line block ×5, first 2 shown]
	v_ashrrev_i32_e32 v15, 31, v14
	v_mad_u64_u32 v[18:19], s[0:1], v33, s22, v[18:19]
	v_cmp_le_i32_e32 vcc, s15, v0
	v_lshlrev_b64 v[14:15], 2, v[14:15]
	v_mul_lo_u32 v20, v20, s19
	v_ashrrev_i32_e32 v19, 31, v18
	s_or_b64 s[38:39], vcc, s[38:39]
	v_add_co_u32_e32 v14, vcc, s16, v14
	v_mul_lo_u32 v24, v21, s23
	v_mad_u64_u32 v[20:21], s[0:1], v35, s18, v[20:21]
	v_lshlrev_b64 v[18:19], 2, v[18:19]
	v_addc_co_u32_e32 v15, vcc, v11, v15, vcc
	v_mul_lo_u32 v22, v23, s19
	v_ashrrev_i32_e32 v21, 31, v20
	v_add_co_u32_e32 v18, vcc, s20, v18
	v_mad_u64_u32 v[22:23], s[0:1], v32, s18, v[22:23]
	v_addc_co_u32_e32 v19, vcc, v12, v19, vcc
	v_lshlrev_b64 v[20:21], 2, v[20:21]
	v_ashrrev_i32_e32 v23, 31, v22
	v_add_co_u32_e32 v20, vcc, s16, v20
	v_mul_lo_u32 v26, v25, s23
	v_mad_u64_u32 v[24:25], s[0:1], v34, s22, v[24:25]
	v_lshlrev_b64 v[22:23], 2, v[22:23]
	v_addc_co_u32_e32 v21, vcc, v11, v21, vcc
	v_ashrrev_i32_e32 v25, 31, v24
	v_add_co_u32_e32 v22, vcc, s16, v22
	v_mad_u64_u32 v[26:27], s[0:1], v36, s22, v[26:27]
	v_lshlrev_b64 v[24:25], 2, v[24:25]
	v_addc_co_u32_e32 v23, vcc, v11, v23, vcc
	v_ashrrev_i32_e32 v27, 31, v26
	v_add_co_u32_e32 v24, vcc, s20, v24
	s_waitcnt vmcnt(4)
	v_sub_f32_e32 v30, 1.0, v17
	v_lshlrev_b64 v[26:27], 2, v[26:27]
	v_addc_co_u32_e32 v25, vcc, v12, v25, vcc
	v_add_co_u32_e32 v26, vcc, s20, v26
	v_addc_co_u32_e32 v27, vcc, v12, v27, vcc
	s_waitcnt vmcnt(2)
	v_sub_f32_e32 v29, v29, v28
	s_waitcnt vmcnt(1)
	v_sub_f32_e32 v31, 1.0, v37
	v_mul_f32_e32 v32, v37, v16
	v_fma_f32 v28, -v28, v28, 1.0
	v_mul_f32_e32 v29, v29, v16
	v_mul_f32_e32 v16, v31, v16
	;; [unrolled: 1-line block ×4, first 2 shown]
	s_waitcnt vmcnt(0)
	v_mul_f32_e32 v31, v38, v16
	v_mul_f32_e32 v30, v30, v31
	;; [unrolled: 1-line block ×5, first 2 shown]
	global_store_dword v[14:15], v17, off
	global_store_dword v[20:21], v28, off
	;; [unrolled: 1-line block ×7, first 2 shown]
	s_andn2_b64 exec, exec, s[38:39]
	s_cbranch_execnz .LBB53_2
.LBB53_3:
	s_endpgm
	.section	.rodata,"a",@progbits
	.p2align	6, 0x0
	.amdhsa_kernel _ZN2at6native12_GLOBAL__N_16kernel17gru_cell_backwardIffiLi2EEEvNS_4cuda6detail10TensorInfoIT_T1_EES9_S9_S9_S9_S8_S8_
		.amdhsa_group_segment_fixed_size 0
		.amdhsa_private_segment_fixed_size 0
		.amdhsa_kernarg_size 1344
		.amdhsa_user_sgpr_count 6
		.amdhsa_user_sgpr_private_segment_buffer 1
		.amdhsa_user_sgpr_dispatch_ptr 0
		.amdhsa_user_sgpr_queue_ptr 0
		.amdhsa_user_sgpr_kernarg_segment_ptr 1
		.amdhsa_user_sgpr_dispatch_id 0
		.amdhsa_user_sgpr_flat_scratch_init 0
		.amdhsa_user_sgpr_kernarg_preload_length 0
		.amdhsa_user_sgpr_kernarg_preload_offset 0
		.amdhsa_user_sgpr_private_segment_size 0
		.amdhsa_uses_dynamic_stack 0
		.amdhsa_system_sgpr_private_segment_wavefront_offset 0
		.amdhsa_system_sgpr_workgroup_id_x 1
		.amdhsa_system_sgpr_workgroup_id_y 0
		.amdhsa_system_sgpr_workgroup_id_z 0
		.amdhsa_system_sgpr_workgroup_info 0
		.amdhsa_system_vgpr_workitem_id 0
		.amdhsa_next_free_vgpr 59
		.amdhsa_next_free_sgpr 59
		.amdhsa_accum_offset 60
		.amdhsa_reserve_vcc 1
		.amdhsa_reserve_flat_scratch 0
		.amdhsa_float_round_mode_32 0
		.amdhsa_float_round_mode_16_64 0
		.amdhsa_float_denorm_mode_32 3
		.amdhsa_float_denorm_mode_16_64 3
		.amdhsa_dx10_clamp 1
		.amdhsa_ieee_mode 1
		.amdhsa_fp16_overflow 0
		.amdhsa_tg_split 0
		.amdhsa_exception_fp_ieee_invalid_op 0
		.amdhsa_exception_fp_denorm_src 0
		.amdhsa_exception_fp_ieee_div_zero 0
		.amdhsa_exception_fp_ieee_overflow 0
		.amdhsa_exception_fp_ieee_underflow 0
		.amdhsa_exception_fp_ieee_inexact 0
		.amdhsa_exception_int_div_zero 0
	.end_amdhsa_kernel
	.section	.text._ZN2at6native12_GLOBAL__N_16kernel17gru_cell_backwardIffiLi2EEEvNS_4cuda6detail10TensorInfoIT_T1_EES9_S9_S9_S9_S8_S8_,"axG",@progbits,_ZN2at6native12_GLOBAL__N_16kernel17gru_cell_backwardIffiLi2EEEvNS_4cuda6detail10TensorInfoIT_T1_EES9_S9_S9_S9_S8_S8_,comdat
.Lfunc_end53:
	.size	_ZN2at6native12_GLOBAL__N_16kernel17gru_cell_backwardIffiLi2EEEvNS_4cuda6detail10TensorInfoIT_T1_EES9_S9_S9_S9_S8_S8_, .Lfunc_end53-_ZN2at6native12_GLOBAL__N_16kernel17gru_cell_backwardIffiLi2EEEvNS_4cuda6detail10TensorInfoIT_T1_EES9_S9_S9_S9_S8_S8_
                                        ; -- End function
	.section	.AMDGPU.csdata,"",@progbits
; Kernel info:
; codeLenInByte = 2744
; NumSgprs: 63
; NumVgprs: 59
; NumAgprs: 0
; TotalNumVgprs: 59
; ScratchSize: 0
; MemoryBound: 0
; FloatMode: 240
; IeeeMode: 1
; LDSByteSize: 0 bytes/workgroup (compile time only)
; SGPRBlocks: 7
; VGPRBlocks: 7
; NumSGPRsForWavesPerEU: 63
; NumVGPRsForWavesPerEU: 59
; AccumOffset: 60
; Occupancy: 8
; WaveLimiterHint : 1
; COMPUTE_PGM_RSRC2:SCRATCH_EN: 0
; COMPUTE_PGM_RSRC2:USER_SGPR: 6
; COMPUTE_PGM_RSRC2:TRAP_HANDLER: 0
; COMPUTE_PGM_RSRC2:TGID_X_EN: 1
; COMPUTE_PGM_RSRC2:TGID_Y_EN: 0
; COMPUTE_PGM_RSRC2:TGID_Z_EN: 0
; COMPUTE_PGM_RSRC2:TIDIG_COMP_CNT: 0
; COMPUTE_PGM_RSRC3_GFX90A:ACCUM_OFFSET: 14
; COMPUTE_PGM_RSRC3_GFX90A:TG_SPLIT: 0
	.section	.text._ZN2at6native12_GLOBAL__N_16kernel17gru_cell_backwardIfflLi1EEEvNS_4cuda6detail10TensorInfoIT_T1_EES9_S9_S9_S9_S8_S8_,"axG",@progbits,_ZN2at6native12_GLOBAL__N_16kernel17gru_cell_backwardIfflLi1EEEvNS_4cuda6detail10TensorInfoIT_T1_EES9_S9_S9_S9_S8_S8_,comdat
	.globl	_ZN2at6native12_GLOBAL__N_16kernel17gru_cell_backwardIfflLi1EEEvNS_4cuda6detail10TensorInfoIT_T1_EES9_S9_S9_S9_S8_S8_ ; -- Begin function _ZN2at6native12_GLOBAL__N_16kernel17gru_cell_backwardIfflLi1EEEvNS_4cuda6detail10TensorInfoIT_T1_EES9_S9_S9_S9_S8_S8_
	.p2align	8
	.type	_ZN2at6native12_GLOBAL__N_16kernel17gru_cell_backwardIfflLi1EEEvNS_4cuda6detail10TensorInfoIT_T1_EES9_S9_S9_S9_S8_S8_,@function
_ZN2at6native12_GLOBAL__N_16kernel17gru_cell_backwardIfflLi1EEEvNS_4cuda6detail10TensorInfoIT_T1_EES9_S9_S9_S9_S8_S8_: ; @_ZN2at6native12_GLOBAL__N_16kernel17gru_cell_backwardIfflLi1EEEvNS_4cuda6detail10TensorInfoIT_T1_EES9_S9_S9_S9_S8_S8_
; %bb.0:
	s_load_dword s2, s[4:5], 0x83c
	s_load_dwordx4 s[8:11], s[4:5], 0x820
	s_add_u32 s0, s4, 0x830
	s_addc_u32 s1, s5, 0
	v_mov_b32_e32 v2, 0
	s_waitcnt lgkmcnt(0)
	s_and_b32 s20, s2, 0xffff
	s_mul_i32 s6, s6, s20
	v_add_u32_e32 v0, s6, v0
	v_mov_b32_e32 v1, v2
	v_cmp_gt_i64_e32 vcc, s[10:11], v[0:1]
	s_and_saveexec_b64 s[2:3], vcc
	s_cbranch_execz .LBB54_7
; %bb.1:
	s_load_dwordx2 s[2:3], s[4:5], 0x0
	s_load_dwordx2 s[6:7], s[4:5], 0xd0
	s_load_dwordx2 s[12:13], s[4:5], 0x1a0
	s_load_dwordx2 s[14:15], s[4:5], 0x270
	s_load_dword s21, s[0:1], 0x0
	s_load_dwordx2 s[22:23], s[4:5], 0x340
	s_load_dwordx2 s[24:25], s[4:5], 0x410
	;; [unrolled: 1-line block ×6, first 2 shown]
	s_waitcnt lgkmcnt(0)
	v_mul_lo_u32 v3, 0, s24
	v_mul_lo_u32 v6, v0, s25
	v_mad_u64_u32 v[4:5], s[0:1], v0, s24, 0
	s_mul_i32 s33, s21, s20
	v_add3_u32 v5, v5, v6, v3
	v_lshlrev_b64 v[4:5], 2, v[4:5]
	s_mul_i32 s0, s33, s25
	s_mul_hi_u32 s1, s33, s24
	v_mov_b32_e32 v3, s23
	v_add_co_u32_e32 v4, vcc, s22, v4
	s_add_i32 s1, s1, s0
	s_mul_i32 s0, s33, s24
	v_addc_co_u32_e32 v5, vcc, v3, v5, vcc
	s_lshl_b64 s[22:23], s[0:1], 2
	v_mul_lo_u32 v3, 0, s28
	v_mul_lo_u32 v8, v0, s29
	v_mad_u64_u32 v[6:7], s[0:1], v0, s28, 0
	v_add3_u32 v7, v7, v8, v3
	v_lshlrev_b64 v[6:7], 2, v[6:7]
	s_mul_i32 s0, s33, s29
	s_mul_hi_u32 s1, s33, s28
	v_mov_b32_e32 v3, s27
	v_add_co_u32_e32 v6, vcc, s26, v6
	s_add_i32 s1, s1, s0
	s_mul_i32 s0, s33, s28
	s_mov_b32 s36, 0
	s_lshl_b64 s[4:5], s[8:9], 2
	s_lshl_b64 s[20:21], s[8:9], 1
	v_addc_co_u32_e32 v7, vcc, v3, v7, vcc
	s_lshl_b64 s[24:25], s[0:1], 2
	s_mov_b64 s[26:27], 0
	s_ashr_i32 s28, s9, 31
	s_branch .LBB54_3
.LBB54_2:                               ;   in Loop: Header=BB54_3 Depth=1
	s_or_b64 exec, exec, s[0:1]
	v_mad_u64_u32 v[10:11], s[0:1], s4, v8, v[0:1]
	v_mul_lo_u32 v3, s4, v9
	v_mul_lo_u32 v12, s5, v8
	v_add3_u32 v3, v12, v11, v3
	v_mul_lo_u32 v12, v10, s19
	v_mul_lo_u32 v3, v3, s18
	v_mad_u64_u32 v[10:11], s[0:1], v10, s18, 0
	v_add3_u32 v11, v11, v12, v3
	v_lshlrev_b64 v[12:13], 2, v[8:9]
	v_or_b32_e32 v14, 1, v12
	v_mul_lo_u32 v20, s8, v13
	v_mul_lo_u32 v16, s9, v14
	v_mad_u64_u32 v[14:15], s[0:1], s8, v14, v[0:1]
	v_add3_u32 v15, v16, v15, v20
	v_mul_lo_u32 v16, v15, s18
	v_mul_lo_u32 v17, v14, s19
	v_mad_u64_u32 v[14:15], s[0:1], v14, s18, 0
	v_add3_u32 v15, v15, v17, v16
	v_or_b32_e32 v16, 2, v12
	v_mul_lo_u32 v18, s9, v16
	v_mad_u64_u32 v[16:17], s[0:1], s8, v16, v[0:1]
	v_add3_u32 v17, v18, v17, v20
	v_lshlrev_b64 v[10:11], 2, v[10:11]
	v_mul_lo_u32 v18, v17, s18
	v_mul_lo_u32 v19, v16, s19
	v_mad_u64_u32 v[16:17], s[0:1], v16, s18, 0
	v_mov_b32_e32 v3, s17
	v_add_co_u32_e32 v10, vcc, s16, v10
	v_add3_u32 v17, v17, v19, v18
	v_or_b32_e32 v18, 3, v12
	v_addc_co_u32_e32 v11, vcc, v3, v11, vcc
	v_lshlrev_b64 v[14:15], 2, v[14:15]
	v_mul_lo_u32 v21, s9, v18
	v_mad_u64_u32 v[18:19], s[0:1], s8, v18, v[0:1]
	v_add_co_u32_e32 v14, vcc, s16, v14
	v_add3_u32 v19, v21, v19, v20
	v_addc_co_u32_e32 v15, vcc, v3, v15, vcc
	v_lshlrev_b64 v[16:17], 2, v[16:17]
	v_mul_lo_u32 v20, v19, s18
	v_mul_lo_u32 v21, v18, s19
	v_mad_u64_u32 v[18:19], s[0:1], v18, s18, 0
	v_add_co_u32_e32 v16, vcc, s16, v16
	v_add3_u32 v19, v19, v21, v20
	v_addc_co_u32_e32 v17, vcc, v3, v17, vcc
	v_lshlrev_b64 v[18:19], 2, v[18:19]
	v_add_co_u32_e32 v18, vcc, s16, v18
	v_addc_co_u32_e32 v19, vcc, v3, v19, vcc
	global_load_dword v20, v[10:11], off
	global_load_dword v21, v[14:15], off
	;; [unrolled: 1-line block ×4, first 2 shown]
	v_add_co_u32_e32 v10, vcc, 4, v12
	v_addc_co_u32_e32 v11, vcc, 0, v13, vcc
	v_mul_lo_u32 v12, s8, v11
	v_mul_lo_u32 v13, s9, v10
	v_mad_u64_u32 v[10:11], s[0:1], s8, v10, v[0:1]
	v_add3_u32 v11, v13, v11, v12
	v_mul_lo_u32 v12, v11, s18
	v_mul_lo_u32 v13, v10, s19
	v_mad_u64_u32 v[10:11], s[0:1], v10, s18, 0
	global_load_dword v14, v[4:5], off
	v_add3_u32 v11, v11, v13, v12
	v_lshlrev_b64 v[10:11], 2, v[10:11]
	v_add_co_u32_e32 v10, vcc, s16, v10
	v_addc_co_u32_e32 v11, vcc, v3, v11, vcc
	global_load_dword v3, v[10:11], off
	v_mad_u64_u32 v[10:11], s[0:1], s20, v8, v[0:1]
	v_mul_lo_u32 v12, s20, v9
	v_mul_lo_u32 v13, s21, v8
	v_add3_u32 v11, v13, v11, v12
	v_mul_lo_u32 v15, v11, s6
	v_lshlrev_b64 v[8:9], 1, v[8:9]
	s_waitcnt vmcnt(4)
	v_sub_f32_e32 v13, 1.0, v21
	s_waitcnt vmcnt(2)
	v_sub_f32_e32 v12, v23, v22
	s_waitcnt vmcnt(1)
	v_mul_f32_e32 v12, v12, v14
	v_mul_f32_e32 v12, v13, v12
	;; [unrolled: 1-line block ×4, first 2 shown]
	v_fma_f32 v13, -v22, v22, 1.0
	v_mul_f32_e32 v18, v13, v12
	v_sub_f32_e32 v12, 1.0, v20
	s_waitcnt vmcnt(0)
	v_mul_f32_e32 v3, v3, v18
	v_mul_f32_e32 v17, v21, v14
	;; [unrolled: 1-line block ×3, first 2 shown]
	v_mul_lo_u32 v14, v10, s7
	v_mad_u64_u32 v[12:13], s[0:1], v10, s6, 0
	v_add3_u32 v13, v13, v14, v15
	v_lshlrev_b64 v[12:13], 2, v[12:13]
	v_mul_f32_e32 v19, v20, v18
	v_mul_f32_e32 v3, v20, v3
	v_mov_b32_e32 v20, s3
	v_add_co_u32_e32 v12, vcc, s2, v12
	v_addc_co_u32_e32 v13, vcc, v20, v13, vcc
	global_store_dword v[12:13], v3, off
	v_or_b32_e32 v12, 1, v8
	v_mul_lo_u32 v14, s8, v9
	v_mul_lo_u32 v15, s9, v12
	v_mad_u64_u32 v[12:13], s[0:1], s8, v12, v[0:1]
	v_add3_u32 v13, v15, v13, v14
	v_mul_lo_u32 v21, v13, s6
	v_mul_lo_u32 v22, v12, s7
	v_mad_u64_u32 v[14:15], s[0:1], v12, s6, 0
	v_add3_u32 v15, v15, v22, v21
	v_lshlrev_b64 v[14:15], 2, v[14:15]
	v_add_co_u32_e32 v14, vcc, s2, v14
	v_addc_co_u32_e32 v15, vcc, v20, v15, vcc
	v_add_co_u32_e32 v8, vcc, 2, v8
	v_addc_co_u32_e32 v9, vcc, 0, v9, vcc
	global_store_dword v[14:15], v16, off
	v_mul_lo_u32 v14, s8, v9
	v_mul_lo_u32 v15, s9, v8
	v_mad_u64_u32 v[8:9], s[0:1], s8, v8, v[0:1]
	v_add3_u32 v9, v15, v9, v14
	v_mul_lo_u32 v21, v9, s6
	v_mul_lo_u32 v22, v8, s7
	v_mad_u64_u32 v[14:15], s[0:1], v8, s6, 0
	v_add3_u32 v15, v15, v22, v21
	v_lshlrev_b64 v[14:15], 2, v[14:15]
	v_add_co_u32_e32 v14, vcc, s2, v14
	v_addc_co_u32_e32 v15, vcc, v20, v15, vcc
	global_store_dword v[14:15], v18, off
	v_mul_lo_u32 v14, v10, s15
	v_mul_lo_u32 v15, v11, s14
	v_mad_u64_u32 v[10:11], s[0:1], v10, s14, 0
	v_add3_u32 v11, v11, v14, v15
	v_lshlrev_b64 v[10:11], 2, v[10:11]
	v_mov_b32_e32 v14, s13
	v_add_co_u32_e32 v10, vcc, s12, v10
	v_addc_co_u32_e32 v11, vcc, v14, v11, vcc
	global_store_dword v[10:11], v3, off
	v_mul_lo_u32 v3, v13, s14
	v_mul_lo_u32 v13, v12, s15
	v_mad_u64_u32 v[10:11], s[0:1], v12, s14, 0
	v_add3_u32 v11, v11, v13, v3
	v_lshlrev_b64 v[10:11], 2, v[10:11]
	v_add_co_u32_e32 v10, vcc, s12, v10
	v_addc_co_u32_e32 v11, vcc, v14, v11, vcc
	global_store_dword v[10:11], v16, off
	v_mul_lo_u32 v3, v9, s14
	v_mul_lo_u32 v10, v8, s15
	v_mad_u64_u32 v[8:9], s[0:1], v8, s14, 0
	v_add3_u32 v9, v9, v10, v3
	v_lshlrev_b64 v[8:9], 2, v[8:9]
	v_add_co_u32_e32 v8, vcc, s12, v8
	v_addc_co_u32_e32 v9, vcc, v14, v9, vcc
	v_mov_b32_e32 v3, s36
	v_add_co_u32_e32 v0, vcc, s33, v0
	v_addc_co_u32_e32 v1, vcc, v1, v3, vcc
	v_mov_b32_e32 v3, s23
	v_add_co_u32_e32 v4, vcc, s22, v4
	v_addc_co_u32_e32 v5, vcc, v5, v3, vcc
	v_cmp_le_i64_e32 vcc, s[10:11], v[0:1]
	global_store_dword v[8:9], v19, off
	global_store_dword v[6:7], v17, off
	v_mov_b32_e32 v3, s25
	s_or_b64 s[26:27], vcc, s[26:27]
	v_add_co_u32_e32 v6, vcc, s24, v6
	v_addc_co_u32_e32 v7, vcc, v7, v3, vcc
	s_andn2_b64 exec, exec, s[26:27]
	s_cbranch_execz .LBB54_7
.LBB54_3:                               ; =>This Inner Loop Header: Depth=1
	v_or_b32_e32 v3, s9, v1
	v_cmp_ne_u64_e32 vcc, 0, v[2:3]
                                        ; implicit-def: $vgpr8_vgpr9
	s_and_saveexec_b64 s[0:1], vcc
	s_xor_b64 s[30:31], exec, s[0:1]
	s_cbranch_execz .LBB54_5
; %bb.4:                                ;   in Loop: Header=BB54_3 Depth=1
	s_add_u32 s0, s8, s28
	s_mov_b32 s29, s28
	s_addc_u32 s1, s9, s28
	s_xor_b64 s[34:35], s[0:1], s[28:29]
	v_cvt_f32_u32_e32 v3, s34
	v_cvt_f32_u32_e32 v8, s35
	s_sub_u32 s0, 0, s34
	s_subb_u32 s1, 0, s35
	v_mac_f32_e32 v3, 0x4f800000, v8
	v_rcp_f32_e32 v3, v3
	v_mul_f32_e32 v3, 0x5f7ffffc, v3
	v_mul_f32_e32 v8, 0x2f800000, v3
	v_trunc_f32_e32 v8, v8
	v_mac_f32_e32 v3, 0xcf800000, v8
	v_cvt_u32_f32_e32 v8, v8
	v_cvt_u32_f32_e32 v3, v3
	v_mul_lo_u32 v9, s0, v8
	v_mul_hi_u32 v11, s0, v3
	v_mul_lo_u32 v10, s1, v3
	v_add_u32_e32 v9, v11, v9
	v_mul_lo_u32 v12, s0, v3
	v_add_u32_e32 v9, v9, v10
	v_mul_lo_u32 v11, v3, v9
	v_mul_hi_u32 v13, v3, v12
	v_mul_hi_u32 v10, v3, v9
	v_add_co_u32_e32 v11, vcc, v13, v11
	v_addc_co_u32_e32 v10, vcc, 0, v10, vcc
	v_mul_hi_u32 v14, v8, v12
	v_mul_lo_u32 v12, v8, v12
	v_add_co_u32_e32 v11, vcc, v11, v12
	v_mul_hi_u32 v13, v8, v9
	v_addc_co_u32_e32 v10, vcc, v10, v14, vcc
	v_addc_co_u32_e32 v11, vcc, 0, v13, vcc
	v_mul_lo_u32 v9, v8, v9
	v_add_co_u32_e32 v9, vcc, v10, v9
	v_addc_co_u32_e32 v10, vcc, 0, v11, vcc
	v_add_co_u32_e32 v3, vcc, v3, v9
	v_addc_co_u32_e32 v8, vcc, v8, v10, vcc
	v_mul_lo_u32 v9, s0, v8
	v_mul_hi_u32 v10, s0, v3
	v_add_u32_e32 v9, v10, v9
	v_mul_lo_u32 v10, s1, v3
	v_add_u32_e32 v9, v9, v10
	v_mul_lo_u32 v11, s0, v3
	v_mul_hi_u32 v12, v8, v11
	v_mul_lo_u32 v13, v8, v11
	v_mul_lo_u32 v15, v3, v9
	v_mul_hi_u32 v11, v3, v11
	v_mul_hi_u32 v14, v3, v9
	v_add_co_u32_e32 v11, vcc, v11, v15
	v_addc_co_u32_e32 v14, vcc, 0, v14, vcc
	v_add_co_u32_e32 v11, vcc, v11, v13
	v_mul_hi_u32 v10, v8, v9
	v_addc_co_u32_e32 v11, vcc, v14, v12, vcc
	v_addc_co_u32_e32 v10, vcc, 0, v10, vcc
	v_mul_lo_u32 v9, v8, v9
	v_add_co_u32_e32 v9, vcc, v11, v9
	v_addc_co_u32_e32 v10, vcc, 0, v10, vcc
	v_add_co_u32_e32 v3, vcc, v3, v9
	v_addc_co_u32_e32 v10, vcc, v8, v10, vcc
	v_ashrrev_i32_e32 v12, 31, v1
	v_add_co_u32_e32 v8, vcc, v0, v12
	v_addc_co_u32_e32 v9, vcc, v1, v12, vcc
	v_xor_b32_e32 v14, v8, v12
	v_xor_b32_e32 v13, v9, v12
	v_mad_u64_u32 v[8:9], s[0:1], v14, v10, 0
	v_mul_hi_u32 v11, v14, v3
	v_add_co_u32_e32 v15, vcc, v11, v8
	v_addc_co_u32_e32 v16, vcc, 0, v9, vcc
	v_mad_u64_u32 v[8:9], s[0:1], v13, v10, 0
	v_mad_u64_u32 v[10:11], s[0:1], v13, v3, 0
	v_add_co_u32_e32 v3, vcc, v15, v10
	v_addc_co_u32_e32 v3, vcc, v16, v11, vcc
	v_addc_co_u32_e32 v9, vcc, 0, v9, vcc
	v_add_co_u32_e32 v3, vcc, v3, v8
	v_addc_co_u32_e32 v10, vcc, 0, v9, vcc
	v_mul_lo_u32 v11, s35, v3
	v_mul_lo_u32 v15, s34, v10
	v_mad_u64_u32 v[8:9], s[0:1], s34, v3, 0
	v_add3_u32 v9, v9, v15, v11
	v_sub_u32_e32 v11, v13, v9
	v_mov_b32_e32 v15, s35
	v_sub_co_u32_e32 v8, vcc, v14, v8
	v_subb_co_u32_e64 v11, s[0:1], v11, v15, vcc
	v_subrev_co_u32_e64 v14, s[0:1], s34, v8
	v_subbrev_co_u32_e64 v11, s[0:1], 0, v11, s[0:1]
	v_cmp_le_u32_e64 s[0:1], s35, v11
	v_cndmask_b32_e64 v15, 0, -1, s[0:1]
	v_cmp_le_u32_e64 s[0:1], s34, v14
	v_cndmask_b32_e64 v14, 0, -1, s[0:1]
	v_cmp_eq_u32_e64 s[0:1], s35, v11
	v_cndmask_b32_e64 v11, v15, v14, s[0:1]
	v_add_co_u32_e64 v14, s[0:1], 2, v3
	v_subb_co_u32_e32 v9, vcc, v13, v9, vcc
	v_addc_co_u32_e64 v15, s[0:1], 0, v10, s[0:1]
	v_cmp_le_u32_e32 vcc, s35, v9
	v_add_co_u32_e64 v16, s[0:1], 1, v3
	v_cndmask_b32_e64 v13, 0, -1, vcc
	v_cmp_le_u32_e32 vcc, s34, v8
	v_addc_co_u32_e64 v17, s[0:1], 0, v10, s[0:1]
	v_cndmask_b32_e64 v8, 0, -1, vcc
	v_cmp_eq_u32_e32 vcc, s35, v9
	v_cmp_ne_u32_e64 s[0:1], 0, v11
	v_cndmask_b32_e32 v8, v13, v8, vcc
	v_cmp_ne_u32_e32 vcc, 0, v8
	v_cndmask_b32_e64 v9, v16, v14, s[0:1]
	v_cndmask_b32_e64 v11, v17, v15, s[0:1]
	v_cndmask_b32_e32 v3, v3, v9, vcc
	v_xor_b32_e32 v9, s28, v12
	v_cndmask_b32_e32 v8, v10, v11, vcc
	v_xor_b32_e32 v3, v3, v9
	v_xor_b32_e32 v10, v8, v9
	v_sub_co_u32_e32 v8, vcc, v3, v9
	v_subb_co_u32_e32 v9, vcc, v10, v9, vcc
.LBB54_5:                               ;   in Loop: Header=BB54_3 Depth=1
	s_andn2_saveexec_b64 s[0:1], s[30:31]
	s_cbranch_execz .LBB54_2
; %bb.6:                                ;   in Loop: Header=BB54_3 Depth=1
	v_cvt_f32_u32_e32 v3, s8
	s_sub_i32 s29, 0, s8
	v_rcp_iflag_f32_e32 v3, v3
	v_mul_f32_e32 v3, 0x4f7ffffe, v3
	v_cvt_u32_f32_e32 v3, v3
	v_mul_lo_u32 v8, s29, v3
	v_mul_hi_u32 v8, v3, v8
	v_add_u32_e32 v3, v3, v8
	v_mul_hi_u32 v3, v0, v3
	v_mul_lo_u32 v8, v3, s8
	v_sub_u32_e32 v8, v0, v8
	v_add_u32_e32 v9, 1, v3
	v_subrev_u32_e32 v10, s8, v8
	v_cmp_le_u32_e32 vcc, s8, v8
	v_cndmask_b32_e32 v8, v8, v10, vcc
	v_cndmask_b32_e32 v3, v3, v9, vcc
	v_add_u32_e32 v9, 1, v3
	v_cmp_le_u32_e32 vcc, s8, v8
	v_cndmask_b32_e32 v8, v3, v9, vcc
	v_mov_b32_e32 v9, v2
	s_branch .LBB54_2
.LBB54_7:
	s_endpgm
	.section	.rodata,"a",@progbits
	.p2align	6, 0x0
	.amdhsa_kernel _ZN2at6native12_GLOBAL__N_16kernel17gru_cell_backwardIfflLi1EEEvNS_4cuda6detail10TensorInfoIT_T1_EES9_S9_S9_S9_S8_S8_
		.amdhsa_group_segment_fixed_size 0
		.amdhsa_private_segment_fixed_size 0
		.amdhsa_kernarg_size 2352
		.amdhsa_user_sgpr_count 6
		.amdhsa_user_sgpr_private_segment_buffer 1
		.amdhsa_user_sgpr_dispatch_ptr 0
		.amdhsa_user_sgpr_queue_ptr 0
		.amdhsa_user_sgpr_kernarg_segment_ptr 1
		.amdhsa_user_sgpr_dispatch_id 0
		.amdhsa_user_sgpr_flat_scratch_init 0
		.amdhsa_user_sgpr_kernarg_preload_length 0
		.amdhsa_user_sgpr_kernarg_preload_offset 0
		.amdhsa_user_sgpr_private_segment_size 0
		.amdhsa_uses_dynamic_stack 0
		.amdhsa_system_sgpr_private_segment_wavefront_offset 0
		.amdhsa_system_sgpr_workgroup_id_x 1
		.amdhsa_system_sgpr_workgroup_id_y 0
		.amdhsa_system_sgpr_workgroup_id_z 0
		.amdhsa_system_sgpr_workgroup_info 0
		.amdhsa_system_vgpr_workitem_id 0
		.amdhsa_next_free_vgpr 24
		.amdhsa_next_free_sgpr 37
		.amdhsa_accum_offset 24
		.amdhsa_reserve_vcc 1
		.amdhsa_reserve_flat_scratch 0
		.amdhsa_float_round_mode_32 0
		.amdhsa_float_round_mode_16_64 0
		.amdhsa_float_denorm_mode_32 3
		.amdhsa_float_denorm_mode_16_64 3
		.amdhsa_dx10_clamp 1
		.amdhsa_ieee_mode 1
		.amdhsa_fp16_overflow 0
		.amdhsa_tg_split 0
		.amdhsa_exception_fp_ieee_invalid_op 0
		.amdhsa_exception_fp_denorm_src 0
		.amdhsa_exception_fp_ieee_div_zero 0
		.amdhsa_exception_fp_ieee_overflow 0
		.amdhsa_exception_fp_ieee_underflow 0
		.amdhsa_exception_fp_ieee_inexact 0
		.amdhsa_exception_int_div_zero 0
	.end_amdhsa_kernel
	.section	.text._ZN2at6native12_GLOBAL__N_16kernel17gru_cell_backwardIfflLi1EEEvNS_4cuda6detail10TensorInfoIT_T1_EES9_S9_S9_S9_S8_S8_,"axG",@progbits,_ZN2at6native12_GLOBAL__N_16kernel17gru_cell_backwardIfflLi1EEEvNS_4cuda6detail10TensorInfoIT_T1_EES9_S9_S9_S9_S8_S8_,comdat
.Lfunc_end54:
	.size	_ZN2at6native12_GLOBAL__N_16kernel17gru_cell_backwardIfflLi1EEEvNS_4cuda6detail10TensorInfoIT_T1_EES9_S9_S9_S9_S8_S8_, .Lfunc_end54-_ZN2at6native12_GLOBAL__N_16kernel17gru_cell_backwardIfflLi1EEEvNS_4cuda6detail10TensorInfoIT_T1_EES9_S9_S9_S9_S8_S8_
                                        ; -- End function
	.section	.AMDGPU.csdata,"",@progbits
; Kernel info:
; codeLenInByte = 2196
; NumSgprs: 41
; NumVgprs: 24
; NumAgprs: 0
; TotalNumVgprs: 24
; ScratchSize: 0
; MemoryBound: 0
; FloatMode: 240
; IeeeMode: 1
; LDSByteSize: 0 bytes/workgroup (compile time only)
; SGPRBlocks: 5
; VGPRBlocks: 2
; NumSGPRsForWavesPerEU: 41
; NumVGPRsForWavesPerEU: 24
; AccumOffset: 24
; Occupancy: 8
; WaveLimiterHint : 1
; COMPUTE_PGM_RSRC2:SCRATCH_EN: 0
; COMPUTE_PGM_RSRC2:USER_SGPR: 6
; COMPUTE_PGM_RSRC2:TRAP_HANDLER: 0
; COMPUTE_PGM_RSRC2:TGID_X_EN: 1
; COMPUTE_PGM_RSRC2:TGID_Y_EN: 0
; COMPUTE_PGM_RSRC2:TGID_Z_EN: 0
; COMPUTE_PGM_RSRC2:TIDIG_COMP_CNT: 0
; COMPUTE_PGM_RSRC3_GFX90A:ACCUM_OFFSET: 5
; COMPUTE_PGM_RSRC3_GFX90A:TG_SPLIT: 0
	.section	.text._ZN2at6native12_GLOBAL__N_16kernel17gru_cell_backwardIfflLi2EEEvNS_4cuda6detail10TensorInfoIT_T1_EES9_S9_S9_S9_S8_S8_,"axG",@progbits,_ZN2at6native12_GLOBAL__N_16kernel17gru_cell_backwardIfflLi2EEEvNS_4cuda6detail10TensorInfoIT_T1_EES9_S9_S9_S9_S8_S8_,comdat
	.globl	_ZN2at6native12_GLOBAL__N_16kernel17gru_cell_backwardIfflLi2EEEvNS_4cuda6detail10TensorInfoIT_T1_EES9_S9_S9_S9_S8_S8_ ; -- Begin function _ZN2at6native12_GLOBAL__N_16kernel17gru_cell_backwardIfflLi2EEEvNS_4cuda6detail10TensorInfoIT_T1_EES9_S9_S9_S9_S8_S8_
	.p2align	8
	.type	_ZN2at6native12_GLOBAL__N_16kernel17gru_cell_backwardIfflLi2EEEvNS_4cuda6detail10TensorInfoIT_T1_EES9_S9_S9_S9_S8_S8_,@function
_ZN2at6native12_GLOBAL__N_16kernel17gru_cell_backwardIfflLi2EEEvNS_4cuda6detail10TensorInfoIT_T1_EES9_S9_S9_S9_S8_S8_: ; @_ZN2at6native12_GLOBAL__N_16kernel17gru_cell_backwardIfflLi2EEEvNS_4cuda6detail10TensorInfoIT_T1_EES9_S9_S9_S9_S8_S8_
; %bb.0:
	s_load_dword s2, s[4:5], 0x83c
	s_load_dwordx4 s[8:11], s[4:5], 0x820
	s_add_u32 s0, s4, 0x830
	s_addc_u32 s1, s5, 0
	v_mov_b32_e32 v2, 0
	s_waitcnt lgkmcnt(0)
	s_and_b32 s33, s2, 0xffff
	s_mul_i32 s6, s6, s33
	v_add_u32_e32 v0, s6, v0
	v_mov_b32_e32 v1, v2
	v_cmp_gt_i64_e32 vcc, s[10:11], v[0:1]
	s_and_saveexec_b64 s[2:3], vcc
	s_cbranch_execz .LBB55_59
; %bb.1:
	v_cvt_f32_u32_e32 v3, s8
	s_load_dwordx2 s[2:3], s[4:5], 0x0
	s_load_dwordx2 s[28:29], s[4:5], 0x10
	s_load_dwordx4 s[12:15], s[4:5], 0xd0
	s_load_dwordx2 s[30:31], s[4:5], 0x1a0
	s_load_dwordx2 s[34:35], s[4:5], 0x1b0
	s_load_dwordx4 s[16:19], s[4:5], 0x270
	;; [unrolled: 3-line block ×4, first 2 shown]
	s_load_dword s48, s[0:1], 0x0
	s_load_dwordx2 s[44:45], s[4:5], 0x680
	s_load_dwordx2 s[46:47], s[4:5], 0x690
                                        ; kill: killed $sgpr0 killed $sgpr1
	s_nop 0
	s_load_dwordx4 s[4:7], s[4:5], 0x750
	s_waitcnt lgkmcnt(0)
	s_mul_i32 s33, s48, s33
	s_lshl_b64 s[48:49], s[8:9], 2
	v_rcp_iflag_f32_e32 v3, v3
	s_lshl_b64 s[50:51], s[8:9], 1
	s_sub_u32 s61, 0, s38
	s_subb_u32 s62, 0, s39
	v_mul_f32_e32 v3, 0x4f7ffffe, v3
	v_cvt_u32_f32_e32 v18, v3
	s_sub_u32 s63, 0, s42
	s_mov_b32 s60, 0
	s_mov_b64 s[52:53], 0
	s_subb_u32 s64, 0, s43
	s_branch .LBB55_3
.LBB55_2:                               ;   in Loop: Header=BB55_3 Depth=1
	s_or_b64 exec, exec, s[0:1]
	v_mad_u64_u32 v[6:7], s[0:1], s63, v4, v[0:1]
	v_mul_lo_u32 v8, s63, v5
	v_mul_lo_u32 v9, s64, v4
	v_add3_u32 v7, v9, v7, v8
	v_mul_lo_u32 v8, v6, s27
	v_mul_lo_u32 v9, v7, s26
	v_mad_u64_u32 v[6:7], s[0:1], v6, s26, 0
	v_add3_u32 v7, v7, v8, v9
	v_mul_lo_u32 v8, v5, s24
	v_mul_lo_u32 v9, v4, s25
	v_mad_u64_u32 v[4:5], s[0:1], v4, s24, 0
	v_add3_u32 v5, v5, v9, v8
	v_lshlrev_b64 v[4:5], 2, v[4:5]
	v_mov_b32_e32 v8, s41
	v_add_co_u32_e32 v9, vcc, s40, v4
	v_addc_co_u32_e32 v8, vcc, v8, v5, vcc
	v_lshlrev_b64 v[4:5], 2, v[6:7]
	v_add_co_u32_e32 v4, vcc, v9, v4
	v_addc_co_u32_e32 v5, vcc, v8, v5, vcc
	v_mov_b32_e32 v6, s60
	v_add_co_u32_e32 v0, vcc, s33, v0
	v_addc_co_u32_e32 v1, vcc, v1, v6, vcc
	v_cmp_le_i64_e32 vcc, s[10:11], v[0:1]
	v_mul_f32_e32 v3, v21, v22
	s_or_b64 s[52:53], vcc, s[52:53]
	global_store_dword v[4:5], v3, off
	s_andn2_b64 exec, exec, s[52:53]
	s_cbranch_execz .LBB55_59
.LBB55_3:                               ; =>This Inner Loop Header: Depth=1
	v_or_b32_e32 v3, s9, v1
	v_cmp_ne_u64_e32 vcc, 0, v[2:3]
	v_ashrrev_i32_e32 v19, 31, v1
                                        ; implicit-def: $vgpr4_vgpr5
	s_and_saveexec_b64 s[0:1], vcc
	s_xor_b64 s[54:55], exec, s[0:1]
	s_cbranch_execz .LBB55_5
; %bb.4:                                ;   in Loop: Header=BB55_3 Depth=1
	s_ashr_i32 s56, s9, 31
	s_add_u32 s0, s8, s56
	s_mov_b32 s57, s56
	s_addc_u32 s1, s9, s56
	s_xor_b64 s[58:59], s[0:1], s[56:57]
	v_cvt_f32_u32_e32 v3, s58
	v_cvt_f32_u32_e32 v4, s59
	s_sub_u32 s0, 0, s58
	s_subb_u32 s1, 0, s59
	v_mac_f32_e32 v3, 0x4f800000, v4
	v_rcp_f32_e32 v3, v3
	v_mul_f32_e32 v3, 0x5f7ffffc, v3
	v_mul_f32_e32 v4, 0x2f800000, v3
	v_trunc_f32_e32 v4, v4
	v_mac_f32_e32 v3, 0xcf800000, v4
	v_cvt_u32_f32_e32 v4, v4
	v_cvt_u32_f32_e32 v3, v3
	v_mul_lo_u32 v5, s0, v4
	v_mul_hi_u32 v7, s0, v3
	v_mul_lo_u32 v6, s1, v3
	v_add_u32_e32 v5, v7, v5
	v_mul_lo_u32 v8, s0, v3
	v_add_u32_e32 v5, v5, v6
	v_mul_lo_u32 v7, v3, v5
	v_mul_hi_u32 v9, v3, v8
	v_mul_hi_u32 v6, v3, v5
	v_add_co_u32_e32 v7, vcc, v9, v7
	v_addc_co_u32_e32 v6, vcc, 0, v6, vcc
	v_mul_hi_u32 v10, v4, v8
	v_mul_lo_u32 v8, v4, v8
	v_add_co_u32_e32 v7, vcc, v7, v8
	v_mul_hi_u32 v9, v4, v5
	v_addc_co_u32_e32 v6, vcc, v6, v10, vcc
	v_addc_co_u32_e32 v7, vcc, 0, v9, vcc
	v_mul_lo_u32 v5, v4, v5
	v_add_co_u32_e32 v5, vcc, v6, v5
	v_addc_co_u32_e32 v6, vcc, 0, v7, vcc
	v_add_co_u32_e32 v3, vcc, v3, v5
	v_addc_co_u32_e32 v4, vcc, v4, v6, vcc
	v_mul_lo_u32 v5, s0, v4
	v_mul_hi_u32 v6, s0, v3
	v_add_u32_e32 v5, v6, v5
	v_mul_lo_u32 v6, s1, v3
	v_add_u32_e32 v5, v5, v6
	v_mul_lo_u32 v7, s0, v3
	v_mul_hi_u32 v8, v4, v7
	v_mul_lo_u32 v9, v4, v7
	v_mul_lo_u32 v11, v3, v5
	v_mul_hi_u32 v7, v3, v7
	v_mul_hi_u32 v10, v3, v5
	v_add_co_u32_e32 v7, vcc, v7, v11
	v_addc_co_u32_e32 v10, vcc, 0, v10, vcc
	v_add_co_u32_e32 v7, vcc, v7, v9
	v_mul_hi_u32 v6, v4, v5
	v_addc_co_u32_e32 v7, vcc, v10, v8, vcc
	v_addc_co_u32_e32 v6, vcc, 0, v6, vcc
	v_mul_lo_u32 v5, v4, v5
	v_add_co_u32_e32 v5, vcc, v7, v5
	v_addc_co_u32_e32 v6, vcc, 0, v6, vcc
	v_add_co_u32_e32 v3, vcc, v3, v5
	v_addc_co_u32_e32 v6, vcc, v4, v6, vcc
	;; [unrolled: 2-line block ×3, first 2 shown]
	v_xor_b32_e32 v9, v4, v19
	v_xor_b32_e32 v8, v5, v19
	v_mad_u64_u32 v[4:5], s[0:1], v9, v6, 0
	v_mul_hi_u32 v7, v9, v3
	v_add_co_u32_e32 v10, vcc, v7, v4
	v_addc_co_u32_e32 v11, vcc, 0, v5, vcc
	v_mad_u64_u32 v[4:5], s[0:1], v8, v6, 0
	v_mad_u64_u32 v[6:7], s[0:1], v8, v3, 0
	v_add_co_u32_e32 v3, vcc, v10, v6
	v_addc_co_u32_e32 v3, vcc, v11, v7, vcc
	v_addc_co_u32_e32 v5, vcc, 0, v5, vcc
	v_add_co_u32_e32 v3, vcc, v3, v4
	v_addc_co_u32_e32 v6, vcc, 0, v5, vcc
	v_mul_lo_u32 v7, s59, v3
	v_mul_lo_u32 v10, s58, v6
	v_mad_u64_u32 v[4:5], s[0:1], s58, v3, 0
	v_add3_u32 v5, v5, v10, v7
	v_sub_u32_e32 v7, v8, v5
	v_mov_b32_e32 v10, s59
	v_sub_co_u32_e32 v4, vcc, v9, v4
	v_subb_co_u32_e64 v7, s[0:1], v7, v10, vcc
	v_subrev_co_u32_e64 v9, s[0:1], s58, v4
	v_subbrev_co_u32_e64 v7, s[0:1], 0, v7, s[0:1]
	v_cmp_le_u32_e64 s[0:1], s59, v7
	v_cndmask_b32_e64 v10, 0, -1, s[0:1]
	v_cmp_le_u32_e64 s[0:1], s58, v9
	v_cndmask_b32_e64 v9, 0, -1, s[0:1]
	v_cmp_eq_u32_e64 s[0:1], s59, v7
	v_cndmask_b32_e64 v7, v10, v9, s[0:1]
	v_add_co_u32_e64 v9, s[0:1], 2, v3
	v_subb_co_u32_e32 v5, vcc, v8, v5, vcc
	v_addc_co_u32_e64 v10, s[0:1], 0, v6, s[0:1]
	v_cmp_le_u32_e32 vcc, s59, v5
	v_add_co_u32_e64 v11, s[0:1], 1, v3
	v_cndmask_b32_e64 v8, 0, -1, vcc
	v_cmp_le_u32_e32 vcc, s58, v4
	v_addc_co_u32_e64 v12, s[0:1], 0, v6, s[0:1]
	v_cndmask_b32_e64 v4, 0, -1, vcc
	v_cmp_eq_u32_e32 vcc, s59, v5
	v_cmp_ne_u32_e64 s[0:1], 0, v7
	v_cndmask_b32_e32 v4, v8, v4, vcc
	v_cmp_ne_u32_e32 vcc, 0, v4
	v_cndmask_b32_e64 v5, v11, v9, s[0:1]
	v_cndmask_b32_e64 v7, v12, v10, s[0:1]
	v_cndmask_b32_e32 v3, v3, v5, vcc
	v_xor_b32_e32 v5, s56, v19
	v_cndmask_b32_e32 v4, v6, v7, vcc
	v_xor_b32_e32 v3, v3, v5
	v_xor_b32_e32 v6, v4, v5
	v_sub_co_u32_e32 v4, vcc, v3, v5
	v_subb_co_u32_e32 v5, vcc, v6, v5, vcc
.LBB55_5:                               ;   in Loop: Header=BB55_3 Depth=1
	s_andn2_saveexec_b64 s[0:1], s[54:55]
	s_cbranch_execz .LBB55_7
; %bb.6:                                ;   in Loop: Header=BB55_3 Depth=1
	s_sub_i32 s54, 0, s8
	v_mul_lo_u32 v3, s54, v18
	v_mul_hi_u32 v3, v18, v3
	v_add_u32_e32 v3, v18, v3
	v_mul_hi_u32 v3, v0, v3
	v_mul_lo_u32 v4, v3, s8
	v_sub_u32_e32 v4, v0, v4
	v_subrev_u32_e32 v5, s8, v4
	v_cmp_le_u32_e32 vcc, s8, v4
	v_cndmask_b32_e32 v4, v4, v5, vcc
	v_add_u32_e32 v5, 1, v3
	v_cndmask_b32_e32 v3, v3, v5, vcc
	v_add_u32_e32 v5, 1, v3
	v_cmp_le_u32_e32 vcc, s8, v4
	v_cndmask_b32_e32 v4, v3, v5, vcc
	v_mov_b32_e32 v5, v2
.LBB55_7:                               ;   in Loop: Header=BB55_3 Depth=1
	s_or_b64 exec, exec, s[0:1]
	v_mul_lo_u32 v10, s49, v4
	v_mul_lo_u32 v11, s48, v5
	v_mad_u64_u32 v[6:7], s[0:1], s48, v4, v[0:1]
	v_add3_u32 v7, v10, v7, v11
	v_or_b32_e32 v3, s47, v7
	v_cmp_ne_u64_e32 vcc, 0, v[2:3]
                                        ; implicit-def: $vgpr8_vgpr9
	s_and_saveexec_b64 s[0:1], vcc
	s_xor_b64 s[54:55], exec, s[0:1]
	s_cbranch_execz .LBB55_9
; %bb.8:                                ;   in Loop: Header=BB55_3 Depth=1
	s_ashr_i32 s56, s47, 31
	s_add_u32 s0, s46, s56
	s_mov_b32 s57, s56
	s_addc_u32 s1, s47, s56
	s_xor_b64 s[58:59], s[0:1], s[56:57]
	v_cvt_f32_u32_e32 v3, s58
	v_cvt_f32_u32_e32 v8, s59
	s_sub_u32 s0, 0, s58
	s_subb_u32 s1, 0, s59
	v_mac_f32_e32 v3, 0x4f800000, v8
	v_rcp_f32_e32 v3, v3
	v_mul_f32_e32 v3, 0x5f7ffffc, v3
	v_mul_f32_e32 v8, 0x2f800000, v3
	v_trunc_f32_e32 v8, v8
	v_mac_f32_e32 v3, 0xcf800000, v8
	v_cvt_u32_f32_e32 v8, v8
	v_cvt_u32_f32_e32 v3, v3
	v_mul_lo_u32 v9, s0, v8
	v_mul_hi_u32 v13, s0, v3
	v_mul_lo_u32 v12, s1, v3
	v_add_u32_e32 v9, v13, v9
	v_mul_lo_u32 v14, s0, v3
	v_add_u32_e32 v9, v9, v12
	v_mul_lo_u32 v13, v3, v9
	v_mul_hi_u32 v15, v3, v14
	v_mul_hi_u32 v12, v3, v9
	v_add_co_u32_e32 v13, vcc, v15, v13
	v_addc_co_u32_e32 v12, vcc, 0, v12, vcc
	v_mul_hi_u32 v16, v8, v14
	v_mul_lo_u32 v14, v8, v14
	v_add_co_u32_e32 v13, vcc, v13, v14
	v_mul_hi_u32 v15, v8, v9
	v_addc_co_u32_e32 v12, vcc, v12, v16, vcc
	v_addc_co_u32_e32 v13, vcc, 0, v15, vcc
	v_mul_lo_u32 v9, v8, v9
	v_add_co_u32_e32 v9, vcc, v12, v9
	v_addc_co_u32_e32 v12, vcc, 0, v13, vcc
	v_add_co_u32_e32 v3, vcc, v3, v9
	v_addc_co_u32_e32 v8, vcc, v8, v12, vcc
	v_mul_lo_u32 v9, s0, v8
	v_mul_hi_u32 v12, s0, v3
	v_add_u32_e32 v9, v12, v9
	v_mul_lo_u32 v12, s1, v3
	v_add_u32_e32 v9, v9, v12
	v_mul_lo_u32 v13, s0, v3
	v_mul_hi_u32 v14, v8, v13
	v_mul_lo_u32 v15, v8, v13
	v_mul_lo_u32 v17, v3, v9
	v_mul_hi_u32 v13, v3, v13
	v_mul_hi_u32 v16, v3, v9
	v_add_co_u32_e32 v13, vcc, v13, v17
	v_addc_co_u32_e32 v16, vcc, 0, v16, vcc
	v_add_co_u32_e32 v13, vcc, v13, v15
	v_mul_hi_u32 v12, v8, v9
	v_addc_co_u32_e32 v13, vcc, v16, v14, vcc
	v_addc_co_u32_e32 v12, vcc, 0, v12, vcc
	v_mul_lo_u32 v9, v8, v9
	v_add_co_u32_e32 v9, vcc, v13, v9
	v_addc_co_u32_e32 v12, vcc, 0, v12, vcc
	v_add_co_u32_e32 v3, vcc, v3, v9
	v_addc_co_u32_e32 v8, vcc, v8, v12, vcc
	v_ashrrev_i32_e32 v12, 31, v7
	v_add_co_u32_e32 v6, vcc, v6, v12
	v_addc_co_u32_e32 v7, vcc, v7, v12, vcc
	v_xor_b32_e32 v14, v6, v12
	v_xor_b32_e32 v13, v7, v12
	v_mad_u64_u32 v[6:7], s[0:1], v14, v8, 0
	v_mul_hi_u32 v9, v14, v3
	v_add_co_u32_e32 v15, vcc, v9, v6
	v_addc_co_u32_e32 v16, vcc, 0, v7, vcc
	v_mad_u64_u32 v[6:7], s[0:1], v13, v8, 0
	v_mad_u64_u32 v[8:9], s[0:1], v13, v3, 0
	v_add_co_u32_e32 v3, vcc, v15, v8
	v_addc_co_u32_e32 v3, vcc, v16, v9, vcc
	v_addc_co_u32_e32 v7, vcc, 0, v7, vcc
	v_add_co_u32_e32 v3, vcc, v3, v6
	v_addc_co_u32_e32 v8, vcc, 0, v7, vcc
	v_mul_lo_u32 v9, s59, v3
	v_mul_lo_u32 v15, s58, v8
	v_mad_u64_u32 v[6:7], s[0:1], s58, v3, 0
	v_add3_u32 v7, v7, v15, v9
	v_sub_u32_e32 v9, v13, v7
	v_mov_b32_e32 v15, s59
	v_sub_co_u32_e32 v6, vcc, v14, v6
	v_subb_co_u32_e64 v9, s[0:1], v9, v15, vcc
	v_subrev_co_u32_e64 v14, s[0:1], s58, v6
	v_subbrev_co_u32_e64 v9, s[0:1], 0, v9, s[0:1]
	v_cmp_le_u32_e64 s[0:1], s59, v9
	v_cndmask_b32_e64 v15, 0, -1, s[0:1]
	v_cmp_le_u32_e64 s[0:1], s58, v14
	v_cndmask_b32_e64 v14, 0, -1, s[0:1]
	v_cmp_eq_u32_e64 s[0:1], s59, v9
	v_cndmask_b32_e64 v9, v15, v14, s[0:1]
	v_add_co_u32_e64 v14, s[0:1], 2, v3
	v_subb_co_u32_e32 v7, vcc, v13, v7, vcc
	v_addc_co_u32_e64 v15, s[0:1], 0, v8, s[0:1]
	v_cmp_le_u32_e32 vcc, s59, v7
	v_add_co_u32_e64 v16, s[0:1], 1, v3
	v_cndmask_b32_e64 v13, 0, -1, vcc
	v_cmp_le_u32_e32 vcc, s58, v6
	v_addc_co_u32_e64 v17, s[0:1], 0, v8, s[0:1]
	v_cndmask_b32_e64 v6, 0, -1, vcc
	v_cmp_eq_u32_e32 vcc, s59, v7
	v_cmp_ne_u32_e64 s[0:1], 0, v9
	v_cndmask_b32_e32 v6, v13, v6, vcc
	v_cmp_ne_u32_e32 vcc, 0, v6
	v_cndmask_b32_e64 v7, v16, v14, s[0:1]
	v_cndmask_b32_e64 v9, v17, v15, s[0:1]
	v_cndmask_b32_e32 v3, v3, v7, vcc
	v_xor_b32_e32 v7, s56, v12
	v_cndmask_b32_e32 v6, v8, v9, vcc
	v_xor_b32_e32 v3, v3, v7
	v_xor_b32_e32 v6, v6, v7
	v_sub_co_u32_e32 v8, vcc, v3, v7
	v_subb_co_u32_e32 v9, vcc, v6, v7, vcc
                                        ; implicit-def: $vgpr6_vgpr7
.LBB55_9:                               ;   in Loop: Header=BB55_3 Depth=1
	s_or_saveexec_b64 s[0:1], s[54:55]
	v_cvt_f32_u32_e32 v12, s46
	s_xor_b64 exec, exec, s[0:1]
	s_cbranch_execz .LBB55_11
; %bb.10:                               ;   in Loop: Header=BB55_3 Depth=1
	v_rcp_iflag_f32_e32 v3, v12
	s_sub_i32 s54, 0, s46
	v_mov_b32_e32 v9, v2
	v_mul_f32_e32 v3, 0x4f7ffffe, v3
	v_cvt_u32_f32_e32 v3, v3
	v_mul_lo_u32 v7, s54, v3
	v_mul_hi_u32 v7, v3, v7
	v_add_u32_e32 v3, v3, v7
	v_mul_hi_u32 v3, v6, v3
	v_mul_lo_u32 v7, v3, s46
	v_sub_u32_e32 v6, v6, v7
	v_add_u32_e32 v8, 1, v3
	v_subrev_u32_e32 v7, s46, v6
	v_cmp_le_u32_e32 vcc, s46, v6
	v_cndmask_b32_e32 v6, v6, v7, vcc
	v_cndmask_b32_e32 v3, v3, v8, vcc
	v_add_u32_e32 v7, 1, v3
	v_cmp_le_u32_e32 vcc, s46, v6
	v_cndmask_b32_e32 v8, v3, v7, vcc
.LBB55_11:                              ;   in Loop: Header=BB55_3 Depth=1
	s_or_b64 exec, exec, s[0:1]
	v_mad_u64_u32 v[6:7], s[0:1], s48, v4, 0
	v_add3_u32 v3, v7, v11, v10
	v_mul_lo_u32 v7, v9, s46
	v_mul_lo_u32 v13, v8, s47
	v_mad_u64_u32 v[10:11], s[0:1], v8, s46, 0
	v_add3_u32 v7, v11, v13, v7
	v_sub_co_u32_e32 v6, vcc, v6, v10
	v_subb_co_u32_e32 v3, vcc, v3, v7, vcc
	v_add_co_u32_e32 v6, vcc, v0, v6
	v_addc_co_u32_e32 v3, vcc, v1, v3, vcc
	v_mul_lo_u32 v3, v3, s6
	v_mul_lo_u32 v10, v6, s7
	v_mad_u64_u32 v[6:7], s[0:1], v6, s6, 0
	v_add3_u32 v7, v7, v10, v3
	v_mul_lo_u32 v3, v9, s4
	v_mul_lo_u32 v10, v8, s5
	v_mad_u64_u32 v[8:9], s[0:1], v8, s4, 0
	v_add3_u32 v9, v9, v10, v3
	v_lshlrev_b64 v[8:9], 2, v[8:9]
	v_mov_b32_e32 v3, s45
	v_add_co_u32_e32 v8, vcc, s44, v8
	v_addc_co_u32_e32 v3, vcc, v3, v9, vcc
	v_lshlrev_b64 v[6:7], 2, v[6:7]
	v_add_co_u32_e32 v6, vcc, v8, v6
	v_addc_co_u32_e32 v7, vcc, v3, v7, vcc
	global_load_dword v20, v[6:7], off
	v_lshlrev_b64 v[6:7], 2, v[4:5]
	v_or_b32_e32 v13, 1, v6
	v_mul_lo_u32 v14, s9, v13
	v_mul_lo_u32 v15, s8, v7
	v_mad_u64_u32 v[8:9], s[0:1], s8, v13, v[0:1]
	v_add3_u32 v9, v14, v9, v15
	v_or_b32_e32 v3, s47, v9
	v_cmp_ne_u64_e32 vcc, 0, v[2:3]
                                        ; implicit-def: $vgpr10_vgpr11
	s_and_saveexec_b64 s[0:1], vcc
	s_xor_b64 s[54:55], exec, s[0:1]
	s_cbranch_execz .LBB55_13
; %bb.12:                               ;   in Loop: Header=BB55_3 Depth=1
	s_ashr_i32 s56, s47, 31
	s_add_u32 s0, s46, s56
	s_mov_b32 s57, s56
	s_addc_u32 s1, s47, s56
	s_xor_b64 s[58:59], s[0:1], s[56:57]
	v_cvt_f32_u32_e32 v3, s58
	v_cvt_f32_u32_e32 v10, s59
	s_sub_u32 s0, 0, s58
	s_subb_u32 s1, 0, s59
	v_mac_f32_e32 v3, 0x4f800000, v10
	v_rcp_f32_e32 v3, v3
	v_mul_f32_e32 v3, 0x5f7ffffc, v3
	v_mul_f32_e32 v10, 0x2f800000, v3
	v_trunc_f32_e32 v10, v10
	v_mac_f32_e32 v3, 0xcf800000, v10
	v_cvt_u32_f32_e32 v10, v10
	v_cvt_u32_f32_e32 v3, v3
	v_mul_lo_u32 v11, s0, v10
	v_mul_hi_u32 v17, s0, v3
	v_mul_lo_u32 v16, s1, v3
	v_add_u32_e32 v11, v17, v11
	v_mul_lo_u32 v21, s0, v3
	v_add_u32_e32 v11, v11, v16
	v_mul_lo_u32 v17, v3, v11
	v_mul_hi_u32 v22, v3, v21
	v_mul_hi_u32 v16, v3, v11
	v_add_co_u32_e32 v17, vcc, v22, v17
	v_addc_co_u32_e32 v16, vcc, 0, v16, vcc
	v_mul_hi_u32 v23, v10, v21
	v_mul_lo_u32 v21, v10, v21
	v_add_co_u32_e32 v17, vcc, v17, v21
	v_mul_hi_u32 v22, v10, v11
	v_addc_co_u32_e32 v16, vcc, v16, v23, vcc
	v_addc_co_u32_e32 v17, vcc, 0, v22, vcc
	v_mul_lo_u32 v11, v10, v11
	v_add_co_u32_e32 v11, vcc, v16, v11
	v_addc_co_u32_e32 v16, vcc, 0, v17, vcc
	v_add_co_u32_e32 v3, vcc, v3, v11
	v_addc_co_u32_e32 v10, vcc, v10, v16, vcc
	v_mul_lo_u32 v11, s0, v10
	v_mul_hi_u32 v16, s0, v3
	v_add_u32_e32 v11, v16, v11
	v_mul_lo_u32 v16, s1, v3
	v_add_u32_e32 v11, v11, v16
	v_mul_lo_u32 v17, s0, v3
	v_mul_hi_u32 v21, v10, v17
	v_mul_lo_u32 v22, v10, v17
	v_mul_lo_u32 v24, v3, v11
	v_mul_hi_u32 v17, v3, v17
	v_mul_hi_u32 v23, v3, v11
	v_add_co_u32_e32 v17, vcc, v17, v24
	v_addc_co_u32_e32 v23, vcc, 0, v23, vcc
	v_add_co_u32_e32 v17, vcc, v17, v22
	v_mul_hi_u32 v16, v10, v11
	v_addc_co_u32_e32 v17, vcc, v23, v21, vcc
	v_addc_co_u32_e32 v16, vcc, 0, v16, vcc
	v_mul_lo_u32 v11, v10, v11
	v_add_co_u32_e32 v11, vcc, v17, v11
	v_addc_co_u32_e32 v16, vcc, 0, v16, vcc
	v_add_co_u32_e32 v3, vcc, v3, v11
	v_addc_co_u32_e32 v10, vcc, v10, v16, vcc
	v_ashrrev_i32_e32 v16, 31, v9
	v_add_co_u32_e32 v8, vcc, v8, v16
	v_addc_co_u32_e32 v9, vcc, v9, v16, vcc
	v_xor_b32_e32 v21, v8, v16
	v_xor_b32_e32 v17, v9, v16
	v_mad_u64_u32 v[8:9], s[0:1], v21, v10, 0
	v_mul_hi_u32 v11, v21, v3
	v_add_co_u32_e32 v22, vcc, v11, v8
	v_addc_co_u32_e32 v23, vcc, 0, v9, vcc
	v_mad_u64_u32 v[8:9], s[0:1], v17, v10, 0
	v_mad_u64_u32 v[10:11], s[0:1], v17, v3, 0
	v_add_co_u32_e32 v3, vcc, v22, v10
	v_addc_co_u32_e32 v3, vcc, v23, v11, vcc
	v_addc_co_u32_e32 v9, vcc, 0, v9, vcc
	v_add_co_u32_e32 v3, vcc, v3, v8
	v_addc_co_u32_e32 v10, vcc, 0, v9, vcc
	v_mul_lo_u32 v11, s59, v3
	v_mul_lo_u32 v22, s58, v10
	v_mad_u64_u32 v[8:9], s[0:1], s58, v3, 0
	v_add3_u32 v9, v9, v22, v11
	v_sub_u32_e32 v11, v17, v9
	v_mov_b32_e32 v22, s59
	v_sub_co_u32_e32 v8, vcc, v21, v8
	v_subb_co_u32_e64 v11, s[0:1], v11, v22, vcc
	v_subrev_co_u32_e64 v21, s[0:1], s58, v8
	v_subbrev_co_u32_e64 v11, s[0:1], 0, v11, s[0:1]
	v_cmp_le_u32_e64 s[0:1], s59, v11
	v_cndmask_b32_e64 v22, 0, -1, s[0:1]
	v_cmp_le_u32_e64 s[0:1], s58, v21
	v_cndmask_b32_e64 v21, 0, -1, s[0:1]
	v_cmp_eq_u32_e64 s[0:1], s59, v11
	v_cndmask_b32_e64 v11, v22, v21, s[0:1]
	v_add_co_u32_e64 v21, s[0:1], 2, v3
	v_subb_co_u32_e32 v9, vcc, v17, v9, vcc
	v_addc_co_u32_e64 v22, s[0:1], 0, v10, s[0:1]
	v_cmp_le_u32_e32 vcc, s59, v9
	v_add_co_u32_e64 v23, s[0:1], 1, v3
	v_cndmask_b32_e64 v17, 0, -1, vcc
	v_cmp_le_u32_e32 vcc, s58, v8
	v_addc_co_u32_e64 v24, s[0:1], 0, v10, s[0:1]
	v_cndmask_b32_e64 v8, 0, -1, vcc
	v_cmp_eq_u32_e32 vcc, s59, v9
	v_cmp_ne_u32_e64 s[0:1], 0, v11
	v_cndmask_b32_e32 v8, v17, v8, vcc
	v_cmp_ne_u32_e32 vcc, 0, v8
	v_cndmask_b32_e64 v9, v23, v21, s[0:1]
	v_cndmask_b32_e64 v11, v24, v22, s[0:1]
	v_cndmask_b32_e32 v3, v3, v9, vcc
	v_xor_b32_e32 v9, s56, v16
	v_cndmask_b32_e32 v8, v10, v11, vcc
	v_xor_b32_e32 v3, v3, v9
	v_xor_b32_e32 v8, v8, v9
	v_sub_co_u32_e32 v10, vcc, v3, v9
	v_subb_co_u32_e32 v11, vcc, v8, v9, vcc
                                        ; implicit-def: $vgpr8_vgpr9
.LBB55_13:                              ;   in Loop: Header=BB55_3 Depth=1
	s_andn2_saveexec_b64 s[0:1], s[54:55]
	s_cbranch_execz .LBB55_15
; %bb.14:                               ;   in Loop: Header=BB55_3 Depth=1
	v_rcp_iflag_f32_e32 v3, v12
	s_sub_i32 s54, 0, s46
	v_mov_b32_e32 v11, v2
	v_mul_f32_e32 v3, 0x4f7ffffe, v3
	v_cvt_u32_f32_e32 v3, v3
	v_mul_lo_u32 v9, s54, v3
	v_mul_hi_u32 v9, v3, v9
	v_add_u32_e32 v3, v3, v9
	v_mul_hi_u32 v3, v8, v3
	v_mul_lo_u32 v9, v3, s46
	v_sub_u32_e32 v8, v8, v9
	v_add_u32_e32 v10, 1, v3
	v_subrev_u32_e32 v9, s46, v8
	v_cmp_le_u32_e32 vcc, s46, v8
	v_cndmask_b32_e32 v8, v8, v9, vcc
	v_cndmask_b32_e32 v3, v3, v10, vcc
	v_add_u32_e32 v9, 1, v3
	v_cmp_le_u32_e32 vcc, s46, v8
	v_cndmask_b32_e32 v10, v3, v9, vcc
.LBB55_15:                              ;   in Loop: Header=BB55_3 Depth=1
	s_or_b64 exec, exec, s[0:1]
	v_mad_u64_u32 v[8:9], s[0:1], s8, v13, 0
	v_add3_u32 v3, v9, v15, v14
	v_mul_lo_u32 v9, v11, s46
	v_mul_lo_u32 v13, v10, s47
	v_mad_u64_u32 v[14:15], s[0:1], v10, s46, 0
	v_add3_u32 v9, v15, v13, v9
	v_sub_co_u32_e32 v8, vcc, v8, v14
	v_subb_co_u32_e32 v3, vcc, v3, v9, vcc
	v_add_co_u32_e32 v8, vcc, v0, v8
	v_addc_co_u32_e32 v3, vcc, v1, v3, vcc
	v_mul_lo_u32 v3, v3, s6
	v_mul_lo_u32 v13, v8, s7
	v_mad_u64_u32 v[8:9], s[0:1], v8, s6, 0
	v_add3_u32 v9, v9, v13, v3
	v_mul_lo_u32 v3, v11, s4
	v_mul_lo_u32 v13, v10, s5
	v_mad_u64_u32 v[10:11], s[0:1], v10, s4, 0
	v_add3_u32 v11, v11, v13, v3
	v_lshlrev_b64 v[10:11], 2, v[10:11]
	v_mov_b32_e32 v3, s45
	v_add_co_u32_e32 v10, vcc, s44, v10
	v_addc_co_u32_e32 v3, vcc, v3, v11, vcc
	v_lshlrev_b64 v[8:9], 2, v[8:9]
	v_add_co_u32_e32 v8, vcc, v10, v8
	v_addc_co_u32_e32 v9, vcc, v3, v9, vcc
	global_load_dword v21, v[8:9], off
	v_add_co_u32_e32 v13, vcc, 2, v6
	v_addc_co_u32_e32 v3, vcc, 0, v7, vcc
	v_mul_lo_u32 v14, s9, v13
	v_mul_lo_u32 v15, s8, v3
	v_mad_u64_u32 v[8:9], s[0:1], s8, v13, v[0:1]
	v_add3_u32 v9, v14, v9, v15
	v_or_b32_e32 v3, s47, v9
	v_cmp_ne_u64_e32 vcc, 0, v[2:3]
                                        ; implicit-def: $vgpr10_vgpr11
	s_and_saveexec_b64 s[0:1], vcc
	s_xor_b64 s[54:55], exec, s[0:1]
	s_cbranch_execz .LBB55_17
; %bb.16:                               ;   in Loop: Header=BB55_3 Depth=1
	s_ashr_i32 s56, s47, 31
	s_add_u32 s0, s46, s56
	s_mov_b32 s57, s56
	s_addc_u32 s1, s47, s56
	s_xor_b64 s[58:59], s[0:1], s[56:57]
	v_cvt_f32_u32_e32 v3, s58
	v_cvt_f32_u32_e32 v10, s59
	s_sub_u32 s0, 0, s58
	s_subb_u32 s1, 0, s59
	v_mac_f32_e32 v3, 0x4f800000, v10
	v_rcp_f32_e32 v3, v3
	v_mul_f32_e32 v3, 0x5f7ffffc, v3
	v_mul_f32_e32 v10, 0x2f800000, v3
	v_trunc_f32_e32 v10, v10
	v_mac_f32_e32 v3, 0xcf800000, v10
	v_cvt_u32_f32_e32 v10, v10
	v_cvt_u32_f32_e32 v3, v3
	v_mul_lo_u32 v11, s0, v10
	v_mul_hi_u32 v17, s0, v3
	v_mul_lo_u32 v16, s1, v3
	v_add_u32_e32 v11, v17, v11
	v_mul_lo_u32 v22, s0, v3
	v_add_u32_e32 v11, v11, v16
	v_mul_lo_u32 v17, v3, v11
	v_mul_hi_u32 v23, v3, v22
	v_mul_hi_u32 v16, v3, v11
	v_add_co_u32_e32 v17, vcc, v23, v17
	v_addc_co_u32_e32 v16, vcc, 0, v16, vcc
	v_mul_hi_u32 v24, v10, v22
	v_mul_lo_u32 v22, v10, v22
	v_add_co_u32_e32 v17, vcc, v17, v22
	v_mul_hi_u32 v23, v10, v11
	v_addc_co_u32_e32 v16, vcc, v16, v24, vcc
	v_addc_co_u32_e32 v17, vcc, 0, v23, vcc
	v_mul_lo_u32 v11, v10, v11
	v_add_co_u32_e32 v11, vcc, v16, v11
	v_addc_co_u32_e32 v16, vcc, 0, v17, vcc
	v_add_co_u32_e32 v3, vcc, v3, v11
	v_addc_co_u32_e32 v10, vcc, v10, v16, vcc
	v_mul_lo_u32 v11, s0, v10
	v_mul_hi_u32 v16, s0, v3
	v_add_u32_e32 v11, v16, v11
	v_mul_lo_u32 v16, s1, v3
	v_add_u32_e32 v11, v11, v16
	v_mul_lo_u32 v17, s0, v3
	v_mul_hi_u32 v22, v10, v17
	v_mul_lo_u32 v23, v10, v17
	v_mul_lo_u32 v25, v3, v11
	v_mul_hi_u32 v17, v3, v17
	v_mul_hi_u32 v24, v3, v11
	v_add_co_u32_e32 v17, vcc, v17, v25
	v_addc_co_u32_e32 v24, vcc, 0, v24, vcc
	v_add_co_u32_e32 v17, vcc, v17, v23
	v_mul_hi_u32 v16, v10, v11
	v_addc_co_u32_e32 v17, vcc, v24, v22, vcc
	v_addc_co_u32_e32 v16, vcc, 0, v16, vcc
	v_mul_lo_u32 v11, v10, v11
	v_add_co_u32_e32 v11, vcc, v17, v11
	v_addc_co_u32_e32 v16, vcc, 0, v16, vcc
	v_add_co_u32_e32 v3, vcc, v3, v11
	v_addc_co_u32_e32 v10, vcc, v10, v16, vcc
	v_ashrrev_i32_e32 v16, 31, v9
	v_add_co_u32_e32 v8, vcc, v8, v16
	v_addc_co_u32_e32 v9, vcc, v9, v16, vcc
	v_xor_b32_e32 v22, v8, v16
	v_xor_b32_e32 v17, v9, v16
	v_mad_u64_u32 v[8:9], s[0:1], v22, v10, 0
	v_mul_hi_u32 v11, v22, v3
	v_add_co_u32_e32 v23, vcc, v11, v8
	v_addc_co_u32_e32 v24, vcc, 0, v9, vcc
	v_mad_u64_u32 v[8:9], s[0:1], v17, v10, 0
	v_mad_u64_u32 v[10:11], s[0:1], v17, v3, 0
	v_add_co_u32_e32 v3, vcc, v23, v10
	v_addc_co_u32_e32 v3, vcc, v24, v11, vcc
	v_addc_co_u32_e32 v9, vcc, 0, v9, vcc
	v_add_co_u32_e32 v3, vcc, v3, v8
	v_addc_co_u32_e32 v10, vcc, 0, v9, vcc
	v_mul_lo_u32 v11, s59, v3
	v_mul_lo_u32 v23, s58, v10
	v_mad_u64_u32 v[8:9], s[0:1], s58, v3, 0
	v_add3_u32 v9, v9, v23, v11
	v_sub_u32_e32 v11, v17, v9
	v_mov_b32_e32 v23, s59
	v_sub_co_u32_e32 v8, vcc, v22, v8
	v_subb_co_u32_e64 v11, s[0:1], v11, v23, vcc
	v_subrev_co_u32_e64 v22, s[0:1], s58, v8
	v_subbrev_co_u32_e64 v11, s[0:1], 0, v11, s[0:1]
	v_cmp_le_u32_e64 s[0:1], s59, v11
	v_cndmask_b32_e64 v23, 0, -1, s[0:1]
	v_cmp_le_u32_e64 s[0:1], s58, v22
	v_cndmask_b32_e64 v22, 0, -1, s[0:1]
	v_cmp_eq_u32_e64 s[0:1], s59, v11
	v_cndmask_b32_e64 v11, v23, v22, s[0:1]
	v_add_co_u32_e64 v22, s[0:1], 2, v3
	v_subb_co_u32_e32 v9, vcc, v17, v9, vcc
	v_addc_co_u32_e64 v23, s[0:1], 0, v10, s[0:1]
	v_cmp_le_u32_e32 vcc, s59, v9
	v_add_co_u32_e64 v24, s[0:1], 1, v3
	v_cndmask_b32_e64 v17, 0, -1, vcc
	v_cmp_le_u32_e32 vcc, s58, v8
	v_addc_co_u32_e64 v25, s[0:1], 0, v10, s[0:1]
	v_cndmask_b32_e64 v8, 0, -1, vcc
	v_cmp_eq_u32_e32 vcc, s59, v9
	v_cmp_ne_u32_e64 s[0:1], 0, v11
	v_cndmask_b32_e32 v8, v17, v8, vcc
	v_cmp_ne_u32_e32 vcc, 0, v8
	v_cndmask_b32_e64 v9, v24, v22, s[0:1]
	v_cndmask_b32_e64 v11, v25, v23, s[0:1]
	v_cndmask_b32_e32 v3, v3, v9, vcc
	v_xor_b32_e32 v9, s56, v16
	v_cndmask_b32_e32 v8, v10, v11, vcc
	v_xor_b32_e32 v3, v3, v9
	v_xor_b32_e32 v8, v8, v9
	v_sub_co_u32_e32 v10, vcc, v3, v9
	v_subb_co_u32_e32 v11, vcc, v8, v9, vcc
                                        ; implicit-def: $vgpr8_vgpr9
.LBB55_17:                              ;   in Loop: Header=BB55_3 Depth=1
	s_andn2_saveexec_b64 s[0:1], s[54:55]
	s_cbranch_execz .LBB55_19
; %bb.18:                               ;   in Loop: Header=BB55_3 Depth=1
	v_rcp_iflag_f32_e32 v3, v12
	s_sub_i32 s54, 0, s46
	v_mov_b32_e32 v11, v2
	v_mul_f32_e32 v3, 0x4f7ffffe, v3
	v_cvt_u32_f32_e32 v3, v3
	v_mul_lo_u32 v9, s54, v3
	v_mul_hi_u32 v9, v3, v9
	v_add_u32_e32 v3, v3, v9
	v_mul_hi_u32 v3, v8, v3
	v_mul_lo_u32 v9, v3, s46
	v_sub_u32_e32 v8, v8, v9
	v_add_u32_e32 v10, 1, v3
	v_subrev_u32_e32 v9, s46, v8
	v_cmp_le_u32_e32 vcc, s46, v8
	v_cndmask_b32_e32 v8, v8, v9, vcc
	v_cndmask_b32_e32 v3, v3, v10, vcc
	v_add_u32_e32 v9, 1, v3
	v_cmp_le_u32_e32 vcc, s46, v8
	v_cndmask_b32_e32 v10, v3, v9, vcc
.LBB55_19:                              ;   in Loop: Header=BB55_3 Depth=1
	s_or_b64 exec, exec, s[0:1]
	v_mad_u64_u32 v[8:9], s[0:1], s8, v13, 0
	v_add3_u32 v3, v9, v15, v14
	v_mul_lo_u32 v9, v11, s46
	v_mul_lo_u32 v13, v10, s47
	v_mad_u64_u32 v[14:15], s[0:1], v10, s46, 0
	v_add3_u32 v9, v15, v13, v9
	v_sub_co_u32_e32 v8, vcc, v8, v14
	v_subb_co_u32_e32 v3, vcc, v3, v9, vcc
	v_add_co_u32_e32 v8, vcc, v0, v8
	v_addc_co_u32_e32 v3, vcc, v1, v3, vcc
	v_mul_lo_u32 v3, v3, s6
	v_mul_lo_u32 v13, v8, s7
	v_mad_u64_u32 v[8:9], s[0:1], v8, s6, 0
	v_add3_u32 v9, v9, v13, v3
	v_mul_lo_u32 v3, v11, s4
	v_mul_lo_u32 v13, v10, s5
	v_mad_u64_u32 v[10:11], s[0:1], v10, s4, 0
	v_add3_u32 v11, v11, v13, v3
	v_lshlrev_b64 v[10:11], 2, v[10:11]
	v_mov_b32_e32 v3, s45
	v_add_co_u32_e32 v10, vcc, s44, v10
	v_addc_co_u32_e32 v3, vcc, v3, v11, vcc
	v_lshlrev_b64 v[8:9], 2, v[8:9]
	v_add_co_u32_e32 v8, vcc, v10, v8
	v_addc_co_u32_e32 v9, vcc, v3, v9, vcc
	global_load_dword v16, v[8:9], off
	v_add_co_u32_e32 v13, vcc, 3, v6
	v_addc_co_u32_e32 v3, vcc, 0, v7, vcc
	v_mul_lo_u32 v14, s9, v13
	v_mul_lo_u32 v15, s8, v3
	v_mad_u64_u32 v[8:9], s[0:1], s8, v13, v[0:1]
	v_add3_u32 v9, v14, v9, v15
	v_or_b32_e32 v3, s47, v9
	v_cmp_ne_u64_e32 vcc, 0, v[2:3]
                                        ; implicit-def: $vgpr10_vgpr11
	s_and_saveexec_b64 s[0:1], vcc
	s_xor_b64 s[54:55], exec, s[0:1]
	s_cbranch_execz .LBB55_21
; %bb.20:                               ;   in Loop: Header=BB55_3 Depth=1
	s_ashr_i32 s56, s47, 31
	s_add_u32 s0, s46, s56
	s_mov_b32 s57, s56
	s_addc_u32 s1, s47, s56
	s_xor_b64 s[58:59], s[0:1], s[56:57]
	v_cvt_f32_u32_e32 v3, s58
	v_cvt_f32_u32_e32 v10, s59
	s_sub_u32 s0, 0, s58
	s_subb_u32 s1, 0, s59
	v_mac_f32_e32 v3, 0x4f800000, v10
	v_rcp_f32_e32 v3, v3
	v_mul_f32_e32 v3, 0x5f7ffffc, v3
	v_mul_f32_e32 v10, 0x2f800000, v3
	v_trunc_f32_e32 v10, v10
	v_mac_f32_e32 v3, 0xcf800000, v10
	v_cvt_u32_f32_e32 v10, v10
	v_cvt_u32_f32_e32 v3, v3
	v_mul_lo_u32 v11, s0, v10
	v_mul_hi_u32 v22, s0, v3
	v_mul_lo_u32 v17, s1, v3
	v_add_u32_e32 v11, v22, v11
	v_mul_lo_u32 v23, s0, v3
	v_add_u32_e32 v11, v11, v17
	v_mul_lo_u32 v22, v3, v11
	v_mul_hi_u32 v24, v3, v23
	v_mul_hi_u32 v17, v3, v11
	v_add_co_u32_e32 v22, vcc, v24, v22
	v_addc_co_u32_e32 v17, vcc, 0, v17, vcc
	v_mul_hi_u32 v25, v10, v23
	v_mul_lo_u32 v23, v10, v23
	v_add_co_u32_e32 v22, vcc, v22, v23
	v_mul_hi_u32 v24, v10, v11
	v_addc_co_u32_e32 v17, vcc, v17, v25, vcc
	v_addc_co_u32_e32 v22, vcc, 0, v24, vcc
	v_mul_lo_u32 v11, v10, v11
	v_add_co_u32_e32 v11, vcc, v17, v11
	v_addc_co_u32_e32 v17, vcc, 0, v22, vcc
	v_add_co_u32_e32 v3, vcc, v3, v11
	v_addc_co_u32_e32 v10, vcc, v10, v17, vcc
	v_mul_lo_u32 v11, s0, v10
	v_mul_hi_u32 v17, s0, v3
	v_add_u32_e32 v11, v17, v11
	v_mul_lo_u32 v17, s1, v3
	v_add_u32_e32 v11, v11, v17
	v_mul_lo_u32 v22, s0, v3
	v_mul_hi_u32 v23, v10, v22
	v_mul_lo_u32 v24, v10, v22
	v_mul_lo_u32 v26, v3, v11
	v_mul_hi_u32 v22, v3, v22
	v_mul_hi_u32 v25, v3, v11
	v_add_co_u32_e32 v22, vcc, v22, v26
	v_addc_co_u32_e32 v25, vcc, 0, v25, vcc
	v_add_co_u32_e32 v22, vcc, v22, v24
	v_mul_hi_u32 v17, v10, v11
	v_addc_co_u32_e32 v22, vcc, v25, v23, vcc
	v_addc_co_u32_e32 v17, vcc, 0, v17, vcc
	v_mul_lo_u32 v11, v10, v11
	v_add_co_u32_e32 v11, vcc, v22, v11
	v_addc_co_u32_e32 v17, vcc, 0, v17, vcc
	v_add_co_u32_e32 v3, vcc, v3, v11
	v_addc_co_u32_e32 v10, vcc, v10, v17, vcc
	v_ashrrev_i32_e32 v17, 31, v9
	v_add_co_u32_e32 v8, vcc, v8, v17
	v_addc_co_u32_e32 v9, vcc, v9, v17, vcc
	v_xor_b32_e32 v23, v8, v17
	v_xor_b32_e32 v22, v9, v17
	v_mad_u64_u32 v[8:9], s[0:1], v23, v10, 0
	v_mul_hi_u32 v11, v23, v3
	v_add_co_u32_e32 v24, vcc, v11, v8
	v_addc_co_u32_e32 v25, vcc, 0, v9, vcc
	v_mad_u64_u32 v[8:9], s[0:1], v22, v10, 0
	v_mad_u64_u32 v[10:11], s[0:1], v22, v3, 0
	v_add_co_u32_e32 v3, vcc, v24, v10
	v_addc_co_u32_e32 v3, vcc, v25, v11, vcc
	v_addc_co_u32_e32 v9, vcc, 0, v9, vcc
	v_add_co_u32_e32 v3, vcc, v3, v8
	v_addc_co_u32_e32 v10, vcc, 0, v9, vcc
	v_mul_lo_u32 v11, s59, v3
	v_mul_lo_u32 v24, s58, v10
	v_mad_u64_u32 v[8:9], s[0:1], s58, v3, 0
	v_add3_u32 v9, v9, v24, v11
	v_sub_u32_e32 v11, v22, v9
	v_mov_b32_e32 v24, s59
	v_sub_co_u32_e32 v8, vcc, v23, v8
	v_subb_co_u32_e64 v11, s[0:1], v11, v24, vcc
	v_subrev_co_u32_e64 v23, s[0:1], s58, v8
	v_subbrev_co_u32_e64 v11, s[0:1], 0, v11, s[0:1]
	v_cmp_le_u32_e64 s[0:1], s59, v11
	v_cndmask_b32_e64 v24, 0, -1, s[0:1]
	v_cmp_le_u32_e64 s[0:1], s58, v23
	v_cndmask_b32_e64 v23, 0, -1, s[0:1]
	v_cmp_eq_u32_e64 s[0:1], s59, v11
	v_cndmask_b32_e64 v11, v24, v23, s[0:1]
	v_add_co_u32_e64 v23, s[0:1], 2, v3
	v_subb_co_u32_e32 v9, vcc, v22, v9, vcc
	v_addc_co_u32_e64 v24, s[0:1], 0, v10, s[0:1]
	v_cmp_le_u32_e32 vcc, s59, v9
	v_add_co_u32_e64 v25, s[0:1], 1, v3
	v_cndmask_b32_e64 v22, 0, -1, vcc
	v_cmp_le_u32_e32 vcc, s58, v8
	v_addc_co_u32_e64 v26, s[0:1], 0, v10, s[0:1]
	v_cndmask_b32_e64 v8, 0, -1, vcc
	v_cmp_eq_u32_e32 vcc, s59, v9
	v_cmp_ne_u32_e64 s[0:1], 0, v11
	v_cndmask_b32_e32 v8, v22, v8, vcc
	v_cmp_ne_u32_e32 vcc, 0, v8
	v_cndmask_b32_e64 v9, v25, v23, s[0:1]
	v_cndmask_b32_e64 v11, v26, v24, s[0:1]
	v_cndmask_b32_e32 v3, v3, v9, vcc
	v_xor_b32_e32 v9, s56, v17
	v_cndmask_b32_e32 v8, v10, v11, vcc
	v_xor_b32_e32 v3, v3, v9
	v_xor_b32_e32 v8, v8, v9
	v_sub_co_u32_e32 v10, vcc, v3, v9
	v_subb_co_u32_e32 v11, vcc, v8, v9, vcc
                                        ; implicit-def: $vgpr8_vgpr9
.LBB55_21:                              ;   in Loop: Header=BB55_3 Depth=1
	s_andn2_saveexec_b64 s[0:1], s[54:55]
	s_cbranch_execz .LBB55_23
; %bb.22:                               ;   in Loop: Header=BB55_3 Depth=1
	v_rcp_iflag_f32_e32 v3, v12
	s_sub_i32 s54, 0, s46
	v_mov_b32_e32 v11, v2
	v_mul_f32_e32 v3, 0x4f7ffffe, v3
	v_cvt_u32_f32_e32 v3, v3
	v_mul_lo_u32 v9, s54, v3
	v_mul_hi_u32 v9, v3, v9
	v_add_u32_e32 v3, v3, v9
	v_mul_hi_u32 v3, v8, v3
	v_mul_lo_u32 v9, v3, s46
	v_sub_u32_e32 v8, v8, v9
	v_add_u32_e32 v10, 1, v3
	v_subrev_u32_e32 v9, s46, v8
	v_cmp_le_u32_e32 vcc, s46, v8
	v_cndmask_b32_e32 v8, v8, v9, vcc
	v_cndmask_b32_e32 v3, v3, v10, vcc
	v_add_u32_e32 v9, 1, v3
	v_cmp_le_u32_e32 vcc, s46, v8
	v_cndmask_b32_e32 v10, v3, v9, vcc
.LBB55_23:                              ;   in Loop: Header=BB55_3 Depth=1
	s_or_b64 exec, exec, s[0:1]
	v_mad_u64_u32 v[8:9], s[0:1], s8, v13, 0
	v_add3_u32 v3, v9, v15, v14
	v_mul_lo_u32 v9, v11, s46
	v_mul_lo_u32 v13, v10, s47
	v_mad_u64_u32 v[14:15], s[0:1], v10, s46, 0
	v_add3_u32 v9, v15, v13, v9
	v_sub_co_u32_e32 v8, vcc, v8, v14
	v_subb_co_u32_e32 v3, vcc, v3, v9, vcc
	v_add_co_u32_e32 v8, vcc, v0, v8
	v_addc_co_u32_e32 v3, vcc, v1, v3, vcc
	v_mul_lo_u32 v3, v3, s6
	v_mul_lo_u32 v13, v8, s7
	v_mad_u64_u32 v[8:9], s[0:1], v8, s6, 0
	v_add3_u32 v9, v9, v13, v3
	v_mul_lo_u32 v3, v11, s4
	v_mul_lo_u32 v13, v10, s5
	v_mad_u64_u32 v[10:11], s[0:1], v10, s4, 0
	v_add3_u32 v11, v11, v13, v3
	v_lshlrev_b64 v[10:11], 2, v[10:11]
	v_mov_b32_e32 v3, s45
	v_add_co_u32_e32 v10, vcc, s44, v10
	v_addc_co_u32_e32 v3, vcc, v3, v11, vcc
	v_lshlrev_b64 v[8:9], 2, v[8:9]
	v_add_co_u32_e32 v8, vcc, v10, v8
	v_addc_co_u32_e32 v9, vcc, v3, v9, vcc
	global_load_dword v17, v[8:9], off
	v_add_co_u32_e32 v10, vcc, 4, v6
	v_addc_co_u32_e32 v3, vcc, 0, v7, vcc
	v_mul_lo_u32 v11, s9, v10
	v_mul_lo_u32 v13, s8, v3
	v_mad_u64_u32 v[6:7], s[0:1], s8, v10, v[0:1]
	v_add3_u32 v7, v11, v7, v13
	v_or_b32_e32 v3, s47, v7
	v_cmp_ne_u64_e32 vcc, 0, v[2:3]
                                        ; implicit-def: $vgpr8_vgpr9
	s_and_saveexec_b64 s[0:1], vcc
	s_xor_b64 s[54:55], exec, s[0:1]
	s_cbranch_execz .LBB55_25
; %bb.24:                               ;   in Loop: Header=BB55_3 Depth=1
	s_ashr_i32 s56, s47, 31
	s_add_u32 s0, s46, s56
	s_mov_b32 s57, s56
	s_addc_u32 s1, s47, s56
	s_xor_b64 s[58:59], s[0:1], s[56:57]
	v_cvt_f32_u32_e32 v3, s58
	v_cvt_f32_u32_e32 v8, s59
	s_sub_u32 s0, 0, s58
	s_subb_u32 s1, 0, s59
	v_mac_f32_e32 v3, 0x4f800000, v8
	v_rcp_f32_e32 v3, v3
	v_mul_f32_e32 v3, 0x5f7ffffc, v3
	v_mul_f32_e32 v8, 0x2f800000, v3
	v_trunc_f32_e32 v8, v8
	v_mac_f32_e32 v3, 0xcf800000, v8
	v_cvt_u32_f32_e32 v8, v8
	v_cvt_u32_f32_e32 v3, v3
	v_mul_lo_u32 v9, s0, v8
	v_mul_hi_u32 v14, s0, v3
	v_mul_lo_u32 v12, s1, v3
	v_add_u32_e32 v9, v14, v9
	v_mul_lo_u32 v15, s0, v3
	v_add_u32_e32 v9, v9, v12
	v_mul_lo_u32 v14, v3, v9
	v_mul_hi_u32 v22, v3, v15
	v_mul_hi_u32 v12, v3, v9
	v_add_co_u32_e32 v14, vcc, v22, v14
	v_addc_co_u32_e32 v12, vcc, 0, v12, vcc
	v_mul_hi_u32 v23, v8, v15
	v_mul_lo_u32 v15, v8, v15
	v_add_co_u32_e32 v14, vcc, v14, v15
	v_mul_hi_u32 v22, v8, v9
	v_addc_co_u32_e32 v12, vcc, v12, v23, vcc
	v_addc_co_u32_e32 v14, vcc, 0, v22, vcc
	v_mul_lo_u32 v9, v8, v9
	v_add_co_u32_e32 v9, vcc, v12, v9
	v_addc_co_u32_e32 v12, vcc, 0, v14, vcc
	v_add_co_u32_e32 v3, vcc, v3, v9
	v_addc_co_u32_e32 v8, vcc, v8, v12, vcc
	v_mul_lo_u32 v9, s0, v8
	v_mul_hi_u32 v12, s0, v3
	v_add_u32_e32 v9, v12, v9
	v_mul_lo_u32 v12, s1, v3
	v_add_u32_e32 v9, v9, v12
	v_mul_lo_u32 v14, s0, v3
	v_mul_hi_u32 v15, v8, v14
	v_mul_lo_u32 v22, v8, v14
	v_mul_lo_u32 v24, v3, v9
	v_mul_hi_u32 v14, v3, v14
	v_mul_hi_u32 v23, v3, v9
	v_add_co_u32_e32 v14, vcc, v14, v24
	v_addc_co_u32_e32 v23, vcc, 0, v23, vcc
	v_add_co_u32_e32 v14, vcc, v14, v22
	v_mul_hi_u32 v12, v8, v9
	v_addc_co_u32_e32 v14, vcc, v23, v15, vcc
	v_addc_co_u32_e32 v12, vcc, 0, v12, vcc
	v_mul_lo_u32 v9, v8, v9
	v_add_co_u32_e32 v9, vcc, v14, v9
	v_addc_co_u32_e32 v12, vcc, 0, v12, vcc
	v_add_co_u32_e32 v3, vcc, v3, v9
	v_addc_co_u32_e32 v8, vcc, v8, v12, vcc
	v_ashrrev_i32_e32 v12, 31, v7
	v_add_co_u32_e32 v6, vcc, v6, v12
	v_addc_co_u32_e32 v7, vcc, v7, v12, vcc
	v_xor_b32_e32 v15, v6, v12
	v_xor_b32_e32 v14, v7, v12
	v_mad_u64_u32 v[6:7], s[0:1], v15, v8, 0
	v_mul_hi_u32 v9, v15, v3
	v_add_co_u32_e32 v22, vcc, v9, v6
	v_addc_co_u32_e32 v23, vcc, 0, v7, vcc
	v_mad_u64_u32 v[6:7], s[0:1], v14, v8, 0
	v_mad_u64_u32 v[8:9], s[0:1], v14, v3, 0
	v_add_co_u32_e32 v3, vcc, v22, v8
	v_addc_co_u32_e32 v3, vcc, v23, v9, vcc
	v_addc_co_u32_e32 v7, vcc, 0, v7, vcc
	v_add_co_u32_e32 v3, vcc, v3, v6
	v_addc_co_u32_e32 v8, vcc, 0, v7, vcc
	v_mul_lo_u32 v9, s59, v3
	v_mul_lo_u32 v22, s58, v8
	v_mad_u64_u32 v[6:7], s[0:1], s58, v3, 0
	v_add3_u32 v7, v7, v22, v9
	v_sub_u32_e32 v9, v14, v7
	v_mov_b32_e32 v22, s59
	v_sub_co_u32_e32 v6, vcc, v15, v6
	v_subb_co_u32_e64 v9, s[0:1], v9, v22, vcc
	v_subrev_co_u32_e64 v15, s[0:1], s58, v6
	v_subbrev_co_u32_e64 v9, s[0:1], 0, v9, s[0:1]
	v_cmp_le_u32_e64 s[0:1], s59, v9
	v_cndmask_b32_e64 v22, 0, -1, s[0:1]
	v_cmp_le_u32_e64 s[0:1], s58, v15
	v_cndmask_b32_e64 v15, 0, -1, s[0:1]
	v_cmp_eq_u32_e64 s[0:1], s59, v9
	v_cndmask_b32_e64 v9, v22, v15, s[0:1]
	v_add_co_u32_e64 v15, s[0:1], 2, v3
	v_subb_co_u32_e32 v7, vcc, v14, v7, vcc
	v_addc_co_u32_e64 v22, s[0:1], 0, v8, s[0:1]
	v_cmp_le_u32_e32 vcc, s59, v7
	v_add_co_u32_e64 v23, s[0:1], 1, v3
	v_cndmask_b32_e64 v14, 0, -1, vcc
	v_cmp_le_u32_e32 vcc, s58, v6
	v_addc_co_u32_e64 v24, s[0:1], 0, v8, s[0:1]
	v_cndmask_b32_e64 v6, 0, -1, vcc
	v_cmp_eq_u32_e32 vcc, s59, v7
	v_cmp_ne_u32_e64 s[0:1], 0, v9
	v_cndmask_b32_e32 v6, v14, v6, vcc
	v_cmp_ne_u32_e32 vcc, 0, v6
	v_cndmask_b32_e64 v7, v23, v15, s[0:1]
	v_cndmask_b32_e64 v9, v24, v22, s[0:1]
	v_cndmask_b32_e32 v3, v3, v7, vcc
	v_xor_b32_e32 v7, s56, v12
	v_cndmask_b32_e32 v6, v8, v9, vcc
	v_xor_b32_e32 v3, v3, v7
	v_xor_b32_e32 v6, v6, v7
	v_sub_co_u32_e32 v8, vcc, v3, v7
	v_subb_co_u32_e32 v9, vcc, v6, v7, vcc
                                        ; implicit-def: $vgpr12
                                        ; implicit-def: $vgpr6_vgpr7
.LBB55_25:                              ;   in Loop: Header=BB55_3 Depth=1
	s_andn2_saveexec_b64 s[0:1], s[54:55]
	s_cbranch_execz .LBB55_27
; %bb.26:                               ;   in Loop: Header=BB55_3 Depth=1
	v_rcp_iflag_f32_e32 v3, v12
	s_sub_i32 s54, 0, s46
	v_mov_b32_e32 v9, v2
	v_mul_f32_e32 v3, 0x4f7ffffe, v3
	v_cvt_u32_f32_e32 v3, v3
	v_mul_lo_u32 v7, s54, v3
	v_mul_hi_u32 v7, v3, v7
	v_add_u32_e32 v3, v3, v7
	v_mul_hi_u32 v3, v6, v3
	v_mul_lo_u32 v7, v3, s46
	v_sub_u32_e32 v6, v6, v7
	v_add_u32_e32 v8, 1, v3
	v_subrev_u32_e32 v7, s46, v6
	v_cmp_le_u32_e32 vcc, s46, v6
	v_cndmask_b32_e32 v6, v6, v7, vcc
	v_cndmask_b32_e32 v3, v3, v8, vcc
	v_add_u32_e32 v7, 1, v3
	v_cmp_le_u32_e32 vcc, s46, v6
	v_cndmask_b32_e32 v8, v3, v7, vcc
.LBB55_27:                              ;   in Loop: Header=BB55_3 Depth=1
	s_or_b64 exec, exec, s[0:1]
	v_mad_u64_u32 v[6:7], s[0:1], s8, v10, 0
	v_add3_u32 v3, v7, v13, v11
	v_mul_lo_u32 v7, v9, s46
	v_mul_lo_u32 v12, v8, s47
	v_mad_u64_u32 v[10:11], s[0:1], v8, s46, 0
	v_add3_u32 v7, v11, v12, v7
	v_sub_co_u32_e32 v6, vcc, v6, v10
	v_subb_co_u32_e32 v3, vcc, v3, v7, vcc
	v_add_co_u32_e32 v6, vcc, v0, v6
	v_addc_co_u32_e32 v3, vcc, v1, v3, vcc
	v_mul_lo_u32 v3, v3, s6
	v_mul_lo_u32 v10, v6, s7
	v_mad_u64_u32 v[6:7], s[0:1], v6, s6, 0
	v_add3_u32 v7, v7, v10, v3
	v_mul_lo_u32 v3, v9, s4
	v_mul_lo_u32 v10, v8, s5
	v_mad_u64_u32 v[8:9], s[0:1], v8, s4, 0
	v_add3_u32 v9, v9, v10, v3
	v_lshlrev_b64 v[8:9], 2, v[8:9]
	v_mov_b32_e32 v3, s45
	v_add_co_u32_e32 v8, vcc, s44, v8
	v_addc_co_u32_e32 v3, vcc, v3, v9, vcc
	v_lshlrev_b64 v[6:7], 2, v[6:7]
	v_add_co_u32_e32 v6, vcc, v8, v6
	v_addc_co_u32_e32 v7, vcc, v3, v7, vcc
	global_load_dword v12, v[6:7], off
	v_or_b32_e32 v3, s39, v1
	v_cmp_ne_u64_e32 vcc, 0, v[2:3]
                                        ; implicit-def: $vgpr6_vgpr7
	s_and_saveexec_b64 s[0:1], vcc
	s_xor_b64 s[54:55], exec, s[0:1]
	s_cbranch_execz .LBB55_29
; %bb.28:                               ;   in Loop: Header=BB55_3 Depth=1
	s_ashr_i32 s56, s39, 31
	s_add_u32 s0, s38, s56
	s_mov_b32 s57, s56
	s_addc_u32 s1, s39, s56
	s_xor_b64 s[58:59], s[0:1], s[56:57]
	v_cvt_f32_u32_e32 v3, s58
	v_cvt_f32_u32_e32 v6, s59
	s_sub_u32 s0, 0, s58
	s_subb_u32 s1, 0, s59
	v_mac_f32_e32 v3, 0x4f800000, v6
	v_rcp_f32_e32 v3, v3
	v_mul_f32_e32 v3, 0x5f7ffffc, v3
	v_mul_f32_e32 v6, 0x2f800000, v3
	v_trunc_f32_e32 v6, v6
	v_mac_f32_e32 v3, 0xcf800000, v6
	v_cvt_u32_f32_e32 v6, v6
	v_cvt_u32_f32_e32 v3, v3
	v_mul_lo_u32 v7, s0, v6
	v_mul_hi_u32 v9, s0, v3
	v_mul_lo_u32 v8, s1, v3
	v_add_u32_e32 v7, v9, v7
	v_mul_lo_u32 v10, s0, v3
	v_add_u32_e32 v7, v7, v8
	v_mul_lo_u32 v9, v3, v7
	v_mul_hi_u32 v11, v3, v10
	v_mul_hi_u32 v8, v3, v7
	v_add_co_u32_e32 v9, vcc, v11, v9
	v_addc_co_u32_e32 v8, vcc, 0, v8, vcc
	v_mul_hi_u32 v13, v6, v10
	v_mul_lo_u32 v10, v6, v10
	v_add_co_u32_e32 v9, vcc, v9, v10
	v_mul_hi_u32 v11, v6, v7
	v_addc_co_u32_e32 v8, vcc, v8, v13, vcc
	v_addc_co_u32_e32 v9, vcc, 0, v11, vcc
	v_mul_lo_u32 v7, v6, v7
	v_add_co_u32_e32 v7, vcc, v8, v7
	v_addc_co_u32_e32 v8, vcc, 0, v9, vcc
	v_add_co_u32_e32 v3, vcc, v3, v7
	v_addc_co_u32_e32 v6, vcc, v6, v8, vcc
	v_mul_lo_u32 v7, s0, v6
	v_mul_hi_u32 v8, s0, v3
	v_add_u32_e32 v7, v8, v7
	v_mul_lo_u32 v8, s1, v3
	v_add_u32_e32 v7, v7, v8
	v_mul_lo_u32 v9, s0, v3
	v_mul_hi_u32 v10, v6, v9
	v_mul_lo_u32 v11, v6, v9
	v_mul_lo_u32 v14, v3, v7
	v_mul_hi_u32 v9, v3, v9
	v_mul_hi_u32 v13, v3, v7
	v_add_co_u32_e32 v9, vcc, v9, v14
	v_addc_co_u32_e32 v13, vcc, 0, v13, vcc
	v_add_co_u32_e32 v9, vcc, v9, v11
	v_mul_hi_u32 v8, v6, v7
	v_addc_co_u32_e32 v9, vcc, v13, v10, vcc
	v_addc_co_u32_e32 v8, vcc, 0, v8, vcc
	v_mul_lo_u32 v7, v6, v7
	v_add_co_u32_e32 v7, vcc, v9, v7
	v_addc_co_u32_e32 v8, vcc, 0, v8, vcc
	v_add_co_u32_e32 v3, vcc, v3, v7
	v_addc_co_u32_e32 v8, vcc, v6, v8, vcc
	;; [unrolled: 2-line block ×3, first 2 shown]
	v_xor_b32_e32 v11, v6, v19
	v_xor_b32_e32 v10, v7, v19
	v_mad_u64_u32 v[6:7], s[0:1], v11, v8, 0
	v_mul_hi_u32 v9, v11, v3
	v_add_co_u32_e32 v13, vcc, v9, v6
	v_addc_co_u32_e32 v14, vcc, 0, v7, vcc
	v_mad_u64_u32 v[6:7], s[0:1], v10, v8, 0
	v_mad_u64_u32 v[8:9], s[0:1], v10, v3, 0
	v_add_co_u32_e32 v3, vcc, v13, v8
	v_addc_co_u32_e32 v3, vcc, v14, v9, vcc
	v_addc_co_u32_e32 v7, vcc, 0, v7, vcc
	v_add_co_u32_e32 v3, vcc, v3, v6
	v_addc_co_u32_e32 v8, vcc, 0, v7, vcc
	v_mul_lo_u32 v9, s59, v3
	v_mul_lo_u32 v13, s58, v8
	v_mad_u64_u32 v[6:7], s[0:1], s58, v3, 0
	v_add3_u32 v7, v7, v13, v9
	v_sub_u32_e32 v9, v10, v7
	v_mov_b32_e32 v13, s59
	v_sub_co_u32_e32 v6, vcc, v11, v6
	v_subb_co_u32_e64 v9, s[0:1], v9, v13, vcc
	v_subrev_co_u32_e64 v11, s[0:1], s58, v6
	v_subbrev_co_u32_e64 v9, s[0:1], 0, v9, s[0:1]
	v_cmp_le_u32_e64 s[0:1], s59, v9
	v_cndmask_b32_e64 v13, 0, -1, s[0:1]
	v_cmp_le_u32_e64 s[0:1], s58, v11
	v_cndmask_b32_e64 v11, 0, -1, s[0:1]
	v_cmp_eq_u32_e64 s[0:1], s59, v9
	v_cndmask_b32_e64 v9, v13, v11, s[0:1]
	v_add_co_u32_e64 v11, s[0:1], 2, v3
	v_subb_co_u32_e32 v7, vcc, v10, v7, vcc
	v_addc_co_u32_e64 v13, s[0:1], 0, v8, s[0:1]
	v_cmp_le_u32_e32 vcc, s59, v7
	v_add_co_u32_e64 v14, s[0:1], 1, v3
	v_cndmask_b32_e64 v10, 0, -1, vcc
	v_cmp_le_u32_e32 vcc, s58, v6
	v_addc_co_u32_e64 v15, s[0:1], 0, v8, s[0:1]
	v_cndmask_b32_e64 v6, 0, -1, vcc
	v_cmp_eq_u32_e32 vcc, s59, v7
	v_cmp_ne_u32_e64 s[0:1], 0, v9
	v_cndmask_b32_e32 v6, v10, v6, vcc
	v_cmp_ne_u32_e32 vcc, 0, v6
	v_cndmask_b32_e64 v7, v14, v11, s[0:1]
	v_cndmask_b32_e64 v9, v15, v13, s[0:1]
	v_cndmask_b32_e32 v3, v3, v7, vcc
	v_xor_b32_e32 v7, s56, v19
	v_cndmask_b32_e32 v6, v8, v9, vcc
	v_xor_b32_e32 v3, v3, v7
	v_xor_b32_e32 v8, v6, v7
	v_sub_co_u32_e32 v6, vcc, v3, v7
	v_subb_co_u32_e32 v7, vcc, v8, v7, vcc
.LBB55_29:                              ;   in Loop: Header=BB55_3 Depth=1
	s_andn2_saveexec_b64 s[0:1], s[54:55]
	s_cbranch_execz .LBB55_31
; %bb.30:                               ;   in Loop: Header=BB55_3 Depth=1
	v_cvt_f32_u32_e32 v3, s38
	s_sub_i32 s54, 0, s38
	v_rcp_iflag_f32_e32 v3, v3
	v_mul_f32_e32 v3, 0x4f7ffffe, v3
	v_cvt_u32_f32_e32 v3, v3
	v_mul_lo_u32 v6, s54, v3
	v_mul_hi_u32 v6, v3, v6
	v_add_u32_e32 v3, v3, v6
	v_mul_hi_u32 v3, v0, v3
	v_mul_lo_u32 v6, v3, s38
	v_sub_u32_e32 v6, v0, v6
	v_add_u32_e32 v7, 1, v3
	v_subrev_u32_e32 v8, s38, v6
	v_cmp_le_u32_e32 vcc, s38, v6
	v_cndmask_b32_e32 v6, v6, v8, vcc
	v_cndmask_b32_e32 v3, v3, v7, vcc
	v_add_u32_e32 v7, 1, v3
	v_cmp_le_u32_e32 vcc, s38, v6
	v_cndmask_b32_e32 v6, v3, v7, vcc
	v_mov_b32_e32 v7, v2
.LBB55_31:                              ;   in Loop: Header=BB55_3 Depth=1
	s_or_b64 exec, exec, s[0:1]
	v_mad_u64_u32 v[8:9], s[0:1], s61, v6, v[0:1]
	v_mul_lo_u32 v3, s61, v7
	v_mul_lo_u32 v10, s62, v6
	v_add3_u32 v3, v10, v9, v3
	v_mul_lo_u32 v10, v8, s23
	v_mul_lo_u32 v3, v3, s22
	v_mad_u64_u32 v[8:9], s[0:1], v8, s22, 0
	v_add3_u32 v9, v9, v10, v3
	v_mul_lo_u32 v3, v7, s20
	v_mul_lo_u32 v10, v6, s21
	v_mad_u64_u32 v[6:7], s[0:1], v6, s20, 0
	v_add3_u32 v7, v7, v10, v3
	v_lshlrev_b64 v[6:7], 2, v[6:7]
	v_mov_b32_e32 v3, s37
	v_add_co_u32_e32 v10, vcc, s36, v6
	v_addc_co_u32_e32 v3, vcc, v3, v7, vcc
	v_lshlrev_b64 v[6:7], 2, v[8:9]
	v_add_co_u32_e32 v6, vcc, v10, v6
	v_addc_co_u32_e32 v7, vcc, v3, v7, vcc
	global_load_dword v22, v[6:7], off
	v_mul_lo_u32 v13, s51, v4
	v_mul_lo_u32 v14, s50, v5
	v_mad_u64_u32 v[6:7], s[0:1], s50, v4, v[0:1]
	v_add3_u32 v7, v13, v7, v14
	v_or_b32_e32 v3, s29, v7
	v_cmp_ne_u64_e32 vcc, 0, v[2:3]
	v_ashrrev_i32_e32 v23, 31, v7
                                        ; implicit-def: $vgpr8_vgpr9
	s_and_saveexec_b64 s[0:1], vcc
	s_xor_b64 s[54:55], exec, s[0:1]
	s_cbranch_execz .LBB55_33
; %bb.32:                               ;   in Loop: Header=BB55_3 Depth=1
	s_ashr_i32 s56, s29, 31
	s_add_u32 s0, s28, s56
	s_mov_b32 s57, s56
	s_addc_u32 s1, s29, s56
	s_xor_b64 s[58:59], s[0:1], s[56:57]
	v_cvt_f32_u32_e32 v3, s58
	v_cvt_f32_u32_e32 v8, s59
	s_sub_u32 s0, 0, s58
	s_subb_u32 s1, 0, s59
	v_mac_f32_e32 v3, 0x4f800000, v8
	v_rcp_f32_e32 v3, v3
	v_mul_f32_e32 v3, 0x5f7ffffc, v3
	v_mul_f32_e32 v8, 0x2f800000, v3
	v_trunc_f32_e32 v8, v8
	v_mac_f32_e32 v3, 0xcf800000, v8
	v_cvt_u32_f32_e32 v8, v8
	v_cvt_u32_f32_e32 v3, v3
	v_mul_lo_u32 v9, s0, v8
	v_mul_hi_u32 v11, s0, v3
	v_mul_lo_u32 v10, s1, v3
	v_add_u32_e32 v9, v11, v9
	v_mul_lo_u32 v15, s0, v3
	v_add_u32_e32 v9, v9, v10
	v_mul_lo_u32 v11, v3, v9
	v_mul_hi_u32 v24, v3, v15
	v_mul_hi_u32 v10, v3, v9
	v_add_co_u32_e32 v11, vcc, v24, v11
	v_addc_co_u32_e32 v10, vcc, 0, v10, vcc
	v_mul_hi_u32 v25, v8, v15
	v_mul_lo_u32 v15, v8, v15
	v_add_co_u32_e32 v11, vcc, v11, v15
	v_mul_hi_u32 v24, v8, v9
	v_addc_co_u32_e32 v10, vcc, v10, v25, vcc
	v_addc_co_u32_e32 v11, vcc, 0, v24, vcc
	v_mul_lo_u32 v9, v8, v9
	v_add_co_u32_e32 v9, vcc, v10, v9
	v_addc_co_u32_e32 v10, vcc, 0, v11, vcc
	v_add_co_u32_e32 v3, vcc, v3, v9
	v_addc_co_u32_e32 v8, vcc, v8, v10, vcc
	v_mul_lo_u32 v9, s0, v8
	v_mul_hi_u32 v10, s0, v3
	v_add_u32_e32 v9, v10, v9
	v_mul_lo_u32 v10, s1, v3
	v_add_u32_e32 v9, v9, v10
	v_mul_lo_u32 v11, s0, v3
	v_mul_hi_u32 v15, v8, v11
	v_mul_lo_u32 v24, v8, v11
	v_mul_lo_u32 v26, v3, v9
	v_mul_hi_u32 v11, v3, v11
	v_mul_hi_u32 v25, v3, v9
	v_add_co_u32_e32 v11, vcc, v11, v26
	v_addc_co_u32_e32 v25, vcc, 0, v25, vcc
	v_add_co_u32_e32 v11, vcc, v11, v24
	v_mul_hi_u32 v10, v8, v9
	v_addc_co_u32_e32 v11, vcc, v25, v15, vcc
	v_addc_co_u32_e32 v10, vcc, 0, v10, vcc
	v_mul_lo_u32 v9, v8, v9
	v_add_co_u32_e32 v9, vcc, v11, v9
	v_addc_co_u32_e32 v10, vcc, 0, v10, vcc
	v_add_co_u32_e32 v3, vcc, v3, v9
	v_addc_co_u32_e32 v10, vcc, v8, v10, vcc
	;; [unrolled: 2-line block ×3, first 2 shown]
	v_xor_b32_e32 v24, v8, v23
	v_xor_b32_e32 v15, v9, v23
	v_mad_u64_u32 v[8:9], s[0:1], v24, v10, 0
	v_mul_hi_u32 v11, v24, v3
	v_add_co_u32_e32 v25, vcc, v11, v8
	v_addc_co_u32_e32 v26, vcc, 0, v9, vcc
	v_mad_u64_u32 v[8:9], s[0:1], v15, v10, 0
	v_mad_u64_u32 v[10:11], s[0:1], v15, v3, 0
	v_add_co_u32_e32 v3, vcc, v25, v10
	v_addc_co_u32_e32 v3, vcc, v26, v11, vcc
	v_addc_co_u32_e32 v9, vcc, 0, v9, vcc
	v_add_co_u32_e32 v3, vcc, v3, v8
	v_addc_co_u32_e32 v10, vcc, 0, v9, vcc
	v_mul_lo_u32 v11, s59, v3
	v_mul_lo_u32 v25, s58, v10
	v_mad_u64_u32 v[8:9], s[0:1], s58, v3, 0
	v_add3_u32 v9, v9, v25, v11
	v_sub_u32_e32 v11, v15, v9
	v_mov_b32_e32 v25, s59
	v_sub_co_u32_e32 v8, vcc, v24, v8
	v_subb_co_u32_e64 v11, s[0:1], v11, v25, vcc
	v_subrev_co_u32_e64 v24, s[0:1], s58, v8
	v_subbrev_co_u32_e64 v11, s[0:1], 0, v11, s[0:1]
	v_cmp_le_u32_e64 s[0:1], s59, v11
	v_cndmask_b32_e64 v25, 0, -1, s[0:1]
	v_cmp_le_u32_e64 s[0:1], s58, v24
	v_cndmask_b32_e64 v24, 0, -1, s[0:1]
	v_cmp_eq_u32_e64 s[0:1], s59, v11
	v_cndmask_b32_e64 v11, v25, v24, s[0:1]
	v_add_co_u32_e64 v24, s[0:1], 2, v3
	v_subb_co_u32_e32 v9, vcc, v15, v9, vcc
	v_addc_co_u32_e64 v25, s[0:1], 0, v10, s[0:1]
	v_cmp_le_u32_e32 vcc, s59, v9
	v_add_co_u32_e64 v26, s[0:1], 1, v3
	v_cndmask_b32_e64 v15, 0, -1, vcc
	v_cmp_le_u32_e32 vcc, s58, v8
	v_addc_co_u32_e64 v27, s[0:1], 0, v10, s[0:1]
	v_cndmask_b32_e64 v8, 0, -1, vcc
	v_cmp_eq_u32_e32 vcc, s59, v9
	v_cmp_ne_u32_e64 s[0:1], 0, v11
	v_cndmask_b32_e32 v8, v15, v8, vcc
	v_cmp_ne_u32_e32 vcc, 0, v8
	v_cndmask_b32_e64 v9, v26, v24, s[0:1]
	v_cndmask_b32_e64 v11, v27, v25, s[0:1]
	v_cndmask_b32_e32 v3, v3, v9, vcc
	v_xor_b32_e32 v9, s56, v23
	v_cndmask_b32_e32 v8, v10, v11, vcc
	v_xor_b32_e32 v3, v3, v9
	v_xor_b32_e32 v10, v8, v9
	v_sub_co_u32_e32 v8, vcc, v3, v9
	v_subb_co_u32_e32 v9, vcc, v10, v9, vcc
.LBB55_33:                              ;   in Loop: Header=BB55_3 Depth=1
	s_or_saveexec_b64 s[0:1], s[54:55]
	v_cvt_f32_u32_e32 v29, s28
	s_xor_b64 exec, exec, s[0:1]
	s_cbranch_execz .LBB55_35
; %bb.34:                               ;   in Loop: Header=BB55_3 Depth=1
	v_rcp_iflag_f32_e32 v3, v29
	s_sub_i32 s54, 0, s28
	v_mul_f32_e32 v3, 0x4f7ffffe, v3
	v_cvt_u32_f32_e32 v3, v3
	v_mul_lo_u32 v8, s54, v3
	v_mul_hi_u32 v8, v3, v8
	v_add_u32_e32 v3, v3, v8
	v_mul_hi_u32 v3, v6, v3
	v_mul_lo_u32 v8, v3, s28
	v_sub_u32_e32 v8, v6, v8
	v_add_u32_e32 v9, 1, v3
	v_subrev_u32_e32 v10, s28, v8
	v_cmp_le_u32_e32 vcc, s28, v8
	v_cndmask_b32_e32 v8, v8, v10, vcc
	v_cndmask_b32_e32 v3, v3, v9, vcc
	v_add_u32_e32 v9, 1, v3
	v_cmp_le_u32_e32 vcc, s28, v8
	v_cndmask_b32_e32 v8, v3, v9, vcc
	v_mov_b32_e32 v9, v2
.LBB55_35:                              ;   in Loop: Header=BB55_3 Depth=1
	s_or_b64 exec, exec, s[0:1]
	v_mad_u64_u32 v[10:11], s[0:1], s50, v4, 0
	s_waitcnt vmcnt(4)
	v_sub_f32_e32 v26, 1.0, v21
	v_add3_u32 v27, v11, v14, v13
	s_waitcnt vmcnt(0)
	v_mul_f32_e32 v3, v26, v22
	v_fma_f32 v11, -v16, v16, 1.0
	v_mul_f32_e32 v11, v11, v3
	v_mul_f32_e32 v3, v12, v11
	v_sub_f32_e32 v12, 1.0, v20
	v_mul_f32_e32 v3, v12, v3
	v_mul_f32_e32 v25, v20, v3
	v_mul_lo_u32 v3, v9, s28
	v_mul_lo_u32 v14, v8, s29
	v_mad_u64_u32 v[12:13], s[0:1], v8, s28, 0
	v_add3_u32 v3, v13, v14, v3
	v_sub_co_u32_e32 v12, vcc, v10, v12
	v_subb_co_u32_e32 v3, vcc, v27, v3, vcc
	v_add_co_u32_e32 v12, vcc, v0, v12
	v_addc_co_u32_e32 v3, vcc, v1, v3, vcc
	v_mul_lo_u32 v3, v3, s14
	v_mul_lo_u32 v14, v12, s15
	v_mad_u64_u32 v[12:13], s[0:1], v12, s14, 0
	v_add3_u32 v13, v13, v14, v3
	v_mul_lo_u32 v3, v9, s12
	v_mul_lo_u32 v14, v8, s13
	v_mad_u64_u32 v[8:9], s[0:1], v8, s12, 0
	v_add3_u32 v9, v9, v14, v3
	v_lshlrev_b64 v[8:9], 2, v[8:9]
	v_mov_b32_e32 v3, s3
	v_add_co_u32_e32 v14, vcc, s2, v8
	v_addc_co_u32_e32 v3, vcc, v3, v9, vcc
	v_lshlrev_b64 v[8:9], 2, v[12:13]
	v_add_co_u32_e32 v8, vcc, v14, v8
	v_addc_co_u32_e32 v9, vcc, v3, v9, vcc
	global_store_dword v[8:9], v25, off
	v_lshlrev_b64 v[8:9], 1, v[4:5]
	v_or_b32_e32 v12, 1, v8
	v_mul_lo_u32 v28, s9, v12
	v_mul_lo_u32 v30, s8, v9
	v_mad_u64_u32 v[4:5], s[0:1], s8, v12, v[0:1]
	v_add3_u32 v5, v28, v5, v30
	v_or_b32_e32 v3, s29, v5
	v_cmp_ne_u64_e32 vcc, 0, v[2:3]
	v_ashrrev_i32_e32 v24, 31, v5
                                        ; implicit-def: $vgpr14_vgpr15
	s_and_saveexec_b64 s[0:1], vcc
	s_xor_b64 s[54:55], exec, s[0:1]
	s_cbranch_execz .LBB55_37
; %bb.36:                               ;   in Loop: Header=BB55_3 Depth=1
	s_ashr_i32 s56, s29, 31
	s_add_u32 s0, s28, s56
	s_mov_b32 s57, s56
	s_addc_u32 s1, s29, s56
	s_xor_b64 s[58:59], s[0:1], s[56:57]
	v_cvt_f32_u32_e32 v3, s58
	v_cvt_f32_u32_e32 v13, s59
	s_sub_u32 s0, 0, s58
	s_subb_u32 s1, 0, s59
	v_mac_f32_e32 v3, 0x4f800000, v13
	v_rcp_f32_e32 v3, v3
	v_mul_f32_e32 v3, 0x5f7ffffc, v3
	v_mul_f32_e32 v13, 0x2f800000, v3
	v_trunc_f32_e32 v13, v13
	v_mac_f32_e32 v3, 0xcf800000, v13
	v_cvt_u32_f32_e32 v13, v13
	v_cvt_u32_f32_e32 v3, v3
	v_mul_lo_u32 v14, s0, v13
	v_mul_hi_u32 v31, s0, v3
	v_mul_lo_u32 v15, s1, v3
	v_add_u32_e32 v14, v31, v14
	v_mul_lo_u32 v32, s0, v3
	v_add_u32_e32 v14, v14, v15
	v_mul_lo_u32 v31, v3, v14
	v_mul_hi_u32 v33, v3, v32
	v_mul_hi_u32 v15, v3, v14
	v_add_co_u32_e32 v31, vcc, v33, v31
	v_addc_co_u32_e32 v15, vcc, 0, v15, vcc
	v_mul_hi_u32 v34, v13, v32
	v_mul_lo_u32 v32, v13, v32
	v_add_co_u32_e32 v31, vcc, v31, v32
	v_mul_hi_u32 v33, v13, v14
	v_addc_co_u32_e32 v15, vcc, v15, v34, vcc
	v_addc_co_u32_e32 v31, vcc, 0, v33, vcc
	v_mul_lo_u32 v14, v13, v14
	v_add_co_u32_e32 v14, vcc, v15, v14
	v_addc_co_u32_e32 v15, vcc, 0, v31, vcc
	v_add_co_u32_e32 v3, vcc, v3, v14
	v_addc_co_u32_e32 v13, vcc, v13, v15, vcc
	v_mul_lo_u32 v14, s0, v13
	v_mul_hi_u32 v15, s0, v3
	v_add_u32_e32 v14, v15, v14
	v_mul_lo_u32 v15, s1, v3
	v_add_u32_e32 v14, v14, v15
	v_mul_lo_u32 v31, s0, v3
	v_mul_hi_u32 v32, v13, v31
	v_mul_lo_u32 v33, v13, v31
	v_mul_lo_u32 v35, v3, v14
	v_mul_hi_u32 v31, v3, v31
	v_mul_hi_u32 v34, v3, v14
	v_add_co_u32_e32 v31, vcc, v31, v35
	v_addc_co_u32_e32 v34, vcc, 0, v34, vcc
	v_add_co_u32_e32 v31, vcc, v31, v33
	v_mul_hi_u32 v15, v13, v14
	v_addc_co_u32_e32 v31, vcc, v34, v32, vcc
	v_addc_co_u32_e32 v15, vcc, 0, v15, vcc
	v_mul_lo_u32 v14, v13, v14
	v_add_co_u32_e32 v14, vcc, v31, v14
	v_addc_co_u32_e32 v15, vcc, 0, v15, vcc
	v_add_co_u32_e32 v3, vcc, v3, v14
	v_addc_co_u32_e32 v13, vcc, v13, v15, vcc
	;; [unrolled: 2-line block ×3, first 2 shown]
	v_xor_b32_e32 v34, v14, v24
	v_xor_b32_e32 v31, v15, v24
	v_mad_u64_u32 v[14:15], s[0:1], v34, v13, 0
	v_mul_hi_u32 v32, v34, v3
	v_add_co_u32_e32 v35, vcc, v32, v14
	v_addc_co_u32_e32 v36, vcc, 0, v15, vcc
	v_mad_u64_u32 v[32:33], s[0:1], v31, v3, 0
	v_add_co_u32_e32 v3, vcc, v35, v32
	v_mad_u64_u32 v[14:15], s[0:1], v31, v13, 0
	v_addc_co_u32_e32 v3, vcc, v36, v33, vcc
	v_addc_co_u32_e32 v13, vcc, 0, v15, vcc
	v_add_co_u32_e32 v3, vcc, v3, v14
	v_addc_co_u32_e32 v13, vcc, 0, v13, vcc
	v_mul_lo_u32 v32, s59, v3
	v_mul_lo_u32 v33, s58, v13
	v_mad_u64_u32 v[14:15], s[0:1], s58, v3, 0
	v_add3_u32 v15, v15, v33, v32
	v_sub_u32_e32 v32, v31, v15
	v_mov_b32_e32 v33, s59
	v_sub_co_u32_e32 v14, vcc, v34, v14
	v_subb_co_u32_e64 v32, s[0:1], v32, v33, vcc
	v_subrev_co_u32_e64 v33, s[0:1], s58, v14
	v_subbrev_co_u32_e64 v32, s[0:1], 0, v32, s[0:1]
	v_cmp_le_u32_e64 s[0:1], s59, v32
	v_cndmask_b32_e64 v34, 0, -1, s[0:1]
	v_cmp_le_u32_e64 s[0:1], s58, v33
	v_cndmask_b32_e64 v33, 0, -1, s[0:1]
	v_cmp_eq_u32_e64 s[0:1], s59, v32
	v_cndmask_b32_e64 v32, v34, v33, s[0:1]
	v_add_co_u32_e64 v33, s[0:1], 2, v3
	v_subb_co_u32_e32 v15, vcc, v31, v15, vcc
	v_addc_co_u32_e64 v34, s[0:1], 0, v13, s[0:1]
	v_cmp_le_u32_e32 vcc, s59, v15
	v_add_co_u32_e64 v35, s[0:1], 1, v3
	v_cndmask_b32_e64 v31, 0, -1, vcc
	v_cmp_le_u32_e32 vcc, s58, v14
	v_addc_co_u32_e64 v36, s[0:1], 0, v13, s[0:1]
	v_cndmask_b32_e64 v14, 0, -1, vcc
	v_cmp_eq_u32_e32 vcc, s59, v15
	v_cmp_ne_u32_e64 s[0:1], 0, v32
	v_cndmask_b32_e32 v14, v31, v14, vcc
	v_cmp_ne_u32_e32 vcc, 0, v14
	v_cndmask_b32_e64 v14, v35, v33, s[0:1]
	v_cndmask_b32_e64 v32, v36, v34, s[0:1]
	v_cndmask_b32_e32 v3, v3, v14, vcc
	v_xor_b32_e32 v15, s56, v24
	v_cndmask_b32_e32 v13, v13, v32, vcc
	v_xor_b32_e32 v3, v3, v15
	v_xor_b32_e32 v13, v13, v15
	v_sub_co_u32_e32 v14, vcc, v3, v15
	v_subb_co_u32_e32 v15, vcc, v13, v15, vcc
.LBB55_37:                              ;   in Loop: Header=BB55_3 Depth=1
	s_andn2_saveexec_b64 s[0:1], s[54:55]
	s_cbranch_execz .LBB55_39
; %bb.38:                               ;   in Loop: Header=BB55_3 Depth=1
	v_rcp_iflag_f32_e32 v3, v29
	s_sub_i32 s54, 0, s28
	v_mul_f32_e32 v3, 0x4f7ffffe, v3
	v_cvt_u32_f32_e32 v3, v3
	v_mul_lo_u32 v13, s54, v3
	v_mul_hi_u32 v13, v3, v13
	v_add_u32_e32 v3, v3, v13
	v_mul_hi_u32 v3, v4, v3
	v_mul_lo_u32 v13, v3, s28
	v_sub_u32_e32 v13, v4, v13
	v_add_u32_e32 v14, 1, v3
	v_subrev_u32_e32 v15, s28, v13
	v_cmp_le_u32_e32 vcc, s28, v13
	v_cndmask_b32_e32 v13, v13, v15, vcc
	v_cndmask_b32_e32 v3, v3, v14, vcc
	v_add_u32_e32 v14, 1, v3
	v_cmp_le_u32_e32 vcc, s28, v13
	v_cndmask_b32_e32 v14, v3, v14, vcc
	v_mov_b32_e32 v15, v2
.LBB55_39:                              ;   in Loop: Header=BB55_3 Depth=1
	s_or_b64 exec, exec, s[0:1]
	v_sub_f32_e32 v3, v17, v16
	v_mul_f32_e32 v3, v3, v22
	v_mad_u64_u32 v[12:13], s[0:1], s8, v12, 0
	v_mul_f32_e32 v3, v26, v3
	v_add3_u32 v28, v13, v30, v28
	v_mul_f32_e32 v26, v21, v3
	v_mul_lo_u32 v3, v15, s28
	v_mul_lo_u32 v13, v14, s29
	v_mad_u64_u32 v[16:17], s[0:1], v14, s28, 0
	v_add3_u32 v3, v17, v13, v3
	v_sub_co_u32_e32 v13, vcc, v12, v16
	v_subb_co_u32_e32 v3, vcc, v28, v3, vcc
	v_add_co_u32_e32 v13, vcc, v0, v13
	v_addc_co_u32_e32 v3, vcc, v1, v3, vcc
	v_mul_lo_u32 v3, v3, s14
	v_mul_lo_u32 v30, v13, s15
	v_mad_u64_u32 v[16:17], s[0:1], v13, s14, 0
	v_add3_u32 v17, v17, v30, v3
	v_mul_lo_u32 v3, v15, s12
	v_mul_lo_u32 v13, v14, s13
	v_mad_u64_u32 v[14:15], s[0:1], v14, s12, 0
	v_add3_u32 v15, v15, v13, v3
	v_lshlrev_b64 v[14:15], 2, v[14:15]
	v_mov_b32_e32 v3, s3
	v_add_co_u32_e32 v13, vcc, s2, v14
	v_addc_co_u32_e32 v3, vcc, v3, v15, vcc
	v_lshlrev_b64 v[14:15], 2, v[16:17]
	v_add_co_u32_e32 v14, vcc, v13, v14
	v_addc_co_u32_e32 v15, vcc, v3, v15, vcc
	global_store_dword v[14:15], v26, off
	v_add_co_u32_e32 v14, vcc, 2, v8
	v_addc_co_u32_e32 v3, vcc, 0, v9, vcc
	v_mul_lo_u32 v30, s9, v14
	v_mul_lo_u32 v31, s8, v3
	v_mad_u64_u32 v[8:9], s[0:1], s8, v14, v[0:1]
	v_add3_u32 v9, v30, v9, v31
	v_or_b32_e32 v3, s29, v9
	v_cmp_ne_u64_e32 vcc, 0, v[2:3]
	v_ashrrev_i32_e32 v13, 31, v9
                                        ; implicit-def: $vgpr16_vgpr17
	s_and_saveexec_b64 s[0:1], vcc
	s_xor_b64 s[54:55], exec, s[0:1]
	s_cbranch_execz .LBB55_41
; %bb.40:                               ;   in Loop: Header=BB55_3 Depth=1
	s_ashr_i32 s56, s29, 31
	s_add_u32 s0, s28, s56
	s_mov_b32 s57, s56
	s_addc_u32 s1, s29, s56
	s_xor_b64 s[58:59], s[0:1], s[56:57]
	v_cvt_f32_u32_e32 v3, s58
	v_cvt_f32_u32_e32 v15, s59
	s_sub_u32 s0, 0, s58
	s_subb_u32 s1, 0, s59
	v_mac_f32_e32 v3, 0x4f800000, v15
	v_rcp_f32_e32 v3, v3
	v_mul_f32_e32 v3, 0x5f7ffffc, v3
	v_mul_f32_e32 v15, 0x2f800000, v3
	v_trunc_f32_e32 v15, v15
	v_mac_f32_e32 v3, 0xcf800000, v15
	v_cvt_u32_f32_e32 v15, v15
	v_cvt_u32_f32_e32 v3, v3
	v_mul_lo_u32 v16, s0, v15
	v_mul_hi_u32 v29, s0, v3
	v_mul_lo_u32 v17, s1, v3
	v_add_u32_e32 v16, v29, v16
	v_mul_lo_u32 v32, s0, v3
	v_add_u32_e32 v16, v16, v17
	v_mul_lo_u32 v29, v3, v16
	v_mul_hi_u32 v33, v3, v32
	v_mul_hi_u32 v17, v3, v16
	v_add_co_u32_e32 v29, vcc, v33, v29
	v_addc_co_u32_e32 v17, vcc, 0, v17, vcc
	v_mul_hi_u32 v34, v15, v32
	v_mul_lo_u32 v32, v15, v32
	v_add_co_u32_e32 v29, vcc, v29, v32
	v_mul_hi_u32 v33, v15, v16
	v_addc_co_u32_e32 v17, vcc, v17, v34, vcc
	v_addc_co_u32_e32 v29, vcc, 0, v33, vcc
	v_mul_lo_u32 v16, v15, v16
	v_add_co_u32_e32 v16, vcc, v17, v16
	v_addc_co_u32_e32 v17, vcc, 0, v29, vcc
	v_add_co_u32_e32 v3, vcc, v3, v16
	v_addc_co_u32_e32 v15, vcc, v15, v17, vcc
	v_mul_lo_u32 v16, s0, v15
	v_mul_hi_u32 v17, s0, v3
	v_add_u32_e32 v16, v17, v16
	v_mul_lo_u32 v17, s1, v3
	v_add_u32_e32 v16, v16, v17
	v_mul_lo_u32 v29, s0, v3
	v_mul_hi_u32 v32, v15, v29
	v_mul_lo_u32 v33, v15, v29
	v_mul_lo_u32 v35, v3, v16
	v_mul_hi_u32 v29, v3, v29
	v_mul_hi_u32 v34, v3, v16
	v_add_co_u32_e32 v29, vcc, v29, v35
	v_addc_co_u32_e32 v34, vcc, 0, v34, vcc
	v_add_co_u32_e32 v29, vcc, v29, v33
	v_mul_hi_u32 v17, v15, v16
	v_addc_co_u32_e32 v29, vcc, v34, v32, vcc
	v_addc_co_u32_e32 v17, vcc, 0, v17, vcc
	v_mul_lo_u32 v16, v15, v16
	v_add_co_u32_e32 v16, vcc, v29, v16
	v_addc_co_u32_e32 v17, vcc, 0, v17, vcc
	v_add_co_u32_e32 v3, vcc, v3, v16
	v_addc_co_u32_e32 v15, vcc, v15, v17, vcc
	;; [unrolled: 2-line block ×3, first 2 shown]
	v_xor_b32_e32 v34, v16, v13
	v_xor_b32_e32 v29, v17, v13
	v_mad_u64_u32 v[16:17], s[0:1], v34, v15, 0
	v_mul_hi_u32 v32, v34, v3
	v_add_co_u32_e32 v35, vcc, v32, v16
	v_addc_co_u32_e32 v36, vcc, 0, v17, vcc
	v_mad_u64_u32 v[32:33], s[0:1], v29, v3, 0
	v_add_co_u32_e32 v3, vcc, v35, v32
	v_mad_u64_u32 v[16:17], s[0:1], v29, v15, 0
	v_addc_co_u32_e32 v3, vcc, v36, v33, vcc
	v_addc_co_u32_e32 v15, vcc, 0, v17, vcc
	v_add_co_u32_e32 v3, vcc, v3, v16
	v_addc_co_u32_e32 v15, vcc, 0, v15, vcc
	v_mul_lo_u32 v32, s59, v3
	v_mul_lo_u32 v33, s58, v15
	v_mad_u64_u32 v[16:17], s[0:1], s58, v3, 0
	v_add3_u32 v17, v17, v33, v32
	v_sub_u32_e32 v32, v29, v17
	v_mov_b32_e32 v33, s59
	v_sub_co_u32_e32 v16, vcc, v34, v16
	v_subb_co_u32_e64 v32, s[0:1], v32, v33, vcc
	v_subrev_co_u32_e64 v33, s[0:1], s58, v16
	v_subbrev_co_u32_e64 v32, s[0:1], 0, v32, s[0:1]
	v_cmp_le_u32_e64 s[0:1], s59, v32
	v_cndmask_b32_e64 v34, 0, -1, s[0:1]
	v_cmp_le_u32_e64 s[0:1], s58, v33
	v_cndmask_b32_e64 v33, 0, -1, s[0:1]
	v_cmp_eq_u32_e64 s[0:1], s59, v32
	v_cndmask_b32_e64 v32, v34, v33, s[0:1]
	v_add_co_u32_e64 v33, s[0:1], 2, v3
	v_subb_co_u32_e32 v17, vcc, v29, v17, vcc
	v_addc_co_u32_e64 v34, s[0:1], 0, v15, s[0:1]
	v_cmp_le_u32_e32 vcc, s59, v17
	v_add_co_u32_e64 v35, s[0:1], 1, v3
	v_cndmask_b32_e64 v29, 0, -1, vcc
	v_cmp_le_u32_e32 vcc, s58, v16
	v_addc_co_u32_e64 v36, s[0:1], 0, v15, s[0:1]
	v_cndmask_b32_e64 v16, 0, -1, vcc
	v_cmp_eq_u32_e32 vcc, s59, v17
	v_cmp_ne_u32_e64 s[0:1], 0, v32
	v_cndmask_b32_e32 v16, v29, v16, vcc
	v_cmp_ne_u32_e32 vcc, 0, v16
	v_cndmask_b32_e64 v16, v35, v33, s[0:1]
	v_cndmask_b32_e64 v32, v36, v34, s[0:1]
	v_cndmask_b32_e32 v3, v3, v16, vcc
	v_xor_b32_e32 v17, s56, v13
	v_cndmask_b32_e32 v15, v15, v32, vcc
	v_xor_b32_e32 v3, v3, v17
	v_xor_b32_e32 v15, v15, v17
	v_sub_co_u32_e32 v16, vcc, v3, v17
	v_subb_co_u32_e32 v17, vcc, v15, v17, vcc
                                        ; implicit-def: $vgpr29
.LBB55_41:                              ;   in Loop: Header=BB55_3 Depth=1
	s_andn2_saveexec_b64 s[0:1], s[54:55]
	s_cbranch_execz .LBB55_43
; %bb.42:                               ;   in Loop: Header=BB55_3 Depth=1
	v_rcp_iflag_f32_e32 v3, v29
	s_sub_i32 s54, 0, s28
	v_mul_f32_e32 v3, 0x4f7ffffe, v3
	v_cvt_u32_f32_e32 v3, v3
	v_mul_lo_u32 v15, s54, v3
	v_mul_hi_u32 v15, v3, v15
	v_add_u32_e32 v3, v3, v15
	v_mul_hi_u32 v3, v8, v3
	v_mul_lo_u32 v15, v3, s28
	v_sub_u32_e32 v15, v8, v15
	v_add_u32_e32 v16, 1, v3
	v_subrev_u32_e32 v17, s28, v15
	v_cmp_le_u32_e32 vcc, s28, v15
	v_cndmask_b32_e32 v15, v15, v17, vcc
	v_cndmask_b32_e32 v3, v3, v16, vcc
	v_add_u32_e32 v16, 1, v3
	v_cmp_le_u32_e32 vcc, s28, v15
	v_cndmask_b32_e32 v16, v3, v16, vcc
	v_mov_b32_e32 v17, v2
.LBB55_43:                              ;   in Loop: Header=BB55_3 Depth=1
	s_or_b64 exec, exec, s[0:1]
	v_mad_u64_u32 v[14:15], s[0:1], s8, v14, 0
	v_add3_u32 v15, v15, v31, v30
	v_mul_lo_u32 v3, v17, s28
	v_mul_lo_u32 v29, v16, s29
	v_mad_u64_u32 v[30:31], s[0:1], v16, s28, 0
	v_add3_u32 v3, v31, v29, v3
	v_sub_co_u32_e32 v29, vcc, v14, v30
	v_subb_co_u32_e32 v3, vcc, v15, v3, vcc
	v_add_co_u32_e32 v29, vcc, v0, v29
	v_addc_co_u32_e32 v3, vcc, v1, v3, vcc
	v_mul_lo_u32 v3, v3, s14
	v_mul_lo_u32 v32, v29, s15
	v_mad_u64_u32 v[30:31], s[0:1], v29, s14, 0
	v_add3_u32 v31, v31, v32, v3
	v_mul_lo_u32 v3, v17, s12
	v_mul_lo_u32 v29, v16, s13
	v_mad_u64_u32 v[16:17], s[0:1], v16, s12, 0
	v_add3_u32 v17, v17, v29, v3
	v_lshlrev_b64 v[16:17], 2, v[16:17]
	v_mov_b32_e32 v3, s3
	v_add_co_u32_e32 v29, vcc, s2, v16
	v_addc_co_u32_e32 v3, vcc, v3, v17, vcc
	v_lshlrev_b64 v[16:17], 2, v[30:31]
	v_add_co_u32_e32 v16, vcc, v29, v16
	v_addc_co_u32_e32 v17, vcc, v3, v17, vcc
	v_or_b32_e32 v3, s35, v7
	v_cmp_ne_u64_e32 vcc, 0, v[2:3]
	global_store_dword v[16:17], v11, off
                                        ; implicit-def: $vgpr16_vgpr17
	s_and_saveexec_b64 s[0:1], vcc
	s_xor_b64 s[54:55], exec, s[0:1]
	s_cbranch_execz .LBB55_45
; %bb.44:                               ;   in Loop: Header=BB55_3 Depth=1
	s_ashr_i32 s56, s35, 31
	s_add_u32 s0, s34, s56
	s_mov_b32 s57, s56
	s_addc_u32 s1, s35, s56
	s_xor_b64 s[58:59], s[0:1], s[56:57]
	v_cvt_f32_u32_e32 v3, s58
	v_cvt_f32_u32_e32 v16, s59
	s_sub_u32 s0, 0, s58
	s_subb_u32 s1, 0, s59
	v_mac_f32_e32 v3, 0x4f800000, v16
	v_rcp_f32_e32 v3, v3
	v_mul_f32_e32 v3, 0x5f7ffffc, v3
	v_mul_f32_e32 v16, 0x2f800000, v3
	v_trunc_f32_e32 v16, v16
	v_mac_f32_e32 v3, 0xcf800000, v16
	v_cvt_u32_f32_e32 v16, v16
	v_cvt_u32_f32_e32 v3, v3
	v_mul_lo_u32 v17, s0, v16
	v_mul_hi_u32 v30, s0, v3
	v_mul_lo_u32 v29, s1, v3
	v_add_u32_e32 v17, v30, v17
	v_mul_lo_u32 v31, s0, v3
	v_add_u32_e32 v17, v17, v29
	v_mul_lo_u32 v30, v3, v17
	v_mul_hi_u32 v32, v3, v31
	v_mul_hi_u32 v29, v3, v17
	v_add_co_u32_e32 v30, vcc, v32, v30
	v_addc_co_u32_e32 v29, vcc, 0, v29, vcc
	v_mul_hi_u32 v33, v16, v31
	v_mul_lo_u32 v31, v16, v31
	v_add_co_u32_e32 v30, vcc, v30, v31
	v_mul_hi_u32 v32, v16, v17
	v_addc_co_u32_e32 v29, vcc, v29, v33, vcc
	v_addc_co_u32_e32 v30, vcc, 0, v32, vcc
	v_mul_lo_u32 v17, v16, v17
	v_add_co_u32_e32 v17, vcc, v29, v17
	v_addc_co_u32_e32 v29, vcc, 0, v30, vcc
	v_add_co_u32_e32 v3, vcc, v3, v17
	v_addc_co_u32_e32 v16, vcc, v16, v29, vcc
	v_mul_lo_u32 v17, s0, v16
	v_mul_hi_u32 v29, s0, v3
	v_add_u32_e32 v17, v29, v17
	v_mul_lo_u32 v29, s1, v3
	v_add_u32_e32 v17, v17, v29
	v_mul_lo_u32 v30, s0, v3
	v_mul_hi_u32 v31, v16, v30
	v_mul_lo_u32 v32, v16, v30
	v_mul_lo_u32 v34, v3, v17
	v_mul_hi_u32 v30, v3, v30
	v_mul_hi_u32 v33, v3, v17
	v_add_co_u32_e32 v30, vcc, v30, v34
	v_addc_co_u32_e32 v33, vcc, 0, v33, vcc
	v_add_co_u32_e32 v30, vcc, v30, v32
	v_mul_hi_u32 v29, v16, v17
	v_addc_co_u32_e32 v30, vcc, v33, v31, vcc
	v_addc_co_u32_e32 v29, vcc, 0, v29, vcc
	v_mul_lo_u32 v17, v16, v17
	v_add_co_u32_e32 v17, vcc, v30, v17
	v_addc_co_u32_e32 v29, vcc, 0, v29, vcc
	v_add_co_u32_e32 v3, vcc, v3, v17
	v_addc_co_u32_e32 v16, vcc, v16, v29, vcc
	;; [unrolled: 2-line block ×3, first 2 shown]
	v_xor_b32_e32 v30, v6, v23
	v_xor_b32_e32 v29, v7, v23
	v_mad_u64_u32 v[6:7], s[0:1], v30, v16, 0
	v_mul_hi_u32 v17, v30, v3
	v_add_co_u32_e32 v31, vcc, v17, v6
	v_addc_co_u32_e32 v32, vcc, 0, v7, vcc
	v_mad_u64_u32 v[6:7], s[0:1], v29, v16, 0
	v_mad_u64_u32 v[16:17], s[0:1], v29, v3, 0
	v_add_co_u32_e32 v3, vcc, v31, v16
	v_addc_co_u32_e32 v3, vcc, v32, v17, vcc
	v_addc_co_u32_e32 v7, vcc, 0, v7, vcc
	v_add_co_u32_e32 v3, vcc, v3, v6
	v_addc_co_u32_e32 v16, vcc, 0, v7, vcc
	v_mul_lo_u32 v17, s59, v3
	v_mul_lo_u32 v31, s58, v16
	v_mad_u64_u32 v[6:7], s[0:1], s58, v3, 0
	v_add3_u32 v7, v7, v31, v17
	v_sub_u32_e32 v17, v29, v7
	v_mov_b32_e32 v31, s59
	v_sub_co_u32_e32 v6, vcc, v30, v6
	v_subb_co_u32_e64 v17, s[0:1], v17, v31, vcc
	v_subrev_co_u32_e64 v30, s[0:1], s58, v6
	v_subbrev_co_u32_e64 v17, s[0:1], 0, v17, s[0:1]
	v_cmp_le_u32_e64 s[0:1], s59, v17
	v_cndmask_b32_e64 v31, 0, -1, s[0:1]
	v_cmp_le_u32_e64 s[0:1], s58, v30
	v_cndmask_b32_e64 v30, 0, -1, s[0:1]
	v_cmp_eq_u32_e64 s[0:1], s59, v17
	v_cndmask_b32_e64 v17, v31, v30, s[0:1]
	v_add_co_u32_e64 v30, s[0:1], 2, v3
	v_subb_co_u32_e32 v7, vcc, v29, v7, vcc
	v_addc_co_u32_e64 v31, s[0:1], 0, v16, s[0:1]
	v_cmp_le_u32_e32 vcc, s59, v7
	v_add_co_u32_e64 v32, s[0:1], 1, v3
	v_cndmask_b32_e64 v29, 0, -1, vcc
	v_cmp_le_u32_e32 vcc, s58, v6
	v_addc_co_u32_e64 v33, s[0:1], 0, v16, s[0:1]
	v_cndmask_b32_e64 v6, 0, -1, vcc
	v_cmp_eq_u32_e32 vcc, s59, v7
	v_cmp_ne_u32_e64 s[0:1], 0, v17
	v_cndmask_b32_e32 v6, v29, v6, vcc
	v_cmp_ne_u32_e32 vcc, 0, v6
	v_cndmask_b32_e64 v7, v32, v30, s[0:1]
	v_cndmask_b32_e64 v17, v33, v31, s[0:1]
	v_cndmask_b32_e32 v3, v3, v7, vcc
	v_xor_b32_e32 v7, s56, v23
	v_cndmask_b32_e32 v6, v16, v17, vcc
	v_xor_b32_e32 v3, v3, v7
	v_xor_b32_e32 v6, v6, v7
	v_sub_co_u32_e32 v16, vcc, v3, v7
	v_subb_co_u32_e32 v17, vcc, v6, v7, vcc
                                        ; implicit-def: $vgpr6_vgpr7
.LBB55_45:                              ;   in Loop: Header=BB55_3 Depth=1
	s_or_saveexec_b64 s[0:1], s[54:55]
	v_cvt_f32_u32_e32 v23, s34
	s_xor_b64 exec, exec, s[0:1]
	s_cbranch_execz .LBB55_47
; %bb.46:                               ;   in Loop: Header=BB55_3 Depth=1
	v_rcp_iflag_f32_e32 v3, v23
	s_sub_i32 s54, 0, s34
	v_mov_b32_e32 v17, v2
	v_mul_f32_e32 v3, 0x4f7ffffe, v3
	v_cvt_u32_f32_e32 v3, v3
	v_mul_lo_u32 v7, s54, v3
	v_mul_hi_u32 v7, v3, v7
	v_add_u32_e32 v3, v3, v7
	v_mul_hi_u32 v3, v6, v3
	v_mul_lo_u32 v7, v3, s34
	v_sub_u32_e32 v6, v6, v7
	v_add_u32_e32 v16, 1, v3
	v_subrev_u32_e32 v7, s34, v6
	v_cmp_le_u32_e32 vcc, s34, v6
	v_cndmask_b32_e32 v6, v6, v7, vcc
	v_cndmask_b32_e32 v3, v3, v16, vcc
	v_add_u32_e32 v7, 1, v3
	v_cmp_le_u32_e32 vcc, s34, v6
	v_cndmask_b32_e32 v16, v3, v7, vcc
.LBB55_47:                              ;   in Loop: Header=BB55_3 Depth=1
	s_or_b64 exec, exec, s[0:1]
	v_mul_lo_u32 v3, v17, s34
	v_mul_lo_u32 v29, v16, s35
	v_mad_u64_u32 v[6:7], s[0:1], v16, s34, 0
	v_add3_u32 v3, v7, v29, v3
	v_sub_co_u32_e32 v6, vcc, v10, v6
	v_subb_co_u32_e32 v3, vcc, v27, v3, vcc
	v_add_co_u32_e32 v6, vcc, v0, v6
	v_addc_co_u32_e32 v3, vcc, v1, v3, vcc
	v_mul_lo_u32 v3, v3, s18
	v_mul_lo_u32 v10, v6, s19
	v_mad_u64_u32 v[6:7], s[0:1], v6, s18, 0
	v_add3_u32 v7, v7, v10, v3
	v_mul_lo_u32 v3, v17, s16
	v_mul_lo_u32 v10, v16, s17
	v_mad_u64_u32 v[16:17], s[0:1], v16, s16, 0
	v_add3_u32 v17, v17, v10, v3
	v_lshlrev_b64 v[16:17], 2, v[16:17]
	v_mov_b32_e32 v3, s31
	v_add_co_u32_e32 v10, vcc, s30, v16
	v_addc_co_u32_e32 v3, vcc, v3, v17, vcc
	v_lshlrev_b64 v[6:7], 2, v[6:7]
	v_add_co_u32_e32 v6, vcc, v10, v6
	v_addc_co_u32_e32 v7, vcc, v3, v7, vcc
	v_or_b32_e32 v3, s35, v5
	v_cmp_ne_u64_e32 vcc, 0, v[2:3]
	global_store_dword v[6:7], v25, off
                                        ; implicit-def: $vgpr6_vgpr7
	s_and_saveexec_b64 s[0:1], vcc
	s_xor_b64 s[54:55], exec, s[0:1]
	s_cbranch_execz .LBB55_49
; %bb.48:                               ;   in Loop: Header=BB55_3 Depth=1
	s_ashr_i32 s56, s35, 31
	s_add_u32 s0, s34, s56
	s_mov_b32 s57, s56
	s_addc_u32 s1, s35, s56
	s_xor_b64 s[58:59], s[0:1], s[56:57]
	v_cvt_f32_u32_e32 v3, s58
	v_cvt_f32_u32_e32 v6, s59
	s_sub_u32 s0, 0, s58
	s_subb_u32 s1, 0, s59
	v_mac_f32_e32 v3, 0x4f800000, v6
	v_rcp_f32_e32 v3, v3
	v_mul_f32_e32 v3, 0x5f7ffffc, v3
	v_mul_f32_e32 v6, 0x2f800000, v3
	v_trunc_f32_e32 v6, v6
	v_mac_f32_e32 v3, 0xcf800000, v6
	v_cvt_u32_f32_e32 v6, v6
	v_cvt_u32_f32_e32 v3, v3
	v_mul_lo_u32 v7, s0, v6
	v_mul_hi_u32 v16, s0, v3
	v_mul_lo_u32 v10, s1, v3
	v_add_u32_e32 v7, v16, v7
	v_mul_lo_u32 v17, s0, v3
	v_add_u32_e32 v7, v7, v10
	v_mul_lo_u32 v16, v3, v7
	v_mul_hi_u32 v25, v3, v17
	v_mul_hi_u32 v10, v3, v7
	v_add_co_u32_e32 v16, vcc, v25, v16
	v_addc_co_u32_e32 v10, vcc, 0, v10, vcc
	v_mul_hi_u32 v27, v6, v17
	v_mul_lo_u32 v17, v6, v17
	v_add_co_u32_e32 v16, vcc, v16, v17
	v_mul_hi_u32 v25, v6, v7
	v_addc_co_u32_e32 v10, vcc, v10, v27, vcc
	v_addc_co_u32_e32 v16, vcc, 0, v25, vcc
	v_mul_lo_u32 v7, v6, v7
	v_add_co_u32_e32 v7, vcc, v10, v7
	v_addc_co_u32_e32 v10, vcc, 0, v16, vcc
	v_add_co_u32_e32 v3, vcc, v3, v7
	v_addc_co_u32_e32 v6, vcc, v6, v10, vcc
	v_mul_lo_u32 v7, s0, v6
	v_mul_hi_u32 v10, s0, v3
	v_add_u32_e32 v7, v10, v7
	v_mul_lo_u32 v10, s1, v3
	v_add_u32_e32 v7, v7, v10
	v_mul_lo_u32 v16, s0, v3
	v_mul_hi_u32 v17, v6, v16
	v_mul_lo_u32 v25, v6, v16
	v_mul_lo_u32 v29, v3, v7
	v_mul_hi_u32 v16, v3, v16
	v_mul_hi_u32 v27, v3, v7
	v_add_co_u32_e32 v16, vcc, v16, v29
	v_addc_co_u32_e32 v27, vcc, 0, v27, vcc
	v_add_co_u32_e32 v16, vcc, v16, v25
	v_mul_hi_u32 v10, v6, v7
	v_addc_co_u32_e32 v16, vcc, v27, v17, vcc
	v_addc_co_u32_e32 v10, vcc, 0, v10, vcc
	v_mul_lo_u32 v7, v6, v7
	v_add_co_u32_e32 v7, vcc, v16, v7
	v_addc_co_u32_e32 v10, vcc, 0, v10, vcc
	v_add_co_u32_e32 v3, vcc, v3, v7
	v_addc_co_u32_e32 v6, vcc, v6, v10, vcc
	;; [unrolled: 2-line block ×3, first 2 shown]
	v_xor_b32_e32 v16, v4, v24
	v_xor_b32_e32 v10, v5, v24
	v_mad_u64_u32 v[4:5], s[0:1], v16, v6, 0
	v_mul_hi_u32 v7, v16, v3
	v_add_co_u32_e32 v17, vcc, v7, v4
	v_addc_co_u32_e32 v25, vcc, 0, v5, vcc
	v_mad_u64_u32 v[4:5], s[0:1], v10, v6, 0
	v_mad_u64_u32 v[6:7], s[0:1], v10, v3, 0
	v_add_co_u32_e32 v3, vcc, v17, v6
	v_addc_co_u32_e32 v3, vcc, v25, v7, vcc
	v_addc_co_u32_e32 v5, vcc, 0, v5, vcc
	v_add_co_u32_e32 v3, vcc, v3, v4
	v_addc_co_u32_e32 v6, vcc, 0, v5, vcc
	v_mul_lo_u32 v7, s59, v3
	v_mul_lo_u32 v17, s58, v6
	v_mad_u64_u32 v[4:5], s[0:1], s58, v3, 0
	v_add3_u32 v5, v5, v17, v7
	v_sub_u32_e32 v7, v10, v5
	v_mov_b32_e32 v17, s59
	v_sub_co_u32_e32 v4, vcc, v16, v4
	v_subb_co_u32_e64 v7, s[0:1], v7, v17, vcc
	v_subrev_co_u32_e64 v16, s[0:1], s58, v4
	v_subbrev_co_u32_e64 v7, s[0:1], 0, v7, s[0:1]
	v_cmp_le_u32_e64 s[0:1], s59, v7
	v_cndmask_b32_e64 v17, 0, -1, s[0:1]
	v_cmp_le_u32_e64 s[0:1], s58, v16
	v_cndmask_b32_e64 v16, 0, -1, s[0:1]
	v_cmp_eq_u32_e64 s[0:1], s59, v7
	v_cndmask_b32_e64 v7, v17, v16, s[0:1]
	v_add_co_u32_e64 v16, s[0:1], 2, v3
	v_subb_co_u32_e32 v5, vcc, v10, v5, vcc
	v_addc_co_u32_e64 v17, s[0:1], 0, v6, s[0:1]
	v_cmp_le_u32_e32 vcc, s59, v5
	v_add_co_u32_e64 v25, s[0:1], 1, v3
	v_cndmask_b32_e64 v10, 0, -1, vcc
	v_cmp_le_u32_e32 vcc, s58, v4
	v_addc_co_u32_e64 v27, s[0:1], 0, v6, s[0:1]
	v_cndmask_b32_e64 v4, 0, -1, vcc
	v_cmp_eq_u32_e32 vcc, s59, v5
	v_cmp_ne_u32_e64 s[0:1], 0, v7
	v_cndmask_b32_e32 v4, v10, v4, vcc
	v_cmp_ne_u32_e32 vcc, 0, v4
	v_cndmask_b32_e64 v5, v25, v16, s[0:1]
	v_cndmask_b32_e64 v7, v27, v17, s[0:1]
	v_cndmask_b32_e32 v3, v3, v5, vcc
	v_xor_b32_e32 v5, s56, v24
	v_cndmask_b32_e32 v4, v6, v7, vcc
	v_xor_b32_e32 v3, v3, v5
	v_xor_b32_e32 v4, v4, v5
	v_sub_co_u32_e32 v6, vcc, v3, v5
	v_subb_co_u32_e32 v7, vcc, v4, v5, vcc
                                        ; implicit-def: $vgpr4_vgpr5
.LBB55_49:                              ;   in Loop: Header=BB55_3 Depth=1
	s_andn2_saveexec_b64 s[0:1], s[54:55]
	s_cbranch_execz .LBB55_51
; %bb.50:                               ;   in Loop: Header=BB55_3 Depth=1
	v_rcp_iflag_f32_e32 v3, v23
	s_sub_i32 s54, 0, s34
	v_mov_b32_e32 v7, v2
	v_mul_f32_e32 v3, 0x4f7ffffe, v3
	v_cvt_u32_f32_e32 v3, v3
	v_mul_lo_u32 v5, s54, v3
	v_mul_hi_u32 v5, v3, v5
	v_add_u32_e32 v3, v3, v5
	v_mul_hi_u32 v3, v4, v3
	v_mul_lo_u32 v5, v3, s34
	v_sub_u32_e32 v4, v4, v5
	v_add_u32_e32 v6, 1, v3
	v_subrev_u32_e32 v5, s34, v4
	v_cmp_le_u32_e32 vcc, s34, v4
	v_cndmask_b32_e32 v4, v4, v5, vcc
	v_cndmask_b32_e32 v3, v3, v6, vcc
	v_add_u32_e32 v5, 1, v3
	v_cmp_le_u32_e32 vcc, s34, v4
	v_cndmask_b32_e32 v6, v3, v5, vcc
.LBB55_51:                              ;   in Loop: Header=BB55_3 Depth=1
	s_or_b64 exec, exec, s[0:1]
	v_mul_lo_u32 v3, v7, s34
	v_mul_lo_u32 v10, v6, s35
	v_mad_u64_u32 v[4:5], s[0:1], v6, s34, 0
	v_add3_u32 v3, v5, v10, v3
	v_sub_co_u32_e32 v4, vcc, v12, v4
	v_subb_co_u32_e32 v3, vcc, v28, v3, vcc
	v_add_co_u32_e32 v4, vcc, v0, v4
	v_addc_co_u32_e32 v3, vcc, v1, v3, vcc
	v_mul_lo_u32 v3, v3, s18
	v_mul_lo_u32 v10, v4, s19
	v_mad_u64_u32 v[4:5], s[0:1], v4, s18, 0
	v_add3_u32 v5, v5, v10, v3
	v_mul_lo_u32 v3, v7, s16
	v_mul_lo_u32 v10, v6, s17
	v_mad_u64_u32 v[6:7], s[0:1], v6, s16, 0
	v_add3_u32 v7, v7, v10, v3
	v_lshlrev_b64 v[6:7], 2, v[6:7]
	v_mov_b32_e32 v3, s31
	v_add_co_u32_e32 v6, vcc, s30, v6
	v_addc_co_u32_e32 v3, vcc, v3, v7, vcc
	v_lshlrev_b64 v[4:5], 2, v[4:5]
	v_add_co_u32_e32 v4, vcc, v6, v4
	v_addc_co_u32_e32 v5, vcc, v3, v5, vcc
	v_or_b32_e32 v3, s35, v9
	v_cmp_ne_u64_e32 vcc, 0, v[2:3]
	global_store_dword v[4:5], v26, off
                                        ; implicit-def: $vgpr4_vgpr5
	s_and_saveexec_b64 s[0:1], vcc
	s_xor_b64 s[54:55], exec, s[0:1]
	s_cbranch_execz .LBB55_53
; %bb.52:                               ;   in Loop: Header=BB55_3 Depth=1
	s_ashr_i32 s56, s35, 31
	s_add_u32 s0, s34, s56
	s_mov_b32 s57, s56
	s_addc_u32 s1, s35, s56
	s_xor_b64 s[58:59], s[0:1], s[56:57]
	v_cvt_f32_u32_e32 v3, s58
	v_cvt_f32_u32_e32 v4, s59
	s_sub_u32 s0, 0, s58
	s_subb_u32 s1, 0, s59
                                        ; implicit-def: $vgpr23
	v_mac_f32_e32 v3, 0x4f800000, v4
	v_rcp_f32_e32 v3, v3
	v_mul_f32_e32 v3, 0x5f7ffffc, v3
	v_mul_f32_e32 v4, 0x2f800000, v3
	v_trunc_f32_e32 v4, v4
	v_mac_f32_e32 v3, 0xcf800000, v4
	v_cvt_u32_f32_e32 v4, v4
	v_cvt_u32_f32_e32 v3, v3
	v_mul_lo_u32 v5, s0, v4
	v_mul_hi_u32 v7, s0, v3
	v_mul_lo_u32 v6, s1, v3
	v_add_u32_e32 v5, v7, v5
	v_mul_lo_u32 v10, s0, v3
	v_add_u32_e32 v5, v5, v6
	v_mul_lo_u32 v7, v3, v5
	v_mul_hi_u32 v12, v3, v10
	v_mul_hi_u32 v6, v3, v5
	v_add_co_u32_e32 v7, vcc, v12, v7
	v_addc_co_u32_e32 v6, vcc, 0, v6, vcc
	v_mul_hi_u32 v16, v4, v10
	v_mul_lo_u32 v10, v4, v10
	v_add_co_u32_e32 v7, vcc, v7, v10
	v_mul_hi_u32 v12, v4, v5
	v_addc_co_u32_e32 v6, vcc, v6, v16, vcc
	v_addc_co_u32_e32 v7, vcc, 0, v12, vcc
	v_mul_lo_u32 v5, v4, v5
	v_add_co_u32_e32 v5, vcc, v6, v5
	v_addc_co_u32_e32 v6, vcc, 0, v7, vcc
	v_add_co_u32_e32 v3, vcc, v3, v5
	v_addc_co_u32_e32 v4, vcc, v4, v6, vcc
	v_mul_lo_u32 v5, s0, v4
	v_mul_hi_u32 v6, s0, v3
	v_add_u32_e32 v5, v6, v5
	v_mul_lo_u32 v6, s1, v3
	v_add_u32_e32 v5, v5, v6
	v_mul_lo_u32 v7, s0, v3
	v_mul_hi_u32 v10, v4, v7
	v_mul_lo_u32 v12, v4, v7
	v_mul_lo_u32 v17, v3, v5
	v_mul_hi_u32 v7, v3, v7
	v_mul_hi_u32 v16, v3, v5
	v_add_co_u32_e32 v7, vcc, v7, v17
	v_addc_co_u32_e32 v16, vcc, 0, v16, vcc
	v_add_co_u32_e32 v7, vcc, v7, v12
	v_mul_hi_u32 v6, v4, v5
	v_addc_co_u32_e32 v7, vcc, v16, v10, vcc
	v_addc_co_u32_e32 v6, vcc, 0, v6, vcc
	v_mul_lo_u32 v5, v4, v5
	v_add_co_u32_e32 v5, vcc, v7, v5
	v_addc_co_u32_e32 v6, vcc, 0, v6, vcc
	v_add_co_u32_e32 v3, vcc, v3, v5
	v_addc_co_u32_e32 v6, vcc, v4, v6, vcc
	;; [unrolled: 2-line block ×3, first 2 shown]
	v_xor_b32_e32 v9, v4, v13
	v_xor_b32_e32 v8, v5, v13
	v_mad_u64_u32 v[4:5], s[0:1], v9, v6, 0
	v_mul_hi_u32 v7, v9, v3
	v_add_co_u32_e32 v10, vcc, v7, v4
	v_addc_co_u32_e32 v12, vcc, 0, v5, vcc
	v_mad_u64_u32 v[4:5], s[0:1], v8, v6, 0
	v_mad_u64_u32 v[6:7], s[0:1], v8, v3, 0
	v_add_co_u32_e32 v3, vcc, v10, v6
	v_addc_co_u32_e32 v3, vcc, v12, v7, vcc
	v_addc_co_u32_e32 v5, vcc, 0, v5, vcc
	v_add_co_u32_e32 v3, vcc, v3, v4
	v_addc_co_u32_e32 v6, vcc, 0, v5, vcc
	v_mul_lo_u32 v7, s59, v3
	v_mul_lo_u32 v10, s58, v6
	v_mad_u64_u32 v[4:5], s[0:1], s58, v3, 0
	v_add3_u32 v5, v5, v10, v7
	v_sub_u32_e32 v7, v8, v5
	v_mov_b32_e32 v10, s59
	v_sub_co_u32_e32 v4, vcc, v9, v4
	v_subb_co_u32_e64 v7, s[0:1], v7, v10, vcc
	v_subrev_co_u32_e64 v9, s[0:1], s58, v4
	v_subbrev_co_u32_e64 v7, s[0:1], 0, v7, s[0:1]
	v_cmp_le_u32_e64 s[0:1], s59, v7
	v_cndmask_b32_e64 v10, 0, -1, s[0:1]
	v_cmp_le_u32_e64 s[0:1], s58, v9
	v_cndmask_b32_e64 v9, 0, -1, s[0:1]
	v_cmp_eq_u32_e64 s[0:1], s59, v7
	v_cndmask_b32_e64 v7, v10, v9, s[0:1]
	v_add_co_u32_e64 v9, s[0:1], 2, v3
	v_subb_co_u32_e32 v5, vcc, v8, v5, vcc
	v_addc_co_u32_e64 v10, s[0:1], 0, v6, s[0:1]
	v_cmp_le_u32_e32 vcc, s59, v5
	v_add_co_u32_e64 v12, s[0:1], 1, v3
	v_cndmask_b32_e64 v8, 0, -1, vcc
	v_cmp_le_u32_e32 vcc, s58, v4
	v_addc_co_u32_e64 v16, s[0:1], 0, v6, s[0:1]
	v_cndmask_b32_e64 v4, 0, -1, vcc
	v_cmp_eq_u32_e32 vcc, s59, v5
	v_cmp_ne_u32_e64 s[0:1], 0, v7
	v_cndmask_b32_e32 v4, v8, v4, vcc
	v_cmp_ne_u32_e32 vcc, 0, v4
	v_cndmask_b32_e64 v5, v12, v9, s[0:1]
	v_cndmask_b32_e64 v7, v16, v10, s[0:1]
	v_cndmask_b32_e32 v3, v3, v5, vcc
	v_xor_b32_e32 v5, s56, v13
	v_cndmask_b32_e32 v4, v6, v7, vcc
	v_xor_b32_e32 v3, v3, v5
	v_xor_b32_e32 v6, v4, v5
	v_sub_co_u32_e32 v4, vcc, v3, v5
	v_subb_co_u32_e32 v5, vcc, v6, v5, vcc
                                        ; implicit-def: $vgpr8_vgpr9
.LBB55_53:                              ;   in Loop: Header=BB55_3 Depth=1
	s_andn2_saveexec_b64 s[0:1], s[54:55]
	s_cbranch_execz .LBB55_55
; %bb.54:                               ;   in Loop: Header=BB55_3 Depth=1
	v_rcp_iflag_f32_e32 v3, v23
	s_sub_i32 s54, 0, s34
	v_mul_f32_e32 v3, 0x4f7ffffe, v3
	v_cvt_u32_f32_e32 v3, v3
	v_mul_lo_u32 v4, s54, v3
	v_mul_hi_u32 v4, v3, v4
	v_add_u32_e32 v3, v3, v4
	v_mul_hi_u32 v3, v8, v3
	v_mul_lo_u32 v4, v3, s34
	v_sub_u32_e32 v4, v8, v4
	v_add_u32_e32 v5, 1, v3
	v_subrev_u32_e32 v6, s34, v4
	v_cmp_le_u32_e32 vcc, s34, v4
	v_cndmask_b32_e32 v4, v4, v6, vcc
	v_cndmask_b32_e32 v3, v3, v5, vcc
	v_add_u32_e32 v5, 1, v3
	v_cmp_le_u32_e32 vcc, s34, v4
	v_cndmask_b32_e32 v4, v3, v5, vcc
	v_mov_b32_e32 v5, v2
.LBB55_55:                              ;   in Loop: Header=BB55_3 Depth=1
	s_or_b64 exec, exec, s[0:1]
	v_mul_lo_u32 v8, v5, s34
	v_mul_lo_u32 v9, v4, s35
	v_mad_u64_u32 v[6:7], s[0:1], v4, s34, 0
	v_add3_u32 v7, v7, v9, v8
	v_sub_co_u32_e32 v6, vcc, v14, v6
	v_subb_co_u32_e32 v7, vcc, v15, v7, vcc
	v_add_co_u32_e32 v6, vcc, v0, v6
	v_addc_co_u32_e32 v7, vcc, v1, v7, vcc
	v_mul_lo_u32 v8, v7, s18
	v_mul_lo_u32 v9, v6, s19
	v_mad_u64_u32 v[6:7], s[0:1], v6, s18, 0
	v_add3_u32 v7, v7, v9, v8
	v_mul_lo_u32 v8, v5, s16
	v_mul_lo_u32 v9, v4, s17
	v_mad_u64_u32 v[4:5], s[0:1], v4, s16, 0
	v_add3_u32 v5, v5, v9, v8
	v_lshlrev_b64 v[4:5], 2, v[4:5]
	v_mov_b32_e32 v8, s31
	v_add_co_u32_e32 v9, vcc, s30, v4
	v_addc_co_u32_e32 v8, vcc, v8, v5, vcc
	v_lshlrev_b64 v[4:5], 2, v[6:7]
	v_add_co_u32_e32 v4, vcc, v9, v4
	v_mul_f32_e32 v3, v20, v11
	v_addc_co_u32_e32 v5, vcc, v8, v5, vcc
	global_store_dword v[4:5], v3, off
	v_or_b32_e32 v3, s43, v1
	v_cmp_ne_u64_e32 vcc, 0, v[2:3]
                                        ; implicit-def: $vgpr4_vgpr5
	s_and_saveexec_b64 s[0:1], vcc
	s_xor_b64 s[54:55], exec, s[0:1]
	s_cbranch_execz .LBB55_57
; %bb.56:                               ;   in Loop: Header=BB55_3 Depth=1
	s_ashr_i32 s56, s43, 31
	s_add_u32 s0, s42, s56
	s_mov_b32 s57, s56
	s_addc_u32 s1, s43, s56
	s_xor_b64 s[58:59], s[0:1], s[56:57]
	v_cvt_f32_u32_e32 v3, s58
	v_cvt_f32_u32_e32 v4, s59
	s_sub_u32 s0, 0, s58
	s_subb_u32 s1, 0, s59
	v_mac_f32_e32 v3, 0x4f800000, v4
	v_rcp_f32_e32 v3, v3
	v_mul_f32_e32 v3, 0x5f7ffffc, v3
	v_mul_f32_e32 v4, 0x2f800000, v3
	v_trunc_f32_e32 v4, v4
	v_mac_f32_e32 v3, 0xcf800000, v4
	v_cvt_u32_f32_e32 v4, v4
	v_cvt_u32_f32_e32 v3, v3
	v_mul_lo_u32 v5, s0, v4
	v_mul_hi_u32 v7, s0, v3
	v_mul_lo_u32 v6, s1, v3
	v_add_u32_e32 v5, v7, v5
	v_mul_lo_u32 v8, s0, v3
	v_add_u32_e32 v5, v5, v6
	v_mul_lo_u32 v7, v3, v5
	v_mul_hi_u32 v9, v3, v8
	v_mul_hi_u32 v6, v3, v5
	v_add_co_u32_e32 v7, vcc, v9, v7
	v_addc_co_u32_e32 v6, vcc, 0, v6, vcc
	v_mul_hi_u32 v10, v4, v8
	v_mul_lo_u32 v8, v4, v8
	v_add_co_u32_e32 v7, vcc, v7, v8
	v_mul_hi_u32 v9, v4, v5
	v_addc_co_u32_e32 v6, vcc, v6, v10, vcc
	v_addc_co_u32_e32 v7, vcc, 0, v9, vcc
	v_mul_lo_u32 v5, v4, v5
	v_add_co_u32_e32 v5, vcc, v6, v5
	v_addc_co_u32_e32 v6, vcc, 0, v7, vcc
	v_add_co_u32_e32 v3, vcc, v3, v5
	v_addc_co_u32_e32 v4, vcc, v4, v6, vcc
	v_mul_lo_u32 v5, s0, v4
	v_mul_hi_u32 v6, s0, v3
	v_add_u32_e32 v5, v6, v5
	v_mul_lo_u32 v6, s1, v3
	v_add_u32_e32 v5, v5, v6
	v_mul_lo_u32 v7, s0, v3
	v_mul_hi_u32 v8, v4, v7
	v_mul_lo_u32 v9, v4, v7
	v_mul_lo_u32 v11, v3, v5
	v_mul_hi_u32 v7, v3, v7
	v_mul_hi_u32 v10, v3, v5
	v_add_co_u32_e32 v7, vcc, v7, v11
	v_addc_co_u32_e32 v10, vcc, 0, v10, vcc
	v_add_co_u32_e32 v7, vcc, v7, v9
	v_mul_hi_u32 v6, v4, v5
	v_addc_co_u32_e32 v7, vcc, v10, v8, vcc
	v_addc_co_u32_e32 v6, vcc, 0, v6, vcc
	v_mul_lo_u32 v5, v4, v5
	v_add_co_u32_e32 v5, vcc, v7, v5
	v_addc_co_u32_e32 v6, vcc, 0, v6, vcc
	v_add_co_u32_e32 v3, vcc, v3, v5
	v_addc_co_u32_e32 v6, vcc, v4, v6, vcc
	v_add_co_u32_e32 v4, vcc, v0, v19
	v_addc_co_u32_e32 v5, vcc, v1, v19, vcc
	v_xor_b32_e32 v9, v4, v19
	v_xor_b32_e32 v8, v5, v19
	v_mad_u64_u32 v[4:5], s[0:1], v9, v6, 0
	v_mul_hi_u32 v7, v9, v3
	v_add_co_u32_e32 v10, vcc, v7, v4
	v_addc_co_u32_e32 v11, vcc, 0, v5, vcc
	v_mad_u64_u32 v[4:5], s[0:1], v8, v6, 0
	v_mad_u64_u32 v[6:7], s[0:1], v8, v3, 0
	v_add_co_u32_e32 v3, vcc, v10, v6
	v_addc_co_u32_e32 v3, vcc, v11, v7, vcc
	v_addc_co_u32_e32 v5, vcc, 0, v5, vcc
	v_add_co_u32_e32 v3, vcc, v3, v4
	v_addc_co_u32_e32 v6, vcc, 0, v5, vcc
	v_mul_lo_u32 v7, s59, v3
	v_mul_lo_u32 v10, s58, v6
	v_mad_u64_u32 v[4:5], s[0:1], s58, v3, 0
	v_add3_u32 v5, v5, v10, v7
	v_sub_u32_e32 v7, v8, v5
	v_mov_b32_e32 v10, s59
	v_sub_co_u32_e32 v4, vcc, v9, v4
	v_subb_co_u32_e64 v7, s[0:1], v7, v10, vcc
	v_subrev_co_u32_e64 v9, s[0:1], s58, v4
	v_subbrev_co_u32_e64 v7, s[0:1], 0, v7, s[0:1]
	v_cmp_le_u32_e64 s[0:1], s59, v7
	v_cndmask_b32_e64 v10, 0, -1, s[0:1]
	v_cmp_le_u32_e64 s[0:1], s58, v9
	v_cndmask_b32_e64 v9, 0, -1, s[0:1]
	v_cmp_eq_u32_e64 s[0:1], s59, v7
	v_cndmask_b32_e64 v7, v10, v9, s[0:1]
	v_add_co_u32_e64 v9, s[0:1], 2, v3
	v_subb_co_u32_e32 v5, vcc, v8, v5, vcc
	v_addc_co_u32_e64 v10, s[0:1], 0, v6, s[0:1]
	v_cmp_le_u32_e32 vcc, s59, v5
	v_add_co_u32_e64 v11, s[0:1], 1, v3
	v_cndmask_b32_e64 v8, 0, -1, vcc
	v_cmp_le_u32_e32 vcc, s58, v4
	v_addc_co_u32_e64 v12, s[0:1], 0, v6, s[0:1]
	v_cndmask_b32_e64 v4, 0, -1, vcc
	v_cmp_eq_u32_e32 vcc, s59, v5
	v_cmp_ne_u32_e64 s[0:1], 0, v7
	v_cndmask_b32_e32 v4, v8, v4, vcc
	v_cmp_ne_u32_e32 vcc, 0, v4
	v_cndmask_b32_e64 v5, v11, v9, s[0:1]
	v_cndmask_b32_e64 v7, v12, v10, s[0:1]
	v_cndmask_b32_e32 v3, v3, v5, vcc
	v_xor_b32_e32 v5, s56, v19
	v_cndmask_b32_e32 v4, v6, v7, vcc
	v_xor_b32_e32 v3, v3, v5
	v_xor_b32_e32 v6, v4, v5
	v_sub_co_u32_e32 v4, vcc, v3, v5
	v_subb_co_u32_e32 v5, vcc, v6, v5, vcc
.LBB55_57:                              ;   in Loop: Header=BB55_3 Depth=1
	s_andn2_saveexec_b64 s[0:1], s[54:55]
	s_cbranch_execz .LBB55_2
; %bb.58:                               ;   in Loop: Header=BB55_3 Depth=1
	v_cvt_f32_u32_e32 v3, s42
	s_sub_i32 s54, 0, s42
	v_rcp_iflag_f32_e32 v3, v3
	v_mul_f32_e32 v3, 0x4f7ffffe, v3
	v_cvt_u32_f32_e32 v3, v3
	v_mul_lo_u32 v4, s54, v3
	v_mul_hi_u32 v4, v3, v4
	v_add_u32_e32 v3, v3, v4
	v_mul_hi_u32 v3, v0, v3
	v_mul_lo_u32 v4, v3, s42
	v_sub_u32_e32 v4, v0, v4
	v_add_u32_e32 v5, 1, v3
	v_subrev_u32_e32 v6, s42, v4
	v_cmp_le_u32_e32 vcc, s42, v4
	v_cndmask_b32_e32 v4, v4, v6, vcc
	v_cndmask_b32_e32 v3, v3, v5, vcc
	v_add_u32_e32 v5, 1, v3
	v_cmp_le_u32_e32 vcc, s42, v4
	v_cndmask_b32_e32 v4, v3, v5, vcc
	v_mov_b32_e32 v5, v2
	s_branch .LBB55_2
.LBB55_59:
	s_endpgm
	.section	.rodata,"a",@progbits
	.p2align	6, 0x0
	.amdhsa_kernel _ZN2at6native12_GLOBAL__N_16kernel17gru_cell_backwardIfflLi2EEEvNS_4cuda6detail10TensorInfoIT_T1_EES9_S9_S9_S9_S8_S8_
		.amdhsa_group_segment_fixed_size 0
		.amdhsa_private_segment_fixed_size 0
		.amdhsa_kernarg_size 2352
		.amdhsa_user_sgpr_count 6
		.amdhsa_user_sgpr_private_segment_buffer 1
		.amdhsa_user_sgpr_dispatch_ptr 0
		.amdhsa_user_sgpr_queue_ptr 0
		.amdhsa_user_sgpr_kernarg_segment_ptr 1
		.amdhsa_user_sgpr_dispatch_id 0
		.amdhsa_user_sgpr_flat_scratch_init 0
		.amdhsa_user_sgpr_kernarg_preload_length 0
		.amdhsa_user_sgpr_kernarg_preload_offset 0
		.amdhsa_user_sgpr_private_segment_size 0
		.amdhsa_uses_dynamic_stack 0
		.amdhsa_system_sgpr_private_segment_wavefront_offset 0
		.amdhsa_system_sgpr_workgroup_id_x 1
		.amdhsa_system_sgpr_workgroup_id_y 0
		.amdhsa_system_sgpr_workgroup_id_z 0
		.amdhsa_system_sgpr_workgroup_info 0
		.amdhsa_system_vgpr_workitem_id 0
		.amdhsa_next_free_vgpr 37
		.amdhsa_next_free_sgpr 65
		.amdhsa_accum_offset 40
		.amdhsa_reserve_vcc 1
		.amdhsa_reserve_flat_scratch 0
		.amdhsa_float_round_mode_32 0
		.amdhsa_float_round_mode_16_64 0
		.amdhsa_float_denorm_mode_32 3
		.amdhsa_float_denorm_mode_16_64 3
		.amdhsa_dx10_clamp 1
		.amdhsa_ieee_mode 1
		.amdhsa_fp16_overflow 0
		.amdhsa_tg_split 0
		.amdhsa_exception_fp_ieee_invalid_op 0
		.amdhsa_exception_fp_denorm_src 0
		.amdhsa_exception_fp_ieee_div_zero 0
		.amdhsa_exception_fp_ieee_overflow 0
		.amdhsa_exception_fp_ieee_underflow 0
		.amdhsa_exception_fp_ieee_inexact 0
		.amdhsa_exception_int_div_zero 0
	.end_amdhsa_kernel
	.section	.text._ZN2at6native12_GLOBAL__N_16kernel17gru_cell_backwardIfflLi2EEEvNS_4cuda6detail10TensorInfoIT_T1_EES9_S9_S9_S9_S8_S8_,"axG",@progbits,_ZN2at6native12_GLOBAL__N_16kernel17gru_cell_backwardIfflLi2EEEvNS_4cuda6detail10TensorInfoIT_T1_EES9_S9_S9_S9_S8_S8_,comdat
.Lfunc_end55:
	.size	_ZN2at6native12_GLOBAL__N_16kernel17gru_cell_backwardIfflLi2EEEvNS_4cuda6detail10TensorInfoIT_T1_EES9_S9_S9_S9_S8_S8_, .Lfunc_end55-_ZN2at6native12_GLOBAL__N_16kernel17gru_cell_backwardIfflLi2EEEvNS_4cuda6detail10TensorInfoIT_T1_EES9_S9_S9_S9_S8_S8_
                                        ; -- End function
	.section	.AMDGPU.csdata,"",@progbits
; Kernel info:
; codeLenInByte = 13944
; NumSgprs: 69
; NumVgprs: 37
; NumAgprs: 0
; TotalNumVgprs: 37
; ScratchSize: 0
; MemoryBound: 0
; FloatMode: 240
; IeeeMode: 1
; LDSByteSize: 0 bytes/workgroup (compile time only)
; SGPRBlocks: 8
; VGPRBlocks: 4
; NumSGPRsForWavesPerEU: 69
; NumVGPRsForWavesPerEU: 37
; AccumOffset: 40
; Occupancy: 8
; WaveLimiterHint : 1
; COMPUTE_PGM_RSRC2:SCRATCH_EN: 0
; COMPUTE_PGM_RSRC2:USER_SGPR: 6
; COMPUTE_PGM_RSRC2:TRAP_HANDLER: 0
; COMPUTE_PGM_RSRC2:TGID_X_EN: 1
; COMPUTE_PGM_RSRC2:TGID_Y_EN: 0
; COMPUTE_PGM_RSRC2:TGID_Z_EN: 0
; COMPUTE_PGM_RSRC2:TIDIG_COMP_CNT: 0
; COMPUTE_PGM_RSRC3_GFX90A:ACCUM_OFFSET: 9
; COMPUTE_PGM_RSRC3_GFX90A:TG_SPLIT: 0
	.section	.text._ZN2at6native12_GLOBAL__N_16kernel17gru_cell_backwardIN3c104HalfEfiLi1EEEvNS_4cuda6detail10TensorInfoIT_T1_EESB_SB_SB_SB_SA_SA_,"axG",@progbits,_ZN2at6native12_GLOBAL__N_16kernel17gru_cell_backwardIN3c104HalfEfiLi1EEEvNS_4cuda6detail10TensorInfoIT_T1_EESB_SB_SB_SB_SA_SA_,comdat
	.globl	_ZN2at6native12_GLOBAL__N_16kernel17gru_cell_backwardIN3c104HalfEfiLi1EEEvNS_4cuda6detail10TensorInfoIT_T1_EESB_SB_SB_SB_SA_SA_ ; -- Begin function _ZN2at6native12_GLOBAL__N_16kernel17gru_cell_backwardIN3c104HalfEfiLi1EEEvNS_4cuda6detail10TensorInfoIT_T1_EESB_SB_SB_SB_SA_SA_
	.p2align	8
	.type	_ZN2at6native12_GLOBAL__N_16kernel17gru_cell_backwardIN3c104HalfEfiLi1EEEvNS_4cuda6detail10TensorInfoIT_T1_EESB_SB_SB_SB_SA_SA_,@function
_ZN2at6native12_GLOBAL__N_16kernel17gru_cell_backwardIN3c104HalfEfiLi1EEEvNS_4cuda6detail10TensorInfoIT_T1_EESB_SB_SB_SB_SA_SA_: ; @_ZN2at6native12_GLOBAL__N_16kernel17gru_cell_backwardIN3c104HalfEfiLi1EEEvNS_4cuda6detail10TensorInfoIT_T1_EESB_SB_SB_SB_SA_SA_
; %bb.0:
	s_load_dword s7, s[4:5], 0x44c
	s_load_dwordx2 s[2:3], s[4:5], 0x438
	s_add_u32 s0, s4, 0x440
	s_addc_u32 s1, s5, 0
	s_waitcnt lgkmcnt(0)
	s_and_b32 s20, s7, 0xffff
	s_mul_i32 s6, s6, s20
	v_add_u32_e32 v0, s6, v0
	v_cmp_gt_i32_e32 vcc, s3, v0
	s_and_saveexec_b64 s[6:7], vcc
	s_cbranch_execz .LBB56_3
; %bb.1:
	s_abs_i32 s18, s2
	v_cvt_f32_u32_e32 v1, s18
	s_load_dwordx2 s[6:7], s[4:5], 0x0
	s_load_dword s16, s[4:5], 0x6c
	s_load_dwordx2 s[8:9], s[4:5], 0xd8
	s_load_dword s17, s[4:5], 0x144
	;; [unrolled: 2-line block ×4, first 2 shown]
	s_load_dword s21, s[0:1], 0x0
	s_load_dwordx2 s[14:15], s[4:5], 0x360
	s_load_dword s19, s[4:5], 0x3cc
	v_rcp_iflag_f32_e32 v1, v1
	s_sub_i32 s0, 0, s18
	s_waitcnt lgkmcnt(0)
	s_mul_i32 s20, s21, s20
	s_ashr_i32 s21, s2, 31
	v_mul_f32_e32 v1, 0x4f7ffffe, v1
	v_cvt_u32_f32_e32 v1, v1
	s_lshl_b32 s22, s2, 2
	s_lshl_b32 s23, s2, 1
	v_mul_lo_u32 v4, v0, s25
	v_mul_lo_u32 v2, s0, v1
	v_mul_hi_u32 v2, v1, v2
	v_add_u32_e32 v1, v1, v2
	v_mul_lo_u32 v2, v0, s24
	s_mul_i32 s24, s20, s24
	s_mul_i32 s25, s20, s25
	s_mov_b64 s[4:5], 0
	v_mov_b32_e32 v6, s15
	v_mov_b32_e32 v7, s11
	s_mov_b32 s11, 1.0
	v_mov_b32_e32 v8, s7
	v_mov_b32_e32 v9, s9
	;; [unrolled: 1-line block ×3, first 2 shown]
.LBB56_2:                               ; =>This Inner Loop Header: Depth=1
	v_sub_u32_e32 v12, 0, v0
	v_ashrrev_i32_e32 v3, 31, v2
	v_max_i32_e32 v16, v0, v12
	v_lshlrev_b64 v[12:13], 1, v[2:3]
	v_mul_hi_u32 v3, v16, v1
	v_add_co_u32_e32 v12, vcc, s10, v12
	v_addc_co_u32_e32 v13, vcc, v7, v13, vcc
	v_mul_lo_u32 v17, v3, s18
	global_load_ushort v26, v[12:13], off
	v_sub_u32_e32 v12, v16, v17
	v_add_u32_e32 v18, 1, v3
	v_cmp_le_u32_e32 vcc, s18, v12
	v_subrev_u32_e32 v13, s18, v12
	v_cndmask_b32_e32 v3, v3, v18, vcc
	v_cndmask_b32_e32 v12, v12, v13, vcc
	v_ashrrev_i32_e32 v11, 31, v0
	v_add_u32_e32 v13, 1, v3
	v_cmp_le_u32_e32 vcc, s18, v12
	v_xor_b32_e32 v11, s21, v11
	v_cndmask_b32_e32 v3, v3, v13, vcc
	v_ashrrev_i32_e32 v5, 31, v4
	v_xor_b32_e32 v3, v3, v11
	v_lshlrev_b64 v[14:15], 1, v[4:5]
	v_lshlrev_b32_e32 v5, 2, v11
	v_lshlrev_b32_e32 v24, 1, v11
	v_sub_u32_e32 v11, v3, v11
	v_lshlrev_b32_e32 v16, 2, v3
	v_mad_u64_u32 v[12:13], s[0:1], s22, v11, v[0:1]
	v_sub_u32_e32 v5, v16, v5
	v_mul_lo_u32 v12, v12, s19
	v_or_b32_e32 v16, 1, v5
	v_ashrrev_i32_e32 v13, 31, v12
	v_mad_u64_u32 v[16:17], s[0:1], s2, v16, v[0:1]
	v_lshlrev_b64 v[12:13], 1, v[12:13]
	v_or_b32_e32 v18, 2, v5
	v_mul_lo_u32 v16, v16, s19
	v_add_co_u32_e32 v12, vcc, s14, v12
	v_or_b32_e32 v20, 3, v5
	v_add_u32_e32 v5, 4, v5
	v_mad_u64_u32 v[18:19], s[0:1], s2, v18, v[0:1]
	v_addc_co_u32_e32 v13, vcc, v6, v13, vcc
	v_ashrrev_i32_e32 v17, 31, v16
	v_mad_u64_u32 v[22:23], s[0:1], s2, v5, v[0:1]
	v_mul_lo_u32 v18, v18, s19
	global_load_ushort v5, v[12:13], off
	v_lshlrev_b64 v[12:13], 1, v[16:17]
	v_mad_u64_u32 v[20:21], s[0:1], s2, v20, v[0:1]
	v_ashrrev_i32_e32 v19, 31, v18
	v_add_co_u32_e32 v12, vcc, s14, v12
	v_mul_lo_u32 v20, v20, s19
	v_lshlrev_b64 v[16:17], 1, v[18:19]
	v_addc_co_u32_e32 v13, vcc, v6, v13, vcc
	v_ashrrev_i32_e32 v21, 31, v20
	v_add_co_u32_e32 v16, vcc, s14, v16
	v_mul_lo_u32 v22, v22, s19
	v_lshlrev_b64 v[18:19], 1, v[20:21]
	v_addc_co_u32_e32 v17, vcc, v6, v17, vcc
	v_ashrrev_i32_e32 v23, 31, v22
	v_add_co_u32_e32 v18, vcc, s14, v18
	v_lshlrev_b64 v[20:21], 1, v[22:23]
	v_addc_co_u32_e32 v19, vcc, v6, v19, vcc
	v_add_co_u32_e32 v20, vcc, s14, v20
	v_addc_co_u32_e32 v21, vcc, v6, v21, vcc
	global_load_ushort v27, v[18:19], off
	global_load_ushort v28, v[16:17], off
	;; [unrolled: 1-line block ×4, first 2 shown]
	v_lshlrev_b32_e32 v3, 1, v3
	v_add_co_u32_e32 v12, vcc, s12, v14
	v_sub_u32_e32 v3, v3, v24
	v_addc_co_u32_e32 v13, vcc, v10, v15, vcc
	v_mad_u64_u32 v[14:15], s[0:1], s23, v11, v[0:1]
	v_or_b32_e32 v11, 1, v3
	v_mad_u64_u32 v[18:19], s[0:1], s2, v11, v[0:1]
	v_add_u32_e32 v3, 2, v3
	v_mul_lo_u32 v22, v18, s16
	v_mad_u64_u32 v[20:21], s[0:1], s2, v3, v[0:1]
	v_add_u32_e32 v0, s20, v0
	v_ashrrev_i32_e32 v23, 31, v22
	s_waitcnt vmcnt(5)
	v_cvt_f32_f16_e32 v3, v26
	v_mul_lo_u32 v24, v20, s16
	v_cmp_le_i32_e32 vcc, s3, v0
	v_lshlrev_b64 v[22:23], 1, v[22:23]
	v_ashrrev_i32_e32 v25, 31, v24
	s_or_b64 s[4:5], vcc, s[4:5]
	v_add_co_u32_e32 v22, vcc, s6, v22
	v_mul_lo_u32 v16, v14, s16
	v_mul_lo_u32 v18, v18, s17
	v_lshlrev_b64 v[24:25], 1, v[24:25]
	v_addc_co_u32_e32 v23, vcc, v8, v23, vcc
	v_ashrrev_i32_e32 v17, 31, v16
	v_ashrrev_i32_e32 v19, 31, v18
	v_add_co_u32_e32 v24, vcc, s6, v24
	v_mul_lo_u32 v14, v14, s17
	v_lshlrev_b64 v[16:17], 1, v[16:17]
	v_mul_lo_u32 v20, v20, s17
	v_lshlrev_b64 v[18:19], 1, v[18:19]
	v_addc_co_u32_e32 v25, vcc, v8, v25, vcc
	v_ashrrev_i32_e32 v15, 31, v14
	v_add_co_u32_e64 v16, s[0:1], s6, v16
	v_ashrrev_i32_e32 v21, 31, v20
	v_add_co_u32_e32 v18, vcc, s8, v18
	v_lshlrev_b64 v[14:15], 1, v[14:15]
	v_addc_co_u32_e64 v17, s[0:1], v8, v17, s[0:1]
	v_lshlrev_b64 v[20:21], 1, v[20:21]
	v_addc_co_u32_e32 v19, vcc, v9, v19, vcc
	s_waitcnt vmcnt(4)
	v_cvt_f32_f16_e32 v11, v5
	v_add_u32_e32 v2, s24, v2
	v_add_u32_e32 v4, s25, v4
	v_add_co_u32_e64 v14, s[0:1], s8, v14
	v_sub_f32_e32 v11, 1.0, v11
	v_add_co_u32_e32 v20, vcc, s8, v20
	v_addc_co_u32_e64 v15, s[0:1], v9, v15, s[0:1]
	v_addc_co_u32_e32 v21, vcc, v9, v21, vcc
	s_waitcnt vmcnt(3)
	v_cvt_f32_f16_e32 v27, v27
	s_waitcnt vmcnt(2)
	v_cvt_f32_f16_e32 v31, v28
	;; [unrolled: 2-line block ×4, first 2 shown]
	v_fma_mix_f32 v28, -v28, v28, s11 op_sel_hi:[1,1,0]
	v_sub_f32_e32 v27, v27, v31
	v_sub_f32_e32 v31, 1.0, v32
	v_mul_f32_e32 v27, v27, v3
	v_mul_f32_e32 v3, v31, v3
	;; [unrolled: 1-line block ×4, first 2 shown]
	v_fma_mixlo_f16 v3, v28, v3, 0
	v_mul_f32_e32 v28, v31, v30
	v_mul_f32_e32 v11, v11, v28
	v_mul_f16_e32 v26, v29, v26
	v_fma_mixlo_f16 v27, v27, v29, 0 op_sel_hi:[0,1,0]
	v_fma_mixlo_f16 v29, v31, v5, 0 op_sel_hi:[0,1,0]
	;; [unrolled: 1-line block ×3, first 2 shown]
	global_store_short v[16:17], v5, off
	global_store_short v[22:23], v27, off
	;; [unrolled: 1-line block ×7, first 2 shown]
	s_andn2_b64 exec, exec, s[4:5]
	s_cbranch_execnz .LBB56_2
.LBB56_3:
	s_endpgm
	.section	.rodata,"a",@progbits
	.p2align	6, 0x0
	.amdhsa_kernel _ZN2at6native12_GLOBAL__N_16kernel17gru_cell_backwardIN3c104HalfEfiLi1EEEvNS_4cuda6detail10TensorInfoIT_T1_EESB_SB_SB_SB_SA_SA_
		.amdhsa_group_segment_fixed_size 0
		.amdhsa_private_segment_fixed_size 0
		.amdhsa_kernarg_size 1344
		.amdhsa_user_sgpr_count 6
		.amdhsa_user_sgpr_private_segment_buffer 1
		.amdhsa_user_sgpr_dispatch_ptr 0
		.amdhsa_user_sgpr_queue_ptr 0
		.amdhsa_user_sgpr_kernarg_segment_ptr 1
		.amdhsa_user_sgpr_dispatch_id 0
		.amdhsa_user_sgpr_flat_scratch_init 0
		.amdhsa_user_sgpr_kernarg_preload_length 0
		.amdhsa_user_sgpr_kernarg_preload_offset 0
		.amdhsa_user_sgpr_private_segment_size 0
		.amdhsa_uses_dynamic_stack 0
		.amdhsa_system_sgpr_private_segment_wavefront_offset 0
		.amdhsa_system_sgpr_workgroup_id_x 1
		.amdhsa_system_sgpr_workgroup_id_y 0
		.amdhsa_system_sgpr_workgroup_id_z 0
		.amdhsa_system_sgpr_workgroup_info 0
		.amdhsa_system_vgpr_workitem_id 0
		.amdhsa_next_free_vgpr 33
		.amdhsa_next_free_sgpr 26
		.amdhsa_accum_offset 36
		.amdhsa_reserve_vcc 1
		.amdhsa_reserve_flat_scratch 0
		.amdhsa_float_round_mode_32 0
		.amdhsa_float_round_mode_16_64 0
		.amdhsa_float_denorm_mode_32 3
		.amdhsa_float_denorm_mode_16_64 3
		.amdhsa_dx10_clamp 1
		.amdhsa_ieee_mode 1
		.amdhsa_fp16_overflow 0
		.amdhsa_tg_split 0
		.amdhsa_exception_fp_ieee_invalid_op 0
		.amdhsa_exception_fp_denorm_src 0
		.amdhsa_exception_fp_ieee_div_zero 0
		.amdhsa_exception_fp_ieee_overflow 0
		.amdhsa_exception_fp_ieee_underflow 0
		.amdhsa_exception_fp_ieee_inexact 0
		.amdhsa_exception_int_div_zero 0
	.end_amdhsa_kernel
	.section	.text._ZN2at6native12_GLOBAL__N_16kernel17gru_cell_backwardIN3c104HalfEfiLi1EEEvNS_4cuda6detail10TensorInfoIT_T1_EESB_SB_SB_SB_SA_SA_,"axG",@progbits,_ZN2at6native12_GLOBAL__N_16kernel17gru_cell_backwardIN3c104HalfEfiLi1EEEvNS_4cuda6detail10TensorInfoIT_T1_EESB_SB_SB_SB_SA_SA_,comdat
.Lfunc_end56:
	.size	_ZN2at6native12_GLOBAL__N_16kernel17gru_cell_backwardIN3c104HalfEfiLi1EEEvNS_4cuda6detail10TensorInfoIT_T1_EESB_SB_SB_SB_SA_SA_, .Lfunc_end56-_ZN2at6native12_GLOBAL__N_16kernel17gru_cell_backwardIN3c104HalfEfiLi1EEEvNS_4cuda6detail10TensorInfoIT_T1_EESB_SB_SB_SB_SA_SA_
                                        ; -- End function
	.section	.AMDGPU.csdata,"",@progbits
; Kernel info:
; codeLenInByte = 1084
; NumSgprs: 30
; NumVgprs: 33
; NumAgprs: 0
; TotalNumVgprs: 33
; ScratchSize: 0
; MemoryBound: 0
; FloatMode: 240
; IeeeMode: 1
; LDSByteSize: 0 bytes/workgroup (compile time only)
; SGPRBlocks: 3
; VGPRBlocks: 4
; NumSGPRsForWavesPerEU: 30
; NumVGPRsForWavesPerEU: 33
; AccumOffset: 36
; Occupancy: 8
; WaveLimiterHint : 1
; COMPUTE_PGM_RSRC2:SCRATCH_EN: 0
; COMPUTE_PGM_RSRC2:USER_SGPR: 6
; COMPUTE_PGM_RSRC2:TRAP_HANDLER: 0
; COMPUTE_PGM_RSRC2:TGID_X_EN: 1
; COMPUTE_PGM_RSRC2:TGID_Y_EN: 0
; COMPUTE_PGM_RSRC2:TGID_Z_EN: 0
; COMPUTE_PGM_RSRC2:TIDIG_COMP_CNT: 0
; COMPUTE_PGM_RSRC3_GFX90A:ACCUM_OFFSET: 8
; COMPUTE_PGM_RSRC3_GFX90A:TG_SPLIT: 0
	.section	.text._ZN2at6native12_GLOBAL__N_16kernel17gru_cell_backwardIN3c104HalfEfiLi2EEEvNS_4cuda6detail10TensorInfoIT_T1_EESB_SB_SB_SB_SA_SA_,"axG",@progbits,_ZN2at6native12_GLOBAL__N_16kernel17gru_cell_backwardIN3c104HalfEfiLi2EEEvNS_4cuda6detail10TensorInfoIT_T1_EESB_SB_SB_SB_SA_SA_,comdat
	.globl	_ZN2at6native12_GLOBAL__N_16kernel17gru_cell_backwardIN3c104HalfEfiLi2EEEvNS_4cuda6detail10TensorInfoIT_T1_EESB_SB_SB_SB_SA_SA_ ; -- Begin function _ZN2at6native12_GLOBAL__N_16kernel17gru_cell_backwardIN3c104HalfEfiLi2EEEvNS_4cuda6detail10TensorInfoIT_T1_EESB_SB_SB_SB_SA_SA_
	.p2align	8
	.type	_ZN2at6native12_GLOBAL__N_16kernel17gru_cell_backwardIN3c104HalfEfiLi2EEEvNS_4cuda6detail10TensorInfoIT_T1_EESB_SB_SB_SB_SA_SA_,@function
_ZN2at6native12_GLOBAL__N_16kernel17gru_cell_backwardIN3c104HalfEfiLi2EEEvNS_4cuda6detail10TensorInfoIT_T1_EESB_SB_SB_SB_SA_SA_: ; @_ZN2at6native12_GLOBAL__N_16kernel17gru_cell_backwardIN3c104HalfEfiLi2EEEvNS_4cuda6detail10TensorInfoIT_T1_EESB_SB_SB_SB_SA_SA_
; %bb.0:
	s_load_dword s2, s[4:5], 0x44c
	s_load_dwordx2 s[14:15], s[4:5], 0x438
	s_add_u32 s0, s4, 0x440
	s_addc_u32 s1, s5, 0
	s_waitcnt lgkmcnt(0)
	s_and_b32 s2, s2, 0xffff
	s_mul_i32 s6, s6, s2
	v_add_u32_e32 v0, s6, v0
	v_cmp_gt_i32_e32 vcc, s15, v0
	s_and_saveexec_b64 s[6:7], vcc
	s_cbranch_execz .LBB57_3
; %bb.1:
	s_abs_i32 s41, s14
	v_cvt_f32_u32_e32 v1, s41
	s_load_dwordx2 s[16:17], s[4:5], 0x0
	s_load_dword s33, s[4:5], 0xc
	s_load_dwordx2 s[18:19], s[4:5], 0x6c
	s_load_dwordx2 s[20:21], s[4:5], 0xd8
	s_load_dword s40, s[4:5], 0xe4
	s_load_dwordx2 s[22:23], s[4:5], 0x144
	;; [unrolled: 3-line block ×3, first 2 shown]
	s_load_dword s42, s[4:5], 0x36c
	s_load_dword s43, s[0:1], 0x0
	s_sub_i32 s1, 0, s41
	v_rcp_iflag_f32_e32 v1, v1
	s_waitcnt lgkmcnt(0)
	s_abs_i32 s48, s33
	s_abs_i32 s44, s42
	v_cvt_f32_u32_e32 v2, s44
	v_mul_f32_e32 v1, 0x4f7ffffe, v1
	v_cvt_u32_f32_e32 v1, v1
	s_abs_i32 s46, s3
	v_rcp_iflag_f32_e32 v2, v2
	s_load_dwordx2 s[28:29], s[4:5], 0x21c
	s_load_dwordx2 s[30:31], s[4:5], 0x288
	s_load_dword s0, s[4:5], 0x294
	s_load_dwordx2 s[34:35], s[4:5], 0x2f4
	s_load_dwordx2 s[36:37], s[4:5], 0x3cc
	v_mul_lo_u32 v3, s1, v1
	v_mul_hi_u32 v3, v1, v3
	v_add_u32_e32 v1, v1, v3
	v_cvt_f32_u32_e32 v3, s46
	v_mul_f32_e32 v2, 0x4f7ffffe, v2
	v_cvt_u32_f32_e32 v2, v2
	s_sub_i32 s1, 0, s44
	v_rcp_iflag_f32_e32 v3, v3
	s_abs_i32 s51, s40
	v_mul_lo_u32 v4, s1, v2
	v_mul_hi_u32 v4, v2, v4
	v_add_u32_e32 v4, v2, v4
	v_mul_f32_e32 v2, 0x4f7ffffe, v3
	v_cvt_f32_u32_e32 v3, s48
	v_cvt_u32_f32_e32 v2, v2
	s_sub_i32 s1, 0, s46
	s_waitcnt lgkmcnt(0)
	s_abs_i32 s52, s0
	v_rcp_iflag_f32_e32 v3, v3
	v_mul_lo_u32 v5, s1, v2
	v_mul_hi_u32 v5, v2, v5
	v_add_u32_e32 v5, v2, v5
	v_mul_f32_e32 v2, 0x4f7ffffe, v3
	v_cvt_u32_f32_e32 v2, v2
	s_sub_i32 s1, 0, s48
	v_cvt_f32_u32_e32 v3, s51
	s_mul_i32 s43, s43, s2
	v_mul_lo_u32 v6, s1, v2
	v_mul_hi_u32 v6, v2, v6
	v_add_u32_e32 v6, v2, v6
	v_cvt_f32_u32_e32 v2, s52
	v_rcp_iflag_f32_e32 v3, v3
	s_sub_i32 s1, 0, s51
	s_ashr_i32 s45, s14, 31
	v_rcp_iflag_f32_e32 v2, v2
	v_mul_f32_e32 v3, 0x4f7ffffe, v3
	v_cvt_u32_f32_e32 v3, v3
	s_ashr_i32 s47, s42, 31
	v_mul_f32_e32 v2, 0x4f7ffffe, v2
	v_cvt_u32_f32_e32 v2, v2
	v_mul_lo_u32 v7, s1, v3
	v_mul_hi_u32 v7, v3, v7
	s_sub_i32 s1, 0, s52
	v_add_u32_e32 v7, v3, v7
	v_mul_lo_u32 v3, s1, v2
	v_mul_hi_u32 v3, v2, v3
	s_ashr_i32 s49, s3, 31
	s_ashr_i32 s50, s33, 31
	;; [unrolled: 1-line block ×4, first 2 shown]
	v_add_u32_e32 v8, v2, v3
	s_lshl_b32 s55, s14, 2
	s_lshl_b32 s56, s14, 1
	s_sub_i32 s57, 0, s3
	s_sub_i32 s58, 0, s0
	s_mov_b64 s[38:39], 0
	v_mov_b32_e32 v9, s27
	v_mov_b32_e32 v10, s25
	s_mov_b32 s25, 1.0
	v_mov_b32_e32 v11, s17
	v_mov_b32_e32 v12, s21
	;; [unrolled: 1-line block ×3, first 2 shown]
.LBB57_2:                               ; =>This Inner Loop Header: Depth=1
	v_sub_u32_e32 v3, 0, v0
	v_max_i32_e32 v3, v0, v3
	v_mul_hi_u32 v16, v3, v1
	v_mul_hi_u32 v18, v3, v5
	v_mul_lo_u32 v21, v16, s41
	v_mul_lo_u32 v23, v18, s46
	v_sub_u32_e32 v21, v3, v21
	v_mul_hi_u32 v20, v3, v8
	v_add_u32_e32 v22, 1, v16
	v_sub_u32_e32 v23, v3, v23
	v_cmp_le_u32_e32 vcc, s41, v21
	v_add_u32_e32 v24, 1, v18
	v_mul_lo_u32 v25, v20, s52
	v_cndmask_b32_e32 v16, v16, v22, vcc
	v_subrev_u32_e32 v22, s41, v21
	v_cmp_le_u32_e64 s[0:1], s46, v23
	v_sub_u32_e32 v3, v3, v25
	v_cndmask_b32_e64 v18, v18, v24, s[0:1]
	v_subrev_u32_e32 v24, s46, v23
	v_cndmask_b32_e32 v21, v21, v22, vcc
	v_add_u32_e32 v26, 1, v20
	v_cmp_le_u32_e64 s[2:3], s52, v3
	v_subrev_u32_e32 v25, s52, v3
	v_add_u32_e32 v22, 1, v16
	v_cndmask_b32_e64 v23, v23, v24, s[0:1]
	v_cmp_le_u32_e32 vcc, s41, v21
	v_ashrrev_i32_e32 v14, 31, v0
	v_cndmask_b32_e64 v20, v20, v26, s[2:3]
	v_add_u32_e32 v24, 1, v18
	v_cndmask_b32_e64 v3, v3, v25, s[2:3]
	v_cndmask_b32_e32 v16, v16, v22, vcc
	v_cmp_le_u32_e32 vcc, s46, v23
	v_xor_b32_e32 v2, s45, v14
	v_xor_b32_e32 v15, s49, v14
	v_add_u32_e32 v25, 1, v20
	v_cndmask_b32_e32 v18, v18, v24, vcc
	v_cmp_le_u32_e32 vcc, s52, v3
	v_xor_b32_e32 v14, s54, v14
	v_cndmask_b32_e32 v3, v20, v25, vcc
	v_xor_b32_e32 v16, v16, v2
	v_xor_b32_e32 v18, v18, v15
	v_lshlrev_b32_e32 v17, 2, v2
	v_lshlrev_b32_e32 v19, 1, v2
	v_xor_b32_e32 v3, v3, v14
	v_sub_u32_e32 v20, v16, v2
	v_lshlrev_b32_e32 v2, 2, v16
	v_sub_u32_e32 v18, v18, v15
	v_lshlrev_b32_e32 v15, 1, v16
	v_sub_u32_e32 v16, v3, v14
	v_sub_u32_e32 v17, v2, v17
	v_mad_u64_u32 v[2:3], s[0:1], s57, v18, v[0:1]
	v_mul_lo_u32 v21, s55, v20
	v_mul_lo_u32 v20, s56, v20
	v_sub_u32_e32 v3, v15, v19
	v_mad_u64_u32 v[14:15], s[0:1], s58, v16, v[0:1]
	v_mul_lo_u32 v2, v2, s29
	v_add_u32_e32 v15, v0, v21
	v_or_b32_e32 v19, 1, v17
	v_or_b32_e32 v22, 2, v17
	;; [unrolled: 1-line block ×3, first 2 shown]
	v_add_u32_e32 v17, 4, v17
	v_add_u32_e32 v24, v0, v20
	v_or_b32_e32 v25, 1, v3
	v_add_u32_e32 v26, 2, v3
	v_mad_u64_u32 v[2:3], s[0:1], v18, s28, v[2:3]
	v_mul_lo_u32 v14, v14, s35
	v_ashrrev_i32_e32 v27, 31, v15
	v_mul_lo_u32 v28, s14, v17
	v_ashrrev_i32_e32 v17, 31, v24
	v_ashrrev_i32_e32 v3, 31, v2
	v_mul_lo_u32 v22, s14, v22
	v_mad_u64_u32 v[14:15], s[0:1], v16, s34, v[14:15]
	v_add3_u32 v16, v27, v21, v0
	v_add3_u32 v33, v17, v20, v0
	v_lshlrev_b64 v[2:3], 1, v[2:3]
	v_mul_lo_u32 v23, s14, v23
	v_xor_b32_e32 v18, s47, v27
	v_add_u32_e32 v29, v0, v22
	v_ashrrev_i32_e32 v15, 31, v14
	v_xor_b32_e32 v27, v16, v27
	v_xor_b32_e32 v33, v33, v17
	v_add_co_u32_e32 v16, vcc, s24, v2
	v_mul_lo_u32 v19, s14, v19
	v_add_u32_e32 v30, v0, v23
	v_xor_b32_e32 v32, s50, v17
	v_xor_b32_e32 v36, s53, v17
	v_ashrrev_i32_e32 v29, 31, v29
	v_lshlrev_b64 v[14:15], 1, v[14:15]
	v_addc_co_u32_e32 v17, vcc, v10, v3, vcc
	v_mul_hi_u32 v46, v33, v6
	v_mul_lo_u32 v24, s14, v25
	v_mul_lo_u32 v25, s14, v26
	v_add_u32_e32 v26, v0, v19
	v_ashrrev_i32_e32 v30, 31, v30
	v_mul_hi_u32 v37, v27, v4
	v_add3_u32 v41, v29, v22, v0
	v_add_co_u32_e32 v2, vcc, s30, v14
	global_load_ushort v14, v[16:17], off
	v_mul_lo_u32 v16, v46, s48
	v_add_u32_e32 v31, v0, v28
	v_add_u32_e32 v34, v0, v24
	v_ashrrev_i32_e32 v26, 31, v26
	v_xor_b32_e32 v40, s47, v29
	v_add3_u32 v43, v30, v23, v0
	v_addc_co_u32_e32 v3, vcc, v13, v15, vcc
	v_mul_lo_u32 v15, v37, s44
	v_xor_b32_e32 v29, v41, v29
	v_sub_u32_e32 v16, v33, v16
	v_add_u32_e32 v35, v0, v25
	v_ashrrev_i32_e32 v31, 31, v31
	v_ashrrev_i32_e32 v34, 31, v34
	v_add3_u32 v39, v26, v19, v0
	v_xor_b32_e32 v42, s47, v30
	v_mul_hi_u32 v51, v33, v7
	v_xor_b32_e32 v30, v43, v30
	v_add_u32_e32 v17, 1, v46
	v_sub_u32_e32 v15, v27, v15
	v_mul_hi_u32 v43, v29, v4
	v_cmp_le_u32_e64 s[0:1], s48, v16
	v_ashrrev_i32_e32 v35, 31, v35
	v_xor_b32_e32 v38, s47, v26
	v_add3_u32 v45, v31, v28, v0
	v_add3_u32 v48, v34, v24, v0
	v_add_u32_e32 v54, 1, v37
	v_xor_b32_e32 v26, v39, v26
	v_mul_lo_u32 v39, v51, s51
	v_cmp_le_u32_e32 vcc, s44, v15
	v_cndmask_b32_e64 v17, v46, v17, s[0:1]
	v_mul_lo_u32 v46, v43, s44
	v_xor_b32_e32 v44, s47, v31
	v_xor_b32_e32 v47, s50, v34
	v_add3_u32 v50, v35, v25, v0
	v_xor_b32_e32 v52, s53, v34
	v_xor_b32_e32 v31, v45, v31
	;; [unrolled: 1-line block ×3, first 2 shown]
	v_mul_hi_u32 v27, v26, v4
	v_mul_hi_u32 v45, v30, v4
	v_sub_u32_e32 v33, v33, v39
	v_cndmask_b32_e32 v37, v37, v54, vcc
	v_subrev_u32_e32 v54, s44, v15
	v_sub_u32_e32 v29, v29, v46
	v_subrev_u32_e32 v46, s48, v16
	v_xor_b32_e32 v49, s50, v35
	v_xor_b32_e32 v53, s53, v35
	;; [unrolled: 1-line block ×3, first 2 shown]
	v_mul_hi_u32 v48, v31, v4
	v_mul_hi_u32 v50, v34, v6
	v_mul_hi_u32 v39, v34, v7
	v_mul_lo_u32 v57, v27, s44
	v_cmp_le_u32_e64 s[2:3], s51, v33
	v_cndmask_b32_e32 v15, v15, v54, vcc
	v_mul_lo_u32 v54, v45, s44
	v_cndmask_b32_e64 v16, v16, v46, s[0:1]
	v_subrev_u32_e32 v46, s51, v33
	v_mul_hi_u32 v55, v35, v6
	v_mul_hi_u32 v56, v35, v7
	v_sub_u32_e32 v26, v26, v57
	v_mul_lo_u32 v57, v48, s44
	v_sub_u32_e32 v30, v30, v54
	v_mul_lo_u32 v54, v50, s48
	v_cndmask_b32_e64 v33, v33, v46, s[2:3]
	v_mul_lo_u32 v46, v39, s51
	v_sub_u32_e32 v31, v31, v57
	v_mul_lo_u32 v57, v55, s48
	v_sub_u32_e32 v54, v34, v54
	v_sub_u32_e32 v34, v34, v46
	v_mul_lo_u32 v46, v56, s51
	v_sub_u32_e32 v57, v35, v57
	v_sub_u32_e32 v35, v35, v46
	v_add_u32_e32 v46, 1, v37
	v_cmp_le_u32_e32 vcc, s44, v15
	v_cndmask_b32_e32 v37, v37, v46, vcc
	v_add_u32_e32 v46, 1, v48
	v_cmp_le_u32_e64 s[4:5], s44, v31
	v_add_u32_e32 v41, 1, v51
	v_add_u32_e32 v58, 1, v27
	v_cmp_le_u32_e32 vcc, s44, v26
	v_cndmask_b32_e64 v46, v48, v46, s[4:5]
	v_add_u32_e32 v48, 1, v17
	v_cmp_le_u32_e64 s[6:7], s48, v16
	v_cndmask_b32_e64 v41, v51, v41, s[2:3]
	v_add_u32_e32 v51, 1, v43
	v_cndmask_b32_e32 v27, v27, v58, vcc
	v_add_u32_e32 v58, 1, v50
	v_cmp_le_u32_e64 s[0:1], s44, v29
	v_cndmask_b32_e64 v17, v17, v48, s[6:7]
	v_cmp_le_u32_e64 s[6:7], s48, v54
	v_cndmask_b32_e64 v43, v43, v51, s[0:1]
	v_add_u32_e32 v51, 1, v55
	v_cndmask_b32_e64 v50, v50, v58, s[6:7]
	v_subrev_u32_e32 v58, s44, v26
	v_cmp_le_u32_e64 s[8:9], s48, v57
	v_add_u32_e32 v15, 1, v45
	v_cmp_le_u32_e64 s[2:3], s44, v30
	v_add_u32_e32 v48, 1, v41
	v_cndmask_b32_e64 v51, v55, v51, s[8:9]
	v_subrev_u32_e32 v55, s44, v29
	v_cmp_le_u32_e64 s[10:11], s51, v33
	v_subrev_u32_e32 v33, s44, v30
	v_cndmask_b32_e32 v26, v26, v58, vcc
	v_cndmask_b32_e64 v15, v45, v15, s[2:3]
	v_add_u32_e32 v45, 1, v39
	v_cndmask_b32_e64 v41, v41, v48, s[10:11]
	v_subrev_u32_e32 v48, s44, v31
	v_cmp_le_u32_e64 s[10:11], s51, v34
	v_cndmask_b32_e64 v29, v29, v55, s[0:1]
	v_cndmask_b32_e64 v30, v30, v33, s[2:3]
	v_add_u32_e32 v33, 1, v27
	v_cmp_le_u32_e32 vcc, s44, v26
	v_add_u32_e32 v16, 1, v56
	v_cndmask_b32_e64 v39, v39, v45, s[10:11]
	v_subrev_u32_e32 v45, s48, v54
	v_cmp_le_u32_e64 s[12:13], s51, v35
	v_cndmask_b32_e64 v31, v31, v48, s[4:5]
	v_add_u32_e32 v48, 1, v43
	v_cndmask_b32_e32 v27, v27, v33, vcc
	v_cmp_le_u32_e32 vcc, s44, v29
	v_cndmask_b32_e64 v16, v56, v16, s[12:13]
	v_subrev_u32_e32 v56, s48, v57
	v_cndmask_b32_e64 v45, v54, v45, s[6:7]
	v_add_u32_e32 v54, 1, v15
	v_cndmask_b32_e32 v29, v43, v48, vcc
	v_cmp_le_u32_e32 vcc, s44, v30
	v_subrev_u32_e32 v58, s51, v34
	v_cndmask_b32_e64 v56, v57, v56, s[8:9]
	v_add_u32_e32 v57, 1, v46
	v_cndmask_b32_e32 v15, v15, v54, vcc
	v_cmp_le_u32_e32 vcc, s44, v31
	v_subrev_u32_e32 v55, s51, v35
	v_xor_b32_e32 v17, v17, v32
	v_cndmask_b32_e64 v34, v34, v58, s[10:11]
	v_add_u32_e32 v58, 1, v50
	v_cndmask_b32_e32 v30, v46, v57, vcc
	v_cmp_le_u32_e32 vcc, s48, v45
	v_xor_b32_e32 v37, v37, v18
	v_cndmask_b32_e64 v35, v35, v55, s[12:13]
	v_add_u32_e32 v55, 1, v51
	v_sub_u32_e32 v31, v17, v32
	v_cndmask_b32_e32 v17, v50, v58, vcc
	v_cmp_le_u32_e32 vcc, s48, v56
	v_sub_u32_e32 v37, v37, v18
	v_add_u32_e32 v18, 1, v39
	v_cndmask_b32_e32 v32, v51, v55, vcc
	v_cmp_le_u32_e32 vcc, s51, v34
	v_xor_b32_e32 v41, v41, v36
	v_add_u32_e32 v26, 1, v16
	v_cndmask_b32_e32 v18, v39, v18, vcc
	v_cmp_le_u32_e32 vcc, s51, v35
	v_sub_u32_e32 v33, v41, v36
	v_cndmask_b32_e32 v16, v16, v26, vcc
	v_mul_lo_u32 v26, v37, s42
	v_xor_b32_e32 v27, v27, v38
	v_xor_b32_e32 v29, v29, v40
	v_mul_lo_u32 v34, v31, s33
	v_xor_b32_e32 v17, v17, v47
	v_mul_lo_u32 v35, v33, s40
	v_xor_b32_e32 v16, v16, v53
	v_sub_u32_e32 v21, v21, v26
	v_xor_b32_e32 v15, v15, v42
	v_xor_b32_e32 v30, v30, v44
	;; [unrolled: 1-line block ×3, first 2 shown]
	v_sub_u32_e32 v27, v27, v38
	v_sub_u32_e32 v29, v29, v40
	;; [unrolled: 1-line block ×6, first 2 shown]
	v_add_u32_e32 v16, v0, v21
	v_xor_b32_e32 v32, v32, v49
	v_sub_u32_e32 v15, v15, v42
	v_sub_u32_e32 v30, v30, v44
	;; [unrolled: 1-line block ×3, first 2 shown]
	v_mul_lo_u32 v18, v27, s42
	v_mul_lo_u32 v20, v29, s42
	v_add_u32_e32 v17, v0, v17
	v_mul_lo_u32 v16, v16, s37
	v_sub_u32_e32 v32, v32, v49
	v_mul_lo_u32 v21, v15, s42
	v_mul_lo_u32 v38, v30, s42
	v_sub_u32_e32 v19, v19, v18
	v_sub_u32_e32 v22, v22, v20
	v_mul_lo_u32 v20, v17, s23
	v_mad_u64_u32 v[16:17], s[0:1], v37, s36, v[16:17]
	v_mul_lo_u32 v39, v34, s33
	v_mul_lo_u32 v40, v32, s33
	;; [unrolled: 1-line block ×3, first 2 shown]
	v_sub_u32_e32 v21, v23, v21
	v_sub_u32_e32 v23, v28, v38
	v_add_u32_e32 v19, v0, v19
	v_ashrrev_i32_e32 v17, 31, v16
	v_sub_u32_e32 v38, v24, v39
	v_sub_u32_e32 v39, v25, v40
	;; [unrolled: 1-line block ×3, first 2 shown]
	v_add_u32_e32 v24, v0, v22
	v_add_u32_e32 v23, v0, v23
	v_mul_lo_u32 v22, v19, s37
	v_lshlrev_b64 v[16:17], 1, v[16:17]
	v_add_u32_e32 v26, v0, v26
	v_add_u32_e32 v21, v0, v21
	v_mul_lo_u32 v28, v23, s37
	v_mad_u64_u32 v[22:23], s[0:1], v27, s36, v[22:23]
	v_add_co_u32_e32 v16, vcc, s26, v16
	v_mul_lo_u32 v42, v36, s40
	v_mul_lo_u32 v18, v26, s19
	;; [unrolled: 1-line block ×4, first 2 shown]
	v_addc_co_u32_e32 v17, vcc, v9, v17, vcc
	v_ashrrev_i32_e32 v23, 31, v22
	v_sub_u32_e32 v41, v25, v42
	v_mad_u64_u32 v[24:25], s[0:1], v29, s36, v[24:25]
	v_mad_u64_u32 v[26:27], s[0:1], v15, s36, v[26:27]
	global_load_ushort v15, v[16:17], off
	v_lshlrev_b64 v[16:17], 1, v[22:23]
	v_ashrrev_i32_e32 v25, 31, v24
	v_add_co_u32_e32 v16, vcc, s26, v16
	v_lshlrev_b64 v[22:23], 1, v[24:25]
	v_addc_co_u32_e32 v17, vcc, v9, v17, vcc
	v_ashrrev_i32_e32 v27, 31, v26
	v_add_co_u32_e32 v22, vcc, s26, v22
	v_mad_u64_u32 v[28:29], s[0:1], v30, s36, v[28:29]
	v_lshlrev_b64 v[24:25], 1, v[26:27]
	v_addc_co_u32_e32 v23, vcc, v9, v23, vcc
	v_ashrrev_i32_e32 v29, 31, v28
	v_add_co_u32_e32 v24, vcc, s26, v24
	v_lshlrev_b64 v[26:27], 1, v[28:29]
	v_addc_co_u32_e32 v25, vcc, v9, v25, vcc
	v_add_co_u32_e32 v26, vcc, s26, v26
	v_addc_co_u32_e32 v27, vcc, v9, v27, vcc
	global_load_ushort v28, v[24:25], off
	global_load_ushort v29, v[22:23], off
	;; [unrolled: 1-line block ×4, first 2 shown]
	v_mad_u64_u32 v[16:17], s[0:1], v31, s18, v[18:19]
	v_add_u32_e32 v21, v0, v38
	v_add_u32_e32 v22, v0, v39
	;; [unrolled: 1-line block ×5, first 2 shown]
	v_ashrrev_i32_e32 v17, 31, v16
	v_mad_u64_u32 v[18:19], s[0:1], v33, s22, v[20:21]
	v_cmp_le_i32_e32 vcc, s15, v0
	v_lshlrev_b64 v[16:17], 1, v[16:17]
	v_mul_lo_u32 v20, v21, s19
	v_ashrrev_i32_e32 v19, 31, v18
	s_or_b64 s[38:39], vcc, s[38:39]
	v_add_co_u32_e32 v16, vcc, s16, v16
	v_mad_u64_u32 v[20:21], s[0:1], v34, s18, v[20:21]
	v_lshlrev_b64 v[18:19], 1, v[18:19]
	v_addc_co_u32_e32 v17, vcc, v11, v17, vcc
	v_mul_lo_u32 v22, v22, s19
	v_ashrrev_i32_e32 v21, 31, v20
	v_add_co_u32_e32 v18, vcc, s20, v18
	s_waitcnt vmcnt(5)
	v_cvt_f32_f16_e32 v31, v14
	v_mul_lo_u32 v24, v23, s23
	v_mad_u64_u32 v[22:23], s[0:1], v32, s18, v[22:23]
	v_addc_co_u32_e32 v19, vcc, v12, v19, vcc
	v_lshlrev_b64 v[20:21], 1, v[20:21]
	v_mul_lo_u32 v26, v25, s23
	v_mad_u64_u32 v[24:25], s[0:1], v35, s22, v[24:25]
	v_ashrrev_i32_e32 v23, 31, v22
	v_add_co_u32_e32 v20, vcc, s16, v20
	v_lshlrev_b64 v[22:23], 1, v[22:23]
	v_addc_co_u32_e32 v21, vcc, v11, v21, vcc
	v_ashrrev_i32_e32 v25, 31, v24
	v_add_co_u32_e32 v22, vcc, s16, v22
	v_mad_u64_u32 v[26:27], s[0:1], v36, s22, v[26:27]
	v_lshlrev_b64 v[24:25], 1, v[24:25]
	v_addc_co_u32_e32 v23, vcc, v11, v23, vcc
	v_ashrrev_i32_e32 v27, 31, v26
	v_add_co_u32_e32 v24, vcc, s20, v24
	s_waitcnt vmcnt(4)
	v_cvt_f32_f16_e32 v32, v15
	v_lshlrev_b64 v[26:27], 1, v[26:27]
	v_addc_co_u32_e32 v25, vcc, v12, v25, vcc
	v_sub_f32_e32 v32, 1.0, v32
	v_add_co_u32_e32 v26, vcc, s20, v26
	v_addc_co_u32_e32 v27, vcc, v12, v27, vcc
	s_waitcnt vmcnt(3)
	v_cvt_f32_f16_e32 v28, v28
	s_waitcnt vmcnt(2)
	v_cvt_f32_f16_e32 v33, v29
	;; [unrolled: 2-line block ×4, first 2 shown]
	v_fma_mix_f32 v29, -v29, v29, s25 op_sel_hi:[1,1,0]
	v_sub_f32_e32 v28, v28, v33
	v_sub_f32_e32 v33, 1.0, v34
	v_mul_f32_e32 v28, v28, v31
	v_mul_f32_e32 v31, v33, v31
	;; [unrolled: 1-line block ×4, first 2 shown]
	v_fma_mixlo_f16 v29, v29, v31, 0
	v_mul_f32_e32 v31, v33, v35
	v_mul_f32_e32 v31, v32, v31
	v_mul_f16_e32 v14, v30, v14
	v_fma_mixlo_f16 v28, v28, v30, 0 op_sel_hi:[0,1,0]
	v_fma_mixlo_f16 v30, v33, v15, 0 op_sel_hi:[0,1,0]
	;; [unrolled: 1-line block ×3, first 2 shown]
	global_store_short v[16:17], v15, off
	global_store_short v[20:21], v28, off
	;; [unrolled: 1-line block ×7, first 2 shown]
	s_andn2_b64 exec, exec, s[38:39]
	s_cbranch_execnz .LBB57_2
.LBB57_3:
	s_endpgm
	.section	.rodata,"a",@progbits
	.p2align	6, 0x0
	.amdhsa_kernel _ZN2at6native12_GLOBAL__N_16kernel17gru_cell_backwardIN3c104HalfEfiLi2EEEvNS_4cuda6detail10TensorInfoIT_T1_EESB_SB_SB_SB_SA_SA_
		.amdhsa_group_segment_fixed_size 0
		.amdhsa_private_segment_fixed_size 0
		.amdhsa_kernarg_size 1344
		.amdhsa_user_sgpr_count 6
		.amdhsa_user_sgpr_private_segment_buffer 1
		.amdhsa_user_sgpr_dispatch_ptr 0
		.amdhsa_user_sgpr_queue_ptr 0
		.amdhsa_user_sgpr_kernarg_segment_ptr 1
		.amdhsa_user_sgpr_dispatch_id 0
		.amdhsa_user_sgpr_flat_scratch_init 0
		.amdhsa_user_sgpr_kernarg_preload_length 0
		.amdhsa_user_sgpr_kernarg_preload_offset 0
		.amdhsa_user_sgpr_private_segment_size 0
		.amdhsa_uses_dynamic_stack 0
		.amdhsa_system_sgpr_private_segment_wavefront_offset 0
		.amdhsa_system_sgpr_workgroup_id_x 1
		.amdhsa_system_sgpr_workgroup_id_y 0
		.amdhsa_system_sgpr_workgroup_id_z 0
		.amdhsa_system_sgpr_workgroup_info 0
		.amdhsa_system_vgpr_workitem_id 0
		.amdhsa_next_free_vgpr 59
		.amdhsa_next_free_sgpr 59
		.amdhsa_accum_offset 60
		.amdhsa_reserve_vcc 1
		.amdhsa_reserve_flat_scratch 0
		.amdhsa_float_round_mode_32 0
		.amdhsa_float_round_mode_16_64 0
		.amdhsa_float_denorm_mode_32 3
		.amdhsa_float_denorm_mode_16_64 3
		.amdhsa_dx10_clamp 1
		.amdhsa_ieee_mode 1
		.amdhsa_fp16_overflow 0
		.amdhsa_tg_split 0
		.amdhsa_exception_fp_ieee_invalid_op 0
		.amdhsa_exception_fp_denorm_src 0
		.amdhsa_exception_fp_ieee_div_zero 0
		.amdhsa_exception_fp_ieee_overflow 0
		.amdhsa_exception_fp_ieee_underflow 0
		.amdhsa_exception_fp_ieee_inexact 0
		.amdhsa_exception_int_div_zero 0
	.end_amdhsa_kernel
	.section	.text._ZN2at6native12_GLOBAL__N_16kernel17gru_cell_backwardIN3c104HalfEfiLi2EEEvNS_4cuda6detail10TensorInfoIT_T1_EESB_SB_SB_SB_SA_SA_,"axG",@progbits,_ZN2at6native12_GLOBAL__N_16kernel17gru_cell_backwardIN3c104HalfEfiLi2EEEvNS_4cuda6detail10TensorInfoIT_T1_EESB_SB_SB_SB_SA_SA_,comdat
.Lfunc_end57:
	.size	_ZN2at6native12_GLOBAL__N_16kernel17gru_cell_backwardIN3c104HalfEfiLi2EEEvNS_4cuda6detail10TensorInfoIT_T1_EESB_SB_SB_SB_SA_SA_, .Lfunc_end57-_ZN2at6native12_GLOBAL__N_16kernel17gru_cell_backwardIN3c104HalfEfiLi2EEEvNS_4cuda6detail10TensorInfoIT_T1_EESB_SB_SB_SB_SA_SA_
                                        ; -- End function
	.section	.AMDGPU.csdata,"",@progbits
; Kernel info:
; codeLenInByte = 2800
; NumSgprs: 63
; NumVgprs: 59
; NumAgprs: 0
; TotalNumVgprs: 59
; ScratchSize: 0
; MemoryBound: 0
; FloatMode: 240
; IeeeMode: 1
; LDSByteSize: 0 bytes/workgroup (compile time only)
; SGPRBlocks: 7
; VGPRBlocks: 7
; NumSGPRsForWavesPerEU: 63
; NumVGPRsForWavesPerEU: 59
; AccumOffset: 60
; Occupancy: 8
; WaveLimiterHint : 1
; COMPUTE_PGM_RSRC2:SCRATCH_EN: 0
; COMPUTE_PGM_RSRC2:USER_SGPR: 6
; COMPUTE_PGM_RSRC2:TRAP_HANDLER: 0
; COMPUTE_PGM_RSRC2:TGID_X_EN: 1
; COMPUTE_PGM_RSRC2:TGID_Y_EN: 0
; COMPUTE_PGM_RSRC2:TGID_Z_EN: 0
; COMPUTE_PGM_RSRC2:TIDIG_COMP_CNT: 0
; COMPUTE_PGM_RSRC3_GFX90A:ACCUM_OFFSET: 14
; COMPUTE_PGM_RSRC3_GFX90A:TG_SPLIT: 0
	.section	.text._ZN2at6native12_GLOBAL__N_16kernel17gru_cell_backwardIN3c104HalfEflLi1EEEvNS_4cuda6detail10TensorInfoIT_T1_EESB_SB_SB_SB_SA_SA_,"axG",@progbits,_ZN2at6native12_GLOBAL__N_16kernel17gru_cell_backwardIN3c104HalfEflLi1EEEvNS_4cuda6detail10TensorInfoIT_T1_EESB_SB_SB_SB_SA_SA_,comdat
	.globl	_ZN2at6native12_GLOBAL__N_16kernel17gru_cell_backwardIN3c104HalfEflLi1EEEvNS_4cuda6detail10TensorInfoIT_T1_EESB_SB_SB_SB_SA_SA_ ; -- Begin function _ZN2at6native12_GLOBAL__N_16kernel17gru_cell_backwardIN3c104HalfEflLi1EEEvNS_4cuda6detail10TensorInfoIT_T1_EESB_SB_SB_SB_SA_SA_
	.p2align	8
	.type	_ZN2at6native12_GLOBAL__N_16kernel17gru_cell_backwardIN3c104HalfEflLi1EEEvNS_4cuda6detail10TensorInfoIT_T1_EESB_SB_SB_SB_SA_SA_,@function
_ZN2at6native12_GLOBAL__N_16kernel17gru_cell_backwardIN3c104HalfEflLi1EEEvNS_4cuda6detail10TensorInfoIT_T1_EESB_SB_SB_SB_SA_SA_: ; @_ZN2at6native12_GLOBAL__N_16kernel17gru_cell_backwardIN3c104HalfEflLi1EEEvNS_4cuda6detail10TensorInfoIT_T1_EESB_SB_SB_SB_SA_SA_
; %bb.0:
	s_load_dword s2, s[4:5], 0x83c
	s_load_dwordx4 s[8:11], s[4:5], 0x820
	s_add_u32 s0, s4, 0x830
	s_addc_u32 s1, s5, 0
	v_mov_b32_e32 v2, 0
	s_waitcnt lgkmcnt(0)
	s_and_b32 s20, s2, 0xffff
	s_mul_i32 s6, s6, s20
	v_add_u32_e32 v0, s6, v0
	v_mov_b32_e32 v1, v2
	v_cmp_gt_i64_e32 vcc, s[10:11], v[0:1]
	s_and_saveexec_b64 s[2:3], vcc
	s_cbranch_execz .LBB58_7
; %bb.1:
	s_load_dwordx2 s[2:3], s[4:5], 0x0
	s_load_dwordx2 s[6:7], s[4:5], 0xd0
	;; [unrolled: 1-line block ×4, first 2 shown]
	s_load_dword s21, s[0:1], 0x0
	s_load_dwordx2 s[22:23], s[4:5], 0x340
	s_load_dwordx2 s[24:25], s[4:5], 0x410
	;; [unrolled: 1-line block ×6, first 2 shown]
	s_waitcnt lgkmcnt(0)
	v_mul_lo_u32 v3, 0, s24
	v_mul_lo_u32 v6, v0, s25
	v_mad_u64_u32 v[4:5], s[0:1], v0, s24, 0
	s_mul_i32 s33, s21, s20
	v_add3_u32 v5, v5, v6, v3
	v_lshlrev_b64 v[4:5], 1, v[4:5]
	s_mul_i32 s0, s33, s25
	s_mul_hi_u32 s1, s33, s24
	v_mov_b32_e32 v3, s23
	v_add_co_u32_e32 v4, vcc, s22, v4
	s_add_i32 s1, s1, s0
	s_mul_i32 s0, s33, s24
	v_addc_co_u32_e32 v5, vcc, v3, v5, vcc
	s_lshl_b64 s[22:23], s[0:1], 1
	v_mul_lo_u32 v3, 0, s28
	v_mul_lo_u32 v8, v0, s29
	v_mad_u64_u32 v[6:7], s[0:1], v0, s28, 0
	v_add3_u32 v7, v7, v8, v3
	v_lshlrev_b64 v[6:7], 1, v[6:7]
	s_mul_i32 s0, s33, s29
	s_mul_hi_u32 s1, s33, s28
	v_mov_b32_e32 v3, s27
	v_add_co_u32_e32 v6, vcc, s26, v6
	s_add_i32 s1, s1, s0
	s_mul_i32 s0, s33, s28
	s_mov_b32 s36, 0
	s_lshl_b64 s[4:5], s[8:9], 2
	s_lshl_b64 s[20:21], s[8:9], 1
	v_addc_co_u32_e32 v7, vcc, v3, v7, vcc
	s_lshl_b64 s[24:25], s[0:1], 1
	s_mov_b64 s[26:27], 0
	s_ashr_i32 s28, s9, 31
	s_mov_b32 s37, 1.0
	s_branch .LBB58_3
.LBB58_2:                               ;   in Loop: Header=BB58_3 Depth=1
	s_or_b64 exec, exec, s[0:1]
	v_mad_u64_u32 v[10:11], s[0:1], s4, v8, v[0:1]
	v_mul_lo_u32 v3, s4, v9
	v_mul_lo_u32 v12, s5, v8
	v_add3_u32 v3, v12, v11, v3
	v_mul_lo_u32 v12, v10, s19
	v_mul_lo_u32 v3, v3, s18
	v_mad_u64_u32 v[10:11], s[0:1], v10, s18, 0
	v_add3_u32 v11, v11, v12, v3
	v_lshlrev_b64 v[12:13], 2, v[8:9]
	v_or_b32_e32 v14, 1, v12
	v_mul_lo_u32 v20, s8, v13
	v_mul_lo_u32 v16, s9, v14
	v_mad_u64_u32 v[14:15], s[0:1], s8, v14, v[0:1]
	v_add3_u32 v15, v16, v15, v20
	v_mul_lo_u32 v16, v15, s18
	v_mul_lo_u32 v17, v14, s19
	v_mad_u64_u32 v[14:15], s[0:1], v14, s18, 0
	v_add3_u32 v15, v15, v17, v16
	v_or_b32_e32 v16, 2, v12
	v_mul_lo_u32 v18, s9, v16
	v_mad_u64_u32 v[16:17], s[0:1], s8, v16, v[0:1]
	v_add3_u32 v17, v18, v17, v20
	v_lshlrev_b64 v[10:11], 1, v[10:11]
	v_mul_lo_u32 v18, v17, s18
	v_mul_lo_u32 v19, v16, s19
	v_mad_u64_u32 v[16:17], s[0:1], v16, s18, 0
	v_mov_b32_e32 v3, s17
	v_add_co_u32_e32 v10, vcc, s16, v10
	v_add3_u32 v17, v17, v19, v18
	v_or_b32_e32 v18, 3, v12
	v_addc_co_u32_e32 v11, vcc, v3, v11, vcc
	v_lshlrev_b64 v[14:15], 1, v[14:15]
	v_mul_lo_u32 v21, s9, v18
	v_mad_u64_u32 v[18:19], s[0:1], s8, v18, v[0:1]
	v_add_co_u32_e32 v14, vcc, s16, v14
	v_add3_u32 v19, v21, v19, v20
	v_addc_co_u32_e32 v15, vcc, v3, v15, vcc
	v_lshlrev_b64 v[16:17], 1, v[16:17]
	v_mul_lo_u32 v20, v19, s18
	v_mul_lo_u32 v21, v18, s19
	v_mad_u64_u32 v[18:19], s[0:1], v18, s18, 0
	v_add_co_u32_e32 v16, vcc, s16, v16
	v_add3_u32 v19, v19, v21, v20
	v_addc_co_u32_e32 v17, vcc, v3, v17, vcc
	v_lshlrev_b64 v[18:19], 1, v[18:19]
	v_add_co_u32_e32 v18, vcc, s16, v18
	v_addc_co_u32_e32 v19, vcc, v3, v19, vcc
	v_add_co_u32_e32 v12, vcc, 4, v12
	v_addc_co_u32_e32 v13, vcc, 0, v13, vcc
	global_load_ushort v20, v[14:15], off
	global_load_ushort v21, v[16:17], off
	;; [unrolled: 1-line block ×3, first 2 shown]
	v_mul_lo_u32 v14, s8, v13
	v_mul_lo_u32 v15, s9, v12
	v_mad_u64_u32 v[12:13], s[0:1], s8, v12, v[0:1]
	v_add3_u32 v13, v15, v13, v14
	v_mul_lo_u32 v14, v13, s18
	v_mul_lo_u32 v15, v12, s19
	global_load_ushort v16, v[4:5], off
	v_mad_u64_u32 v[12:13], s[0:1], v12, s18, 0
	v_add3_u32 v13, v13, v15, v14
	v_lshlrev_b64 v[12:13], 1, v[12:13]
	v_add_co_u32_e32 v12, vcc, s16, v12
	v_addc_co_u32_e32 v13, vcc, v3, v13, vcc
	global_load_ushort v3, v[12:13], off
	global_load_ushort v17, v[10:11], off
	v_mad_u64_u32 v[10:11], s[0:1], s20, v8, v[0:1]
	v_mul_lo_u32 v12, s20, v9
	v_mul_lo_u32 v13, s21, v8
	v_add3_u32 v11, v13, v11, v12
	v_lshlrev_b64 v[8:9], 1, v[8:9]
	s_waitcnt vmcnt(5)
	v_cvt_f32_f16_e32 v19, v20
	s_waitcnt vmcnt(4)
	v_cvt_f32_f16_e32 v15, v21
	;; [unrolled: 2-line block ×3, first 2 shown]
	v_mul_lo_u32 v22, v11, s6
	v_sub_f32_e32 v13, 1.0, v19
	v_fma_mix_f32 v19, -v21, v21, s37 op_sel_hi:[1,1,0]
	v_sub_f32_e32 v12, v14, v15
	v_mul_lo_u32 v15, v10, s7
	s_waitcnt vmcnt(2)
	v_cvt_f32_f16_e32 v18, v16
	v_mul_f32_e32 v12, v12, v18
	v_mul_f32_e32 v14, v13, v12
	;; [unrolled: 1-line block ×4, first 2 shown]
	s_waitcnt vmcnt(1)
	v_cvt_f32_f16_e32 v3, v3
	s_waitcnt vmcnt(0)
	v_cvt_f32_f16_e32 v12, v17
	v_fma_mixlo_f16 v23, v14, v20, 0 op_sel_hi:[0,1,0]
	v_mul_lo_u32 v14, s8, v9
	v_mul_f32_e32 v3, v21, v3
	v_sub_f32_e32 v12, 1.0, v12
	v_mul_f32_e32 v3, v12, v3
	v_mad_u64_u32 v[12:13], s[0:1], v10, s6, 0
	v_add3_u32 v13, v13, v15, v22
	v_lshlrev_b64 v[12:13], 1, v[12:13]
	v_mov_b32_e32 v22, s3
	v_add_co_u32_e32 v12, vcc, s2, v12
	v_fma_mixlo_f16 v3, v3, v17, 0 op_sel_hi:[0,1,0]
	v_addc_co_u32_e32 v13, vcc, v22, v13, vcc
	global_store_short v[12:13], v3, off
	v_or_b32_e32 v12, 1, v8
	v_mul_lo_u32 v15, s9, v12
	v_mad_u64_u32 v[12:13], s[0:1], s8, v12, v[0:1]
	v_add3_u32 v13, v15, v13, v14
	v_mul_lo_u32 v24, v13, s6
	v_mul_lo_u32 v25, v12, s7
	v_mad_u64_u32 v[14:15], s[0:1], v12, s6, 0
	v_add3_u32 v15, v15, v25, v24
	v_lshlrev_b64 v[14:15], 1, v[14:15]
	v_add_co_u32_e32 v14, vcc, s2, v14
	v_addc_co_u32_e32 v15, vcc, v22, v15, vcc
	v_add_co_u32_e32 v8, vcc, 2, v8
	v_addc_co_u32_e32 v9, vcc, 0, v9, vcc
	global_store_short v[14:15], v23, off
	v_mul_lo_u32 v14, s8, v9
	v_mul_lo_u32 v15, s9, v8
	v_mad_u64_u32 v[8:9], s[0:1], s8, v8, v[0:1]
	v_add3_u32 v9, v15, v9, v14
	v_fma_mixlo_f16 v18, v19, v18, 0
	v_mul_lo_u32 v19, v9, s6
	v_mul_lo_u32 v24, v8, s7
	v_mad_u64_u32 v[14:15], s[0:1], v8, s6, 0
	v_add3_u32 v15, v15, v24, v19
	v_lshlrev_b64 v[14:15], 1, v[14:15]
	v_add_co_u32_e32 v14, vcc, s2, v14
	v_addc_co_u32_e32 v15, vcc, v22, v15, vcc
	global_store_short v[14:15], v18, off
	v_mul_lo_u32 v14, v10, s15
	v_mul_lo_u32 v15, v11, s14
	v_mad_u64_u32 v[10:11], s[0:1], v10, s14, 0
	v_add3_u32 v11, v11, v14, v15
	v_lshlrev_b64 v[10:11], 1, v[10:11]
	v_mov_b32_e32 v14, s13
	v_add_co_u32_e32 v10, vcc, s12, v10
	v_addc_co_u32_e32 v11, vcc, v14, v11, vcc
	global_store_short v[10:11], v3, off
	v_mul_lo_u32 v3, v13, s14
	v_mul_lo_u32 v13, v12, s15
	v_mad_u64_u32 v[10:11], s[0:1], v12, s14, 0
	v_add3_u32 v11, v11, v13, v3
	v_lshlrev_b64 v[10:11], 1, v[10:11]
	v_add_co_u32_e32 v10, vcc, s12, v10
	v_addc_co_u32_e32 v11, vcc, v14, v11, vcc
	global_store_short v[10:11], v23, off
	v_mul_lo_u32 v10, v9, s14
	v_mul_lo_u32 v11, v8, s15
	v_mad_u64_u32 v[8:9], s[0:1], v8, s14, 0
	v_add3_u32 v9, v9, v11, v10
	v_lshlrev_b64 v[8:9], 1, v[8:9]
	v_add_co_u32_e32 v8, vcc, s12, v8
	v_fma_mixlo_f16 v3, v21, v17, 0 op_sel_hi:[0,1,0]
	v_addc_co_u32_e32 v9, vcc, v14, v9, vcc
	global_store_short v[8:9], v3, off
	v_mul_f16_e32 v3, v20, v16
	global_store_short v[6:7], v3, off
	v_mov_b32_e32 v3, s36
	v_add_co_u32_e32 v0, vcc, s33, v0
	v_addc_co_u32_e32 v1, vcc, v1, v3, vcc
	v_mov_b32_e32 v3, s23
	v_add_co_u32_e32 v4, vcc, s22, v4
	v_addc_co_u32_e32 v5, vcc, v5, v3, vcc
	v_cmp_le_i64_e32 vcc, s[10:11], v[0:1]
	v_mov_b32_e32 v3, s25
	s_or_b64 s[26:27], vcc, s[26:27]
	v_add_co_u32_e32 v6, vcc, s24, v6
	v_addc_co_u32_e32 v7, vcc, v7, v3, vcc
	s_andn2_b64 exec, exec, s[26:27]
	s_cbranch_execz .LBB58_7
.LBB58_3:                               ; =>This Inner Loop Header: Depth=1
	v_or_b32_e32 v3, s9, v1
	v_cmp_ne_u64_e32 vcc, 0, v[2:3]
                                        ; implicit-def: $vgpr8_vgpr9
	s_and_saveexec_b64 s[0:1], vcc
	s_xor_b64 s[30:31], exec, s[0:1]
	s_cbranch_execz .LBB58_5
; %bb.4:                                ;   in Loop: Header=BB58_3 Depth=1
	s_add_u32 s0, s8, s28
	s_mov_b32 s29, s28
	s_addc_u32 s1, s9, s28
	s_xor_b64 s[34:35], s[0:1], s[28:29]
	v_cvt_f32_u32_e32 v3, s34
	v_cvt_f32_u32_e32 v8, s35
	s_sub_u32 s0, 0, s34
	s_subb_u32 s1, 0, s35
	v_mac_f32_e32 v3, 0x4f800000, v8
	v_rcp_f32_e32 v3, v3
	v_mul_f32_e32 v3, 0x5f7ffffc, v3
	v_mul_f32_e32 v8, 0x2f800000, v3
	v_trunc_f32_e32 v8, v8
	v_mac_f32_e32 v3, 0xcf800000, v8
	v_cvt_u32_f32_e32 v8, v8
	v_cvt_u32_f32_e32 v3, v3
	v_mul_lo_u32 v9, s0, v8
	v_mul_hi_u32 v11, s0, v3
	v_mul_lo_u32 v10, s1, v3
	v_add_u32_e32 v9, v11, v9
	v_mul_lo_u32 v12, s0, v3
	v_add_u32_e32 v9, v9, v10
	v_mul_lo_u32 v11, v3, v9
	v_mul_hi_u32 v13, v3, v12
	v_mul_hi_u32 v10, v3, v9
	v_add_co_u32_e32 v11, vcc, v13, v11
	v_addc_co_u32_e32 v10, vcc, 0, v10, vcc
	v_mul_hi_u32 v14, v8, v12
	v_mul_lo_u32 v12, v8, v12
	v_add_co_u32_e32 v11, vcc, v11, v12
	v_mul_hi_u32 v13, v8, v9
	v_addc_co_u32_e32 v10, vcc, v10, v14, vcc
	v_addc_co_u32_e32 v11, vcc, 0, v13, vcc
	v_mul_lo_u32 v9, v8, v9
	v_add_co_u32_e32 v9, vcc, v10, v9
	v_addc_co_u32_e32 v10, vcc, 0, v11, vcc
	v_add_co_u32_e32 v3, vcc, v3, v9
	v_addc_co_u32_e32 v8, vcc, v8, v10, vcc
	v_mul_lo_u32 v9, s0, v8
	v_mul_hi_u32 v10, s0, v3
	v_add_u32_e32 v9, v10, v9
	v_mul_lo_u32 v10, s1, v3
	v_add_u32_e32 v9, v9, v10
	v_mul_lo_u32 v11, s0, v3
	v_mul_hi_u32 v12, v8, v11
	v_mul_lo_u32 v13, v8, v11
	v_mul_lo_u32 v15, v3, v9
	v_mul_hi_u32 v11, v3, v11
	v_mul_hi_u32 v14, v3, v9
	v_add_co_u32_e32 v11, vcc, v11, v15
	v_addc_co_u32_e32 v14, vcc, 0, v14, vcc
	v_add_co_u32_e32 v11, vcc, v11, v13
	v_mul_hi_u32 v10, v8, v9
	v_addc_co_u32_e32 v11, vcc, v14, v12, vcc
	v_addc_co_u32_e32 v10, vcc, 0, v10, vcc
	v_mul_lo_u32 v9, v8, v9
	v_add_co_u32_e32 v9, vcc, v11, v9
	v_addc_co_u32_e32 v10, vcc, 0, v10, vcc
	v_add_co_u32_e32 v3, vcc, v3, v9
	v_addc_co_u32_e32 v10, vcc, v8, v10, vcc
	v_ashrrev_i32_e32 v12, 31, v1
	v_add_co_u32_e32 v8, vcc, v0, v12
	v_addc_co_u32_e32 v9, vcc, v1, v12, vcc
	v_xor_b32_e32 v14, v8, v12
	v_xor_b32_e32 v13, v9, v12
	v_mad_u64_u32 v[8:9], s[0:1], v14, v10, 0
	v_mul_hi_u32 v11, v14, v3
	v_add_co_u32_e32 v15, vcc, v11, v8
	v_addc_co_u32_e32 v16, vcc, 0, v9, vcc
	v_mad_u64_u32 v[8:9], s[0:1], v13, v10, 0
	v_mad_u64_u32 v[10:11], s[0:1], v13, v3, 0
	v_add_co_u32_e32 v3, vcc, v15, v10
	v_addc_co_u32_e32 v3, vcc, v16, v11, vcc
	v_addc_co_u32_e32 v9, vcc, 0, v9, vcc
	v_add_co_u32_e32 v3, vcc, v3, v8
	v_addc_co_u32_e32 v10, vcc, 0, v9, vcc
	v_mul_lo_u32 v11, s35, v3
	v_mul_lo_u32 v15, s34, v10
	v_mad_u64_u32 v[8:9], s[0:1], s34, v3, 0
	v_add3_u32 v9, v9, v15, v11
	v_sub_u32_e32 v11, v13, v9
	v_mov_b32_e32 v15, s35
	v_sub_co_u32_e32 v8, vcc, v14, v8
	v_subb_co_u32_e64 v11, s[0:1], v11, v15, vcc
	v_subrev_co_u32_e64 v14, s[0:1], s34, v8
	v_subbrev_co_u32_e64 v11, s[0:1], 0, v11, s[0:1]
	v_cmp_le_u32_e64 s[0:1], s35, v11
	v_cndmask_b32_e64 v15, 0, -1, s[0:1]
	v_cmp_le_u32_e64 s[0:1], s34, v14
	v_cndmask_b32_e64 v14, 0, -1, s[0:1]
	v_cmp_eq_u32_e64 s[0:1], s35, v11
	v_cndmask_b32_e64 v11, v15, v14, s[0:1]
	v_add_co_u32_e64 v14, s[0:1], 2, v3
	v_subb_co_u32_e32 v9, vcc, v13, v9, vcc
	v_addc_co_u32_e64 v15, s[0:1], 0, v10, s[0:1]
	v_cmp_le_u32_e32 vcc, s35, v9
	v_add_co_u32_e64 v16, s[0:1], 1, v3
	v_cndmask_b32_e64 v13, 0, -1, vcc
	v_cmp_le_u32_e32 vcc, s34, v8
	v_addc_co_u32_e64 v17, s[0:1], 0, v10, s[0:1]
	v_cndmask_b32_e64 v8, 0, -1, vcc
	v_cmp_eq_u32_e32 vcc, s35, v9
	v_cmp_ne_u32_e64 s[0:1], 0, v11
	v_cndmask_b32_e32 v8, v13, v8, vcc
	v_cmp_ne_u32_e32 vcc, 0, v8
	v_cndmask_b32_e64 v9, v16, v14, s[0:1]
	v_cndmask_b32_e64 v11, v17, v15, s[0:1]
	v_cndmask_b32_e32 v3, v3, v9, vcc
	v_xor_b32_e32 v9, s28, v12
	v_cndmask_b32_e32 v8, v10, v11, vcc
	v_xor_b32_e32 v3, v3, v9
	v_xor_b32_e32 v10, v8, v9
	v_sub_co_u32_e32 v8, vcc, v3, v9
	v_subb_co_u32_e32 v9, vcc, v10, v9, vcc
.LBB58_5:                               ;   in Loop: Header=BB58_3 Depth=1
	s_andn2_saveexec_b64 s[0:1], s[30:31]
	s_cbranch_execz .LBB58_2
; %bb.6:                                ;   in Loop: Header=BB58_3 Depth=1
	v_cvt_f32_u32_e32 v3, s8
	s_sub_i32 s29, 0, s8
	v_rcp_iflag_f32_e32 v3, v3
	v_mul_f32_e32 v3, 0x4f7ffffe, v3
	v_cvt_u32_f32_e32 v3, v3
	v_mul_lo_u32 v8, s29, v3
	v_mul_hi_u32 v8, v3, v8
	v_add_u32_e32 v3, v3, v8
	v_mul_hi_u32 v3, v0, v3
	v_mul_lo_u32 v8, v3, s8
	v_sub_u32_e32 v8, v0, v8
	v_add_u32_e32 v9, 1, v3
	v_subrev_u32_e32 v10, s8, v8
	v_cmp_le_u32_e32 vcc, s8, v8
	v_cndmask_b32_e32 v8, v8, v10, vcc
	v_cndmask_b32_e32 v3, v3, v9, vcc
	v_add_u32_e32 v9, 1, v3
	v_cmp_le_u32_e32 vcc, s8, v8
	v_cndmask_b32_e32 v8, v3, v9, vcc
	v_mov_b32_e32 v9, v2
	s_branch .LBB58_2
.LBB58_7:
	s_endpgm
	.section	.rodata,"a",@progbits
	.p2align	6, 0x0
	.amdhsa_kernel _ZN2at6native12_GLOBAL__N_16kernel17gru_cell_backwardIN3c104HalfEflLi1EEEvNS_4cuda6detail10TensorInfoIT_T1_EESB_SB_SB_SB_SA_SA_
		.amdhsa_group_segment_fixed_size 0
		.amdhsa_private_segment_fixed_size 0
		.amdhsa_kernarg_size 2352
		.amdhsa_user_sgpr_count 6
		.amdhsa_user_sgpr_private_segment_buffer 1
		.amdhsa_user_sgpr_dispatch_ptr 0
		.amdhsa_user_sgpr_queue_ptr 0
		.amdhsa_user_sgpr_kernarg_segment_ptr 1
		.amdhsa_user_sgpr_dispatch_id 0
		.amdhsa_user_sgpr_flat_scratch_init 0
		.amdhsa_user_sgpr_kernarg_preload_length 0
		.amdhsa_user_sgpr_kernarg_preload_offset 0
		.amdhsa_user_sgpr_private_segment_size 0
		.amdhsa_uses_dynamic_stack 0
		.amdhsa_system_sgpr_private_segment_wavefront_offset 0
		.amdhsa_system_sgpr_workgroup_id_x 1
		.amdhsa_system_sgpr_workgroup_id_y 0
		.amdhsa_system_sgpr_workgroup_id_z 0
		.amdhsa_system_sgpr_workgroup_info 0
		.amdhsa_system_vgpr_workitem_id 0
		.amdhsa_next_free_vgpr 26
		.amdhsa_next_free_sgpr 38
		.amdhsa_accum_offset 28
		.amdhsa_reserve_vcc 1
		.amdhsa_reserve_flat_scratch 0
		.amdhsa_float_round_mode_32 0
		.amdhsa_float_round_mode_16_64 0
		.amdhsa_float_denorm_mode_32 3
		.amdhsa_float_denorm_mode_16_64 3
		.amdhsa_dx10_clamp 1
		.amdhsa_ieee_mode 1
		.amdhsa_fp16_overflow 0
		.amdhsa_tg_split 0
		.amdhsa_exception_fp_ieee_invalid_op 0
		.amdhsa_exception_fp_denorm_src 0
		.amdhsa_exception_fp_ieee_div_zero 0
		.amdhsa_exception_fp_ieee_overflow 0
		.amdhsa_exception_fp_ieee_underflow 0
		.amdhsa_exception_fp_ieee_inexact 0
		.amdhsa_exception_int_div_zero 0
	.end_amdhsa_kernel
	.section	.text._ZN2at6native12_GLOBAL__N_16kernel17gru_cell_backwardIN3c104HalfEflLi1EEEvNS_4cuda6detail10TensorInfoIT_T1_EESB_SB_SB_SB_SA_SA_,"axG",@progbits,_ZN2at6native12_GLOBAL__N_16kernel17gru_cell_backwardIN3c104HalfEflLi1EEEvNS_4cuda6detail10TensorInfoIT_T1_EESB_SB_SB_SB_SA_SA_,comdat
.Lfunc_end58:
	.size	_ZN2at6native12_GLOBAL__N_16kernel17gru_cell_backwardIN3c104HalfEflLi1EEEvNS_4cuda6detail10TensorInfoIT_T1_EESB_SB_SB_SB_SA_SA_, .Lfunc_end58-_ZN2at6native12_GLOBAL__N_16kernel17gru_cell_backwardIN3c104HalfEflLi1EEEvNS_4cuda6detail10TensorInfoIT_T1_EESB_SB_SB_SB_SA_SA_
                                        ; -- End function
	.section	.AMDGPU.csdata,"",@progbits
; Kernel info:
; codeLenInByte = 2252
; NumSgprs: 42
; NumVgprs: 26
; NumAgprs: 0
; TotalNumVgprs: 26
; ScratchSize: 0
; MemoryBound: 0
; FloatMode: 240
; IeeeMode: 1
; LDSByteSize: 0 bytes/workgroup (compile time only)
; SGPRBlocks: 5
; VGPRBlocks: 3
; NumSGPRsForWavesPerEU: 42
; NumVGPRsForWavesPerEU: 26
; AccumOffset: 28
; Occupancy: 8
; WaveLimiterHint : 1
; COMPUTE_PGM_RSRC2:SCRATCH_EN: 0
; COMPUTE_PGM_RSRC2:USER_SGPR: 6
; COMPUTE_PGM_RSRC2:TRAP_HANDLER: 0
; COMPUTE_PGM_RSRC2:TGID_X_EN: 1
; COMPUTE_PGM_RSRC2:TGID_Y_EN: 0
; COMPUTE_PGM_RSRC2:TGID_Z_EN: 0
; COMPUTE_PGM_RSRC2:TIDIG_COMP_CNT: 0
; COMPUTE_PGM_RSRC3_GFX90A:ACCUM_OFFSET: 6
; COMPUTE_PGM_RSRC3_GFX90A:TG_SPLIT: 0
	.section	.text._ZN2at6native12_GLOBAL__N_16kernel17gru_cell_backwardIN3c104HalfEflLi2EEEvNS_4cuda6detail10TensorInfoIT_T1_EESB_SB_SB_SB_SA_SA_,"axG",@progbits,_ZN2at6native12_GLOBAL__N_16kernel17gru_cell_backwardIN3c104HalfEflLi2EEEvNS_4cuda6detail10TensorInfoIT_T1_EESB_SB_SB_SB_SA_SA_,comdat
	.globl	_ZN2at6native12_GLOBAL__N_16kernel17gru_cell_backwardIN3c104HalfEflLi2EEEvNS_4cuda6detail10TensorInfoIT_T1_EESB_SB_SB_SB_SA_SA_ ; -- Begin function _ZN2at6native12_GLOBAL__N_16kernel17gru_cell_backwardIN3c104HalfEflLi2EEEvNS_4cuda6detail10TensorInfoIT_T1_EESB_SB_SB_SB_SA_SA_
	.p2align	8
	.type	_ZN2at6native12_GLOBAL__N_16kernel17gru_cell_backwardIN3c104HalfEflLi2EEEvNS_4cuda6detail10TensorInfoIT_T1_EESB_SB_SB_SB_SA_SA_,@function
_ZN2at6native12_GLOBAL__N_16kernel17gru_cell_backwardIN3c104HalfEflLi2EEEvNS_4cuda6detail10TensorInfoIT_T1_EESB_SB_SB_SB_SA_SA_: ; @_ZN2at6native12_GLOBAL__N_16kernel17gru_cell_backwardIN3c104HalfEflLi2EEEvNS_4cuda6detail10TensorInfoIT_T1_EESB_SB_SB_SB_SA_SA_
; %bb.0:
	s_load_dword s2, s[4:5], 0x83c
	s_load_dwordx4 s[8:11], s[4:5], 0x820
	s_add_u32 s0, s4, 0x830
	s_addc_u32 s1, s5, 0
	v_mov_b32_e32 v2, 0
	s_waitcnt lgkmcnt(0)
	s_and_b32 s33, s2, 0xffff
	s_mul_i32 s6, s6, s33
	v_add_u32_e32 v0, s6, v0
	v_mov_b32_e32 v1, v2
	v_cmp_gt_i64_e32 vcc, s[10:11], v[0:1]
	s_and_saveexec_b64 s[2:3], vcc
	s_cbranch_execz .LBB59_59
; %bb.1:
	v_cvt_f32_u32_e32 v3, s8
	s_load_dwordx2 s[2:3], s[4:5], 0x0
	s_load_dwordx2 s[28:29], s[4:5], 0x10
	s_load_dwordx4 s[12:15], s[4:5], 0xd0
	s_load_dwordx2 s[30:31], s[4:5], 0x1a0
	s_load_dwordx2 s[34:35], s[4:5], 0x1b0
	s_load_dwordx4 s[16:19], s[4:5], 0x270
	;; [unrolled: 3-line block ×3, first 2 shown]
	s_load_dwordx2 s[40:41], s[4:5], 0x4e0
	s_load_dword s48, s[0:1], 0x0
	s_load_dwordx2 s[42:43], s[4:5], 0x4f0
	s_load_dwordx4 s[24:27], s[4:5], 0x5b0
	s_load_dwordx2 s[44:45], s[4:5], 0x680
	s_load_dwordx2 s[46:47], s[4:5], 0x690
                                        ; kill: killed $sgpr0 killed $sgpr1
	s_nop 0
	s_load_dwordx4 s[4:7], s[4:5], 0x750
	s_waitcnt lgkmcnt(0)
	s_mul_i32 s33, s48, s33
	s_lshl_b64 s[48:49], s[8:9], 2
	v_rcp_iflag_f32_e32 v3, v3
	s_lshl_b64 s[50:51], s[8:9], 1
	s_sub_u32 s61, 0, s38
	s_subb_u32 s62, 0, s39
	v_mul_f32_e32 v3, 0x4f7ffffe, v3
	v_cvt_u32_f32_e32 v18, v3
	s_sub_u32 s63, 0, s42
	s_mov_b32 s60, 0
	s_mov_b64 s[52:53], 0
	s_subb_u32 s64, 0, s43
	s_mov_b32 s65, 1.0
	s_branch .LBB59_3
.LBB59_2:                               ;   in Loop: Header=BB59_3 Depth=1
	s_or_b64 exec, exec, s[0:1]
	v_mad_u64_u32 v[6:7], s[0:1], s63, v4, v[0:1]
	v_mul_lo_u32 v8, s63, v5
	v_mul_lo_u32 v9, s64, v4
	v_add3_u32 v7, v9, v7, v8
	v_mul_lo_u32 v8, v6, s27
	v_mul_lo_u32 v9, v7, s26
	v_mad_u64_u32 v[6:7], s[0:1], v6, s26, 0
	v_add3_u32 v7, v7, v8, v9
	v_mul_lo_u32 v8, v5, s24
	v_mul_lo_u32 v9, v4, s25
	v_mad_u64_u32 v[4:5], s[0:1], v4, s24, 0
	v_add3_u32 v5, v5, v9, v8
	v_lshlrev_b64 v[4:5], 1, v[4:5]
	v_mov_b32_e32 v8, s41
	v_add_co_u32_e32 v9, vcc, s40, v4
	v_addc_co_u32_e32 v8, vcc, v8, v5, vcc
	v_lshlrev_b64 v[4:5], 1, v[6:7]
	v_add_co_u32_e32 v4, vcc, v9, v4
	v_addc_co_u32_e32 v5, vcc, v8, v5, vcc
	v_mov_b32_e32 v6, s60
	v_add_co_u32_e32 v0, vcc, s33, v0
	v_addc_co_u32_e32 v1, vcc, v1, v6, vcc
	v_cmp_le_i64_e32 vcc, s[10:11], v[0:1]
	v_mul_f16_e32 v3, v20, v21
	s_or_b64 s[52:53], vcc, s[52:53]
	global_store_short v[4:5], v3, off
	s_andn2_b64 exec, exec, s[52:53]
	s_cbranch_execz .LBB59_59
.LBB59_3:                               ; =>This Inner Loop Header: Depth=1
	v_or_b32_e32 v3, s9, v1
	v_cmp_ne_u64_e32 vcc, 0, v[2:3]
	v_ashrrev_i32_e32 v19, 31, v1
                                        ; implicit-def: $vgpr4_vgpr5
	s_and_saveexec_b64 s[0:1], vcc
	s_xor_b64 s[54:55], exec, s[0:1]
	s_cbranch_execz .LBB59_5
; %bb.4:                                ;   in Loop: Header=BB59_3 Depth=1
	s_ashr_i32 s56, s9, 31
	s_add_u32 s0, s8, s56
	s_mov_b32 s57, s56
	s_addc_u32 s1, s9, s56
	s_xor_b64 s[58:59], s[0:1], s[56:57]
	v_cvt_f32_u32_e32 v3, s58
	v_cvt_f32_u32_e32 v4, s59
	s_sub_u32 s0, 0, s58
	s_subb_u32 s1, 0, s59
	v_mac_f32_e32 v3, 0x4f800000, v4
	v_rcp_f32_e32 v3, v3
	v_mul_f32_e32 v3, 0x5f7ffffc, v3
	v_mul_f32_e32 v4, 0x2f800000, v3
	v_trunc_f32_e32 v4, v4
	v_mac_f32_e32 v3, 0xcf800000, v4
	v_cvt_u32_f32_e32 v4, v4
	v_cvt_u32_f32_e32 v3, v3
	v_mul_lo_u32 v5, s0, v4
	v_mul_hi_u32 v7, s0, v3
	v_mul_lo_u32 v6, s1, v3
	v_add_u32_e32 v5, v7, v5
	v_mul_lo_u32 v8, s0, v3
	v_add_u32_e32 v5, v5, v6
	v_mul_lo_u32 v7, v3, v5
	v_mul_hi_u32 v9, v3, v8
	v_mul_hi_u32 v6, v3, v5
	v_add_co_u32_e32 v7, vcc, v9, v7
	v_addc_co_u32_e32 v6, vcc, 0, v6, vcc
	v_mul_hi_u32 v10, v4, v8
	v_mul_lo_u32 v8, v4, v8
	v_add_co_u32_e32 v7, vcc, v7, v8
	v_mul_hi_u32 v9, v4, v5
	v_addc_co_u32_e32 v6, vcc, v6, v10, vcc
	v_addc_co_u32_e32 v7, vcc, 0, v9, vcc
	v_mul_lo_u32 v5, v4, v5
	v_add_co_u32_e32 v5, vcc, v6, v5
	v_addc_co_u32_e32 v6, vcc, 0, v7, vcc
	v_add_co_u32_e32 v3, vcc, v3, v5
	v_addc_co_u32_e32 v4, vcc, v4, v6, vcc
	v_mul_lo_u32 v5, s0, v4
	v_mul_hi_u32 v6, s0, v3
	v_add_u32_e32 v5, v6, v5
	v_mul_lo_u32 v6, s1, v3
	v_add_u32_e32 v5, v5, v6
	v_mul_lo_u32 v7, s0, v3
	v_mul_hi_u32 v8, v4, v7
	v_mul_lo_u32 v9, v4, v7
	v_mul_lo_u32 v11, v3, v5
	v_mul_hi_u32 v7, v3, v7
	v_mul_hi_u32 v10, v3, v5
	v_add_co_u32_e32 v7, vcc, v7, v11
	v_addc_co_u32_e32 v10, vcc, 0, v10, vcc
	v_add_co_u32_e32 v7, vcc, v7, v9
	v_mul_hi_u32 v6, v4, v5
	v_addc_co_u32_e32 v7, vcc, v10, v8, vcc
	v_addc_co_u32_e32 v6, vcc, 0, v6, vcc
	v_mul_lo_u32 v5, v4, v5
	v_add_co_u32_e32 v5, vcc, v7, v5
	v_addc_co_u32_e32 v6, vcc, 0, v6, vcc
	v_add_co_u32_e32 v3, vcc, v3, v5
	v_addc_co_u32_e32 v6, vcc, v4, v6, vcc
	;; [unrolled: 2-line block ×3, first 2 shown]
	v_xor_b32_e32 v9, v4, v19
	v_xor_b32_e32 v8, v5, v19
	v_mad_u64_u32 v[4:5], s[0:1], v9, v6, 0
	v_mul_hi_u32 v7, v9, v3
	v_add_co_u32_e32 v10, vcc, v7, v4
	v_addc_co_u32_e32 v11, vcc, 0, v5, vcc
	v_mad_u64_u32 v[4:5], s[0:1], v8, v6, 0
	v_mad_u64_u32 v[6:7], s[0:1], v8, v3, 0
	v_add_co_u32_e32 v3, vcc, v10, v6
	v_addc_co_u32_e32 v3, vcc, v11, v7, vcc
	v_addc_co_u32_e32 v5, vcc, 0, v5, vcc
	v_add_co_u32_e32 v3, vcc, v3, v4
	v_addc_co_u32_e32 v6, vcc, 0, v5, vcc
	v_mul_lo_u32 v7, s59, v3
	v_mul_lo_u32 v10, s58, v6
	v_mad_u64_u32 v[4:5], s[0:1], s58, v3, 0
	v_add3_u32 v5, v5, v10, v7
	v_sub_u32_e32 v7, v8, v5
	v_mov_b32_e32 v10, s59
	v_sub_co_u32_e32 v4, vcc, v9, v4
	v_subb_co_u32_e64 v7, s[0:1], v7, v10, vcc
	v_subrev_co_u32_e64 v9, s[0:1], s58, v4
	v_subbrev_co_u32_e64 v7, s[0:1], 0, v7, s[0:1]
	v_cmp_le_u32_e64 s[0:1], s59, v7
	v_cndmask_b32_e64 v10, 0, -1, s[0:1]
	v_cmp_le_u32_e64 s[0:1], s58, v9
	v_cndmask_b32_e64 v9, 0, -1, s[0:1]
	v_cmp_eq_u32_e64 s[0:1], s59, v7
	v_cndmask_b32_e64 v7, v10, v9, s[0:1]
	v_add_co_u32_e64 v9, s[0:1], 2, v3
	v_subb_co_u32_e32 v5, vcc, v8, v5, vcc
	v_addc_co_u32_e64 v10, s[0:1], 0, v6, s[0:1]
	v_cmp_le_u32_e32 vcc, s59, v5
	v_add_co_u32_e64 v11, s[0:1], 1, v3
	v_cndmask_b32_e64 v8, 0, -1, vcc
	v_cmp_le_u32_e32 vcc, s58, v4
	v_addc_co_u32_e64 v12, s[0:1], 0, v6, s[0:1]
	v_cndmask_b32_e64 v4, 0, -1, vcc
	v_cmp_eq_u32_e32 vcc, s59, v5
	v_cmp_ne_u32_e64 s[0:1], 0, v7
	v_cndmask_b32_e32 v4, v8, v4, vcc
	v_cmp_ne_u32_e32 vcc, 0, v4
	v_cndmask_b32_e64 v5, v11, v9, s[0:1]
	v_cndmask_b32_e64 v7, v12, v10, s[0:1]
	v_cndmask_b32_e32 v3, v3, v5, vcc
	v_xor_b32_e32 v5, s56, v19
	v_cndmask_b32_e32 v4, v6, v7, vcc
	v_xor_b32_e32 v3, v3, v5
	v_xor_b32_e32 v6, v4, v5
	v_sub_co_u32_e32 v4, vcc, v3, v5
	v_subb_co_u32_e32 v5, vcc, v6, v5, vcc
.LBB59_5:                               ;   in Loop: Header=BB59_3 Depth=1
	s_andn2_saveexec_b64 s[0:1], s[54:55]
	s_cbranch_execz .LBB59_7
; %bb.6:                                ;   in Loop: Header=BB59_3 Depth=1
	s_sub_i32 s54, 0, s8
	v_mul_lo_u32 v3, s54, v18
	v_mul_hi_u32 v3, v18, v3
	v_add_u32_e32 v3, v18, v3
	v_mul_hi_u32 v3, v0, v3
	v_mul_lo_u32 v4, v3, s8
	v_sub_u32_e32 v4, v0, v4
	v_subrev_u32_e32 v5, s8, v4
	v_cmp_le_u32_e32 vcc, s8, v4
	v_cndmask_b32_e32 v4, v4, v5, vcc
	v_add_u32_e32 v5, 1, v3
	v_cndmask_b32_e32 v3, v3, v5, vcc
	v_add_u32_e32 v5, 1, v3
	v_cmp_le_u32_e32 vcc, s8, v4
	v_cndmask_b32_e32 v4, v3, v5, vcc
	v_mov_b32_e32 v5, v2
.LBB59_7:                               ;   in Loop: Header=BB59_3 Depth=1
	s_or_b64 exec, exec, s[0:1]
	v_mul_lo_u32 v10, s49, v4
	v_mul_lo_u32 v11, s48, v5
	v_mad_u64_u32 v[6:7], s[0:1], s48, v4, v[0:1]
	v_add3_u32 v7, v10, v7, v11
	v_or_b32_e32 v3, s47, v7
	v_cmp_ne_u64_e32 vcc, 0, v[2:3]
                                        ; implicit-def: $vgpr8_vgpr9
	s_and_saveexec_b64 s[0:1], vcc
	s_xor_b64 s[54:55], exec, s[0:1]
	s_cbranch_execz .LBB59_9
; %bb.8:                                ;   in Loop: Header=BB59_3 Depth=1
	s_ashr_i32 s56, s47, 31
	s_add_u32 s0, s46, s56
	s_mov_b32 s57, s56
	s_addc_u32 s1, s47, s56
	s_xor_b64 s[58:59], s[0:1], s[56:57]
	v_cvt_f32_u32_e32 v3, s58
	v_cvt_f32_u32_e32 v8, s59
	s_sub_u32 s0, 0, s58
	s_subb_u32 s1, 0, s59
	v_mac_f32_e32 v3, 0x4f800000, v8
	v_rcp_f32_e32 v3, v3
	v_mul_f32_e32 v3, 0x5f7ffffc, v3
	v_mul_f32_e32 v8, 0x2f800000, v3
	v_trunc_f32_e32 v8, v8
	v_mac_f32_e32 v3, 0xcf800000, v8
	v_cvt_u32_f32_e32 v8, v8
	v_cvt_u32_f32_e32 v3, v3
	v_mul_lo_u32 v9, s0, v8
	v_mul_hi_u32 v13, s0, v3
	v_mul_lo_u32 v12, s1, v3
	v_add_u32_e32 v9, v13, v9
	v_mul_lo_u32 v14, s0, v3
	v_add_u32_e32 v9, v9, v12
	v_mul_lo_u32 v13, v3, v9
	v_mul_hi_u32 v15, v3, v14
	v_mul_hi_u32 v12, v3, v9
	v_add_co_u32_e32 v13, vcc, v15, v13
	v_addc_co_u32_e32 v12, vcc, 0, v12, vcc
	v_mul_hi_u32 v16, v8, v14
	v_mul_lo_u32 v14, v8, v14
	v_add_co_u32_e32 v13, vcc, v13, v14
	v_mul_hi_u32 v15, v8, v9
	v_addc_co_u32_e32 v12, vcc, v12, v16, vcc
	v_addc_co_u32_e32 v13, vcc, 0, v15, vcc
	v_mul_lo_u32 v9, v8, v9
	v_add_co_u32_e32 v9, vcc, v12, v9
	v_addc_co_u32_e32 v12, vcc, 0, v13, vcc
	v_add_co_u32_e32 v3, vcc, v3, v9
	v_addc_co_u32_e32 v8, vcc, v8, v12, vcc
	v_mul_lo_u32 v9, s0, v8
	v_mul_hi_u32 v12, s0, v3
	v_add_u32_e32 v9, v12, v9
	v_mul_lo_u32 v12, s1, v3
	v_add_u32_e32 v9, v9, v12
	v_mul_lo_u32 v13, s0, v3
	v_mul_hi_u32 v14, v8, v13
	v_mul_lo_u32 v15, v8, v13
	v_mul_lo_u32 v17, v3, v9
	v_mul_hi_u32 v13, v3, v13
	v_mul_hi_u32 v16, v3, v9
	v_add_co_u32_e32 v13, vcc, v13, v17
	v_addc_co_u32_e32 v16, vcc, 0, v16, vcc
	v_add_co_u32_e32 v13, vcc, v13, v15
	v_mul_hi_u32 v12, v8, v9
	v_addc_co_u32_e32 v13, vcc, v16, v14, vcc
	v_addc_co_u32_e32 v12, vcc, 0, v12, vcc
	v_mul_lo_u32 v9, v8, v9
	v_add_co_u32_e32 v9, vcc, v13, v9
	v_addc_co_u32_e32 v12, vcc, 0, v12, vcc
	v_add_co_u32_e32 v3, vcc, v3, v9
	v_addc_co_u32_e32 v8, vcc, v8, v12, vcc
	v_ashrrev_i32_e32 v12, 31, v7
	v_add_co_u32_e32 v6, vcc, v6, v12
	v_addc_co_u32_e32 v7, vcc, v7, v12, vcc
	v_xor_b32_e32 v14, v6, v12
	v_xor_b32_e32 v13, v7, v12
	v_mad_u64_u32 v[6:7], s[0:1], v14, v8, 0
	v_mul_hi_u32 v9, v14, v3
	v_add_co_u32_e32 v15, vcc, v9, v6
	v_addc_co_u32_e32 v16, vcc, 0, v7, vcc
	v_mad_u64_u32 v[6:7], s[0:1], v13, v8, 0
	v_mad_u64_u32 v[8:9], s[0:1], v13, v3, 0
	v_add_co_u32_e32 v3, vcc, v15, v8
	v_addc_co_u32_e32 v3, vcc, v16, v9, vcc
	v_addc_co_u32_e32 v7, vcc, 0, v7, vcc
	v_add_co_u32_e32 v3, vcc, v3, v6
	v_addc_co_u32_e32 v8, vcc, 0, v7, vcc
	v_mul_lo_u32 v9, s59, v3
	v_mul_lo_u32 v15, s58, v8
	v_mad_u64_u32 v[6:7], s[0:1], s58, v3, 0
	v_add3_u32 v7, v7, v15, v9
	v_sub_u32_e32 v9, v13, v7
	v_mov_b32_e32 v15, s59
	v_sub_co_u32_e32 v6, vcc, v14, v6
	v_subb_co_u32_e64 v9, s[0:1], v9, v15, vcc
	v_subrev_co_u32_e64 v14, s[0:1], s58, v6
	v_subbrev_co_u32_e64 v9, s[0:1], 0, v9, s[0:1]
	v_cmp_le_u32_e64 s[0:1], s59, v9
	v_cndmask_b32_e64 v15, 0, -1, s[0:1]
	v_cmp_le_u32_e64 s[0:1], s58, v14
	v_cndmask_b32_e64 v14, 0, -1, s[0:1]
	v_cmp_eq_u32_e64 s[0:1], s59, v9
	v_cndmask_b32_e64 v9, v15, v14, s[0:1]
	v_add_co_u32_e64 v14, s[0:1], 2, v3
	v_subb_co_u32_e32 v7, vcc, v13, v7, vcc
	v_addc_co_u32_e64 v15, s[0:1], 0, v8, s[0:1]
	v_cmp_le_u32_e32 vcc, s59, v7
	v_add_co_u32_e64 v16, s[0:1], 1, v3
	v_cndmask_b32_e64 v13, 0, -1, vcc
	v_cmp_le_u32_e32 vcc, s58, v6
	v_addc_co_u32_e64 v17, s[0:1], 0, v8, s[0:1]
	v_cndmask_b32_e64 v6, 0, -1, vcc
	v_cmp_eq_u32_e32 vcc, s59, v7
	v_cmp_ne_u32_e64 s[0:1], 0, v9
	v_cndmask_b32_e32 v6, v13, v6, vcc
	v_cmp_ne_u32_e32 vcc, 0, v6
	v_cndmask_b32_e64 v7, v16, v14, s[0:1]
	v_cndmask_b32_e64 v9, v17, v15, s[0:1]
	v_cndmask_b32_e32 v3, v3, v7, vcc
	v_xor_b32_e32 v7, s56, v12
	v_cndmask_b32_e32 v6, v8, v9, vcc
	v_xor_b32_e32 v3, v3, v7
	v_xor_b32_e32 v6, v6, v7
	v_sub_co_u32_e32 v8, vcc, v3, v7
	v_subb_co_u32_e32 v9, vcc, v6, v7, vcc
                                        ; implicit-def: $vgpr6_vgpr7
.LBB59_9:                               ;   in Loop: Header=BB59_3 Depth=1
	s_or_saveexec_b64 s[0:1], s[54:55]
	v_cvt_f32_u32_e32 v14, s46
	s_xor_b64 exec, exec, s[0:1]
	s_cbranch_execz .LBB59_11
; %bb.10:                               ;   in Loop: Header=BB59_3 Depth=1
	v_rcp_iflag_f32_e32 v3, v14
	s_sub_i32 s54, 0, s46
	v_mov_b32_e32 v9, v2
	v_mul_f32_e32 v3, 0x4f7ffffe, v3
	v_cvt_u32_f32_e32 v3, v3
	v_mul_lo_u32 v7, s54, v3
	v_mul_hi_u32 v7, v3, v7
	v_add_u32_e32 v3, v3, v7
	v_mul_hi_u32 v3, v6, v3
	v_mul_lo_u32 v7, v3, s46
	v_sub_u32_e32 v6, v6, v7
	v_add_u32_e32 v8, 1, v3
	v_subrev_u32_e32 v7, s46, v6
	v_cmp_le_u32_e32 vcc, s46, v6
	v_cndmask_b32_e32 v6, v6, v7, vcc
	v_cndmask_b32_e32 v3, v3, v8, vcc
	v_add_u32_e32 v7, 1, v3
	v_cmp_le_u32_e32 vcc, s46, v6
	v_cndmask_b32_e32 v8, v3, v7, vcc
.LBB59_11:                              ;   in Loop: Header=BB59_3 Depth=1
	s_or_b64 exec, exec, s[0:1]
	v_mad_u64_u32 v[6:7], s[0:1], s48, v4, 0
	v_add3_u32 v3, v7, v11, v10
	v_mul_lo_u32 v7, v9, s46
	v_mul_lo_u32 v12, v8, s47
	v_mad_u64_u32 v[10:11], s[0:1], v8, s46, 0
	v_add3_u32 v7, v11, v12, v7
	v_sub_co_u32_e32 v6, vcc, v6, v10
	v_subb_co_u32_e32 v3, vcc, v3, v7, vcc
	v_add_co_u32_e32 v6, vcc, v0, v6
	v_addc_co_u32_e32 v3, vcc, v1, v3, vcc
	v_mul_lo_u32 v3, v3, s6
	v_mul_lo_u32 v10, v6, s7
	v_mad_u64_u32 v[6:7], s[0:1], v6, s6, 0
	v_add3_u32 v7, v7, v10, v3
	v_mul_lo_u32 v3, v9, s4
	v_mul_lo_u32 v10, v8, s5
	v_mad_u64_u32 v[8:9], s[0:1], v8, s4, 0
	v_add3_u32 v9, v9, v10, v3
	v_lshlrev_b64 v[8:9], 1, v[8:9]
	v_mov_b32_e32 v3, s45
	v_add_co_u32_e32 v8, vcc, s44, v8
	v_addc_co_u32_e32 v3, vcc, v3, v9, vcc
	v_lshlrev_b64 v[6:7], 1, v[6:7]
	v_add_co_u32_e32 v6, vcc, v8, v6
	v_addc_co_u32_e32 v7, vcc, v3, v7, vcc
	global_load_ushort v12, v[6:7], off
	v_lshlrev_b64 v[6:7], 2, v[4:5]
	v_or_b32_e32 v13, 1, v6
	v_mul_lo_u32 v15, s9, v13
	v_mul_lo_u32 v16, s8, v7
	v_mad_u64_u32 v[8:9], s[0:1], s8, v13, v[0:1]
	v_add3_u32 v9, v15, v9, v16
	v_or_b32_e32 v3, s47, v9
	v_cmp_ne_u64_e32 vcc, 0, v[2:3]
                                        ; implicit-def: $vgpr10_vgpr11
	s_and_saveexec_b64 s[0:1], vcc
	s_xor_b64 s[54:55], exec, s[0:1]
	s_cbranch_execz .LBB59_13
; %bb.12:                               ;   in Loop: Header=BB59_3 Depth=1
	s_ashr_i32 s56, s47, 31
	s_add_u32 s0, s46, s56
	s_mov_b32 s57, s56
	s_addc_u32 s1, s47, s56
	s_xor_b64 s[58:59], s[0:1], s[56:57]
	v_cvt_f32_u32_e32 v3, s58
	v_cvt_f32_u32_e32 v10, s59
	s_sub_u32 s0, 0, s58
	s_subb_u32 s1, 0, s59
	v_mac_f32_e32 v3, 0x4f800000, v10
	v_rcp_f32_e32 v3, v3
	v_mul_f32_e32 v3, 0x5f7ffffc, v3
	v_mul_f32_e32 v10, 0x2f800000, v3
	v_trunc_f32_e32 v10, v10
	v_mac_f32_e32 v3, 0xcf800000, v10
	v_cvt_u32_f32_e32 v10, v10
	v_cvt_u32_f32_e32 v3, v3
	v_mul_lo_u32 v11, s0, v10
	v_mul_hi_u32 v20, s0, v3
	v_mul_lo_u32 v17, s1, v3
	v_add_u32_e32 v11, v20, v11
	v_mul_lo_u32 v21, s0, v3
	v_add_u32_e32 v11, v11, v17
	v_mul_lo_u32 v20, v3, v11
	v_mul_hi_u32 v22, v3, v21
	v_mul_hi_u32 v17, v3, v11
	v_add_co_u32_e32 v20, vcc, v22, v20
	v_addc_co_u32_e32 v17, vcc, 0, v17, vcc
	v_mul_hi_u32 v23, v10, v21
	v_mul_lo_u32 v21, v10, v21
	v_add_co_u32_e32 v20, vcc, v20, v21
	v_mul_hi_u32 v22, v10, v11
	v_addc_co_u32_e32 v17, vcc, v17, v23, vcc
	v_addc_co_u32_e32 v20, vcc, 0, v22, vcc
	v_mul_lo_u32 v11, v10, v11
	v_add_co_u32_e32 v11, vcc, v17, v11
	v_addc_co_u32_e32 v17, vcc, 0, v20, vcc
	v_add_co_u32_e32 v3, vcc, v3, v11
	v_addc_co_u32_e32 v10, vcc, v10, v17, vcc
	v_mul_lo_u32 v11, s0, v10
	v_mul_hi_u32 v17, s0, v3
	v_add_u32_e32 v11, v17, v11
	v_mul_lo_u32 v17, s1, v3
	v_add_u32_e32 v11, v11, v17
	v_mul_lo_u32 v20, s0, v3
	v_mul_hi_u32 v21, v10, v20
	v_mul_lo_u32 v22, v10, v20
	v_mul_lo_u32 v24, v3, v11
	v_mul_hi_u32 v20, v3, v20
	v_mul_hi_u32 v23, v3, v11
	v_add_co_u32_e32 v20, vcc, v20, v24
	v_addc_co_u32_e32 v23, vcc, 0, v23, vcc
	v_add_co_u32_e32 v20, vcc, v20, v22
	v_mul_hi_u32 v17, v10, v11
	v_addc_co_u32_e32 v20, vcc, v23, v21, vcc
	v_addc_co_u32_e32 v17, vcc, 0, v17, vcc
	v_mul_lo_u32 v11, v10, v11
	v_add_co_u32_e32 v11, vcc, v20, v11
	v_addc_co_u32_e32 v17, vcc, 0, v17, vcc
	v_add_co_u32_e32 v3, vcc, v3, v11
	v_addc_co_u32_e32 v10, vcc, v10, v17, vcc
	v_ashrrev_i32_e32 v17, 31, v9
	v_add_co_u32_e32 v8, vcc, v8, v17
	v_addc_co_u32_e32 v9, vcc, v9, v17, vcc
	v_xor_b32_e32 v21, v8, v17
	v_xor_b32_e32 v20, v9, v17
	v_mad_u64_u32 v[8:9], s[0:1], v21, v10, 0
	v_mul_hi_u32 v11, v21, v3
	v_add_co_u32_e32 v22, vcc, v11, v8
	v_addc_co_u32_e32 v23, vcc, 0, v9, vcc
	v_mad_u64_u32 v[8:9], s[0:1], v20, v10, 0
	v_mad_u64_u32 v[10:11], s[0:1], v20, v3, 0
	v_add_co_u32_e32 v3, vcc, v22, v10
	v_addc_co_u32_e32 v3, vcc, v23, v11, vcc
	v_addc_co_u32_e32 v9, vcc, 0, v9, vcc
	v_add_co_u32_e32 v3, vcc, v3, v8
	v_addc_co_u32_e32 v10, vcc, 0, v9, vcc
	v_mul_lo_u32 v11, s59, v3
	v_mul_lo_u32 v22, s58, v10
	v_mad_u64_u32 v[8:9], s[0:1], s58, v3, 0
	v_add3_u32 v9, v9, v22, v11
	v_sub_u32_e32 v11, v20, v9
	v_mov_b32_e32 v22, s59
	v_sub_co_u32_e32 v8, vcc, v21, v8
	v_subb_co_u32_e64 v11, s[0:1], v11, v22, vcc
	v_subrev_co_u32_e64 v21, s[0:1], s58, v8
	v_subbrev_co_u32_e64 v11, s[0:1], 0, v11, s[0:1]
	v_cmp_le_u32_e64 s[0:1], s59, v11
	v_cndmask_b32_e64 v22, 0, -1, s[0:1]
	v_cmp_le_u32_e64 s[0:1], s58, v21
	v_cndmask_b32_e64 v21, 0, -1, s[0:1]
	v_cmp_eq_u32_e64 s[0:1], s59, v11
	v_cndmask_b32_e64 v11, v22, v21, s[0:1]
	v_add_co_u32_e64 v21, s[0:1], 2, v3
	v_subb_co_u32_e32 v9, vcc, v20, v9, vcc
	v_addc_co_u32_e64 v22, s[0:1], 0, v10, s[0:1]
	v_cmp_le_u32_e32 vcc, s59, v9
	v_add_co_u32_e64 v23, s[0:1], 1, v3
	v_cndmask_b32_e64 v20, 0, -1, vcc
	v_cmp_le_u32_e32 vcc, s58, v8
	v_addc_co_u32_e64 v24, s[0:1], 0, v10, s[0:1]
	v_cndmask_b32_e64 v8, 0, -1, vcc
	v_cmp_eq_u32_e32 vcc, s59, v9
	v_cmp_ne_u32_e64 s[0:1], 0, v11
	v_cndmask_b32_e32 v8, v20, v8, vcc
	v_cmp_ne_u32_e32 vcc, 0, v8
	v_cndmask_b32_e64 v9, v23, v21, s[0:1]
	v_cndmask_b32_e64 v11, v24, v22, s[0:1]
	v_cndmask_b32_e32 v3, v3, v9, vcc
	v_xor_b32_e32 v9, s56, v17
	v_cndmask_b32_e32 v8, v10, v11, vcc
	v_xor_b32_e32 v3, v3, v9
	v_xor_b32_e32 v8, v8, v9
	v_sub_co_u32_e32 v10, vcc, v3, v9
	v_subb_co_u32_e32 v11, vcc, v8, v9, vcc
                                        ; implicit-def: $vgpr8_vgpr9
.LBB59_13:                              ;   in Loop: Header=BB59_3 Depth=1
	s_andn2_saveexec_b64 s[0:1], s[54:55]
	s_cbranch_execz .LBB59_15
; %bb.14:                               ;   in Loop: Header=BB59_3 Depth=1
	v_rcp_iflag_f32_e32 v3, v14
	s_sub_i32 s54, 0, s46
	v_mov_b32_e32 v11, v2
	v_mul_f32_e32 v3, 0x4f7ffffe, v3
	v_cvt_u32_f32_e32 v3, v3
	v_mul_lo_u32 v9, s54, v3
	v_mul_hi_u32 v9, v3, v9
	v_add_u32_e32 v3, v3, v9
	v_mul_hi_u32 v3, v8, v3
	v_mul_lo_u32 v9, v3, s46
	v_sub_u32_e32 v8, v8, v9
	v_add_u32_e32 v10, 1, v3
	v_subrev_u32_e32 v9, s46, v8
	v_cmp_le_u32_e32 vcc, s46, v8
	v_cndmask_b32_e32 v8, v8, v9, vcc
	v_cndmask_b32_e32 v3, v3, v10, vcc
	v_add_u32_e32 v9, 1, v3
	v_cmp_le_u32_e32 vcc, s46, v8
	v_cndmask_b32_e32 v10, v3, v9, vcc
.LBB59_15:                              ;   in Loop: Header=BB59_3 Depth=1
	s_or_b64 exec, exec, s[0:1]
	v_mad_u64_u32 v[8:9], s[0:1], s8, v13, 0
	v_add3_u32 v3, v9, v16, v15
	v_mul_lo_u32 v9, v11, s46
	v_mul_lo_u32 v13, v10, s47
	v_mad_u64_u32 v[16:17], s[0:1], v10, s46, 0
	v_add3_u32 v9, v17, v13, v9
	v_sub_co_u32_e32 v8, vcc, v8, v16
	v_subb_co_u32_e32 v3, vcc, v3, v9, vcc
	v_add_co_u32_e32 v8, vcc, v0, v8
	v_addc_co_u32_e32 v3, vcc, v1, v3, vcc
	v_mul_lo_u32 v3, v3, s6
	v_mul_lo_u32 v13, v8, s7
	v_mad_u64_u32 v[8:9], s[0:1], v8, s6, 0
	v_add3_u32 v9, v9, v13, v3
	v_mul_lo_u32 v3, v11, s4
	v_mul_lo_u32 v13, v10, s5
	v_mad_u64_u32 v[10:11], s[0:1], v10, s4, 0
	v_add3_u32 v11, v11, v13, v3
	v_lshlrev_b64 v[10:11], 1, v[10:11]
	v_mov_b32_e32 v3, s45
	v_add_co_u32_e32 v10, vcc, s44, v10
	v_addc_co_u32_e32 v3, vcc, v3, v11, vcc
	v_lshlrev_b64 v[8:9], 1, v[8:9]
	v_add_co_u32_e32 v8, vcc, v10, v8
	v_addc_co_u32_e32 v9, vcc, v3, v9, vcc
	global_load_ushort v20, v[8:9], off
	v_add_co_u32_e32 v13, vcc, 2, v6
	v_addc_co_u32_e32 v3, vcc, 0, v7, vcc
	v_mul_lo_u32 v15, s9, v13
	v_mul_lo_u32 v16, s8, v3
	v_mad_u64_u32 v[8:9], s[0:1], s8, v13, v[0:1]
	v_add3_u32 v9, v15, v9, v16
	v_or_b32_e32 v3, s47, v9
	v_cmp_ne_u64_e32 vcc, 0, v[2:3]
                                        ; implicit-def: $vgpr10_vgpr11
	s_and_saveexec_b64 s[0:1], vcc
	s_xor_b64 s[54:55], exec, s[0:1]
	s_cbranch_execz .LBB59_17
; %bb.16:                               ;   in Loop: Header=BB59_3 Depth=1
	s_ashr_i32 s56, s47, 31
	s_add_u32 s0, s46, s56
	s_mov_b32 s57, s56
	s_addc_u32 s1, s47, s56
	s_xor_b64 s[58:59], s[0:1], s[56:57]
	v_cvt_f32_u32_e32 v3, s58
	v_cvt_f32_u32_e32 v10, s59
	s_sub_u32 s0, 0, s58
	s_subb_u32 s1, 0, s59
	v_mac_f32_e32 v3, 0x4f800000, v10
	v_rcp_f32_e32 v3, v3
	v_mul_f32_e32 v3, 0x5f7ffffc, v3
	v_mul_f32_e32 v10, 0x2f800000, v3
	v_trunc_f32_e32 v10, v10
	v_mac_f32_e32 v3, 0xcf800000, v10
	v_cvt_u32_f32_e32 v10, v10
	v_cvt_u32_f32_e32 v3, v3
	v_mul_lo_u32 v11, s0, v10
	v_mul_hi_u32 v21, s0, v3
	v_mul_lo_u32 v17, s1, v3
	v_add_u32_e32 v11, v21, v11
	v_mul_lo_u32 v22, s0, v3
	v_add_u32_e32 v11, v11, v17
	v_mul_lo_u32 v21, v3, v11
	v_mul_hi_u32 v23, v3, v22
	v_mul_hi_u32 v17, v3, v11
	v_add_co_u32_e32 v21, vcc, v23, v21
	v_addc_co_u32_e32 v17, vcc, 0, v17, vcc
	v_mul_hi_u32 v24, v10, v22
	v_mul_lo_u32 v22, v10, v22
	v_add_co_u32_e32 v21, vcc, v21, v22
	v_mul_hi_u32 v23, v10, v11
	v_addc_co_u32_e32 v17, vcc, v17, v24, vcc
	v_addc_co_u32_e32 v21, vcc, 0, v23, vcc
	v_mul_lo_u32 v11, v10, v11
	v_add_co_u32_e32 v11, vcc, v17, v11
	v_addc_co_u32_e32 v17, vcc, 0, v21, vcc
	v_add_co_u32_e32 v3, vcc, v3, v11
	v_addc_co_u32_e32 v10, vcc, v10, v17, vcc
	v_mul_lo_u32 v11, s0, v10
	v_mul_hi_u32 v17, s0, v3
	v_add_u32_e32 v11, v17, v11
	v_mul_lo_u32 v17, s1, v3
	v_add_u32_e32 v11, v11, v17
	v_mul_lo_u32 v21, s0, v3
	v_mul_hi_u32 v22, v10, v21
	v_mul_lo_u32 v23, v10, v21
	v_mul_lo_u32 v25, v3, v11
	v_mul_hi_u32 v21, v3, v21
	v_mul_hi_u32 v24, v3, v11
	v_add_co_u32_e32 v21, vcc, v21, v25
	v_addc_co_u32_e32 v24, vcc, 0, v24, vcc
	v_add_co_u32_e32 v21, vcc, v21, v23
	v_mul_hi_u32 v17, v10, v11
	v_addc_co_u32_e32 v21, vcc, v24, v22, vcc
	v_addc_co_u32_e32 v17, vcc, 0, v17, vcc
	v_mul_lo_u32 v11, v10, v11
	v_add_co_u32_e32 v11, vcc, v21, v11
	v_addc_co_u32_e32 v17, vcc, 0, v17, vcc
	v_add_co_u32_e32 v3, vcc, v3, v11
	v_addc_co_u32_e32 v10, vcc, v10, v17, vcc
	v_ashrrev_i32_e32 v17, 31, v9
	v_add_co_u32_e32 v8, vcc, v8, v17
	v_addc_co_u32_e32 v9, vcc, v9, v17, vcc
	v_xor_b32_e32 v22, v8, v17
	v_xor_b32_e32 v21, v9, v17
	v_mad_u64_u32 v[8:9], s[0:1], v22, v10, 0
	v_mul_hi_u32 v11, v22, v3
	v_add_co_u32_e32 v23, vcc, v11, v8
	v_addc_co_u32_e32 v24, vcc, 0, v9, vcc
	v_mad_u64_u32 v[8:9], s[0:1], v21, v10, 0
	v_mad_u64_u32 v[10:11], s[0:1], v21, v3, 0
	v_add_co_u32_e32 v3, vcc, v23, v10
	v_addc_co_u32_e32 v3, vcc, v24, v11, vcc
	v_addc_co_u32_e32 v9, vcc, 0, v9, vcc
	v_add_co_u32_e32 v3, vcc, v3, v8
	v_addc_co_u32_e32 v10, vcc, 0, v9, vcc
	v_mul_lo_u32 v11, s59, v3
	v_mul_lo_u32 v23, s58, v10
	v_mad_u64_u32 v[8:9], s[0:1], s58, v3, 0
	v_add3_u32 v9, v9, v23, v11
	v_sub_u32_e32 v11, v21, v9
	v_mov_b32_e32 v23, s59
	v_sub_co_u32_e32 v8, vcc, v22, v8
	v_subb_co_u32_e64 v11, s[0:1], v11, v23, vcc
	v_subrev_co_u32_e64 v22, s[0:1], s58, v8
	v_subbrev_co_u32_e64 v11, s[0:1], 0, v11, s[0:1]
	v_cmp_le_u32_e64 s[0:1], s59, v11
	v_cndmask_b32_e64 v23, 0, -1, s[0:1]
	v_cmp_le_u32_e64 s[0:1], s58, v22
	v_cndmask_b32_e64 v22, 0, -1, s[0:1]
	v_cmp_eq_u32_e64 s[0:1], s59, v11
	v_cndmask_b32_e64 v11, v23, v22, s[0:1]
	v_add_co_u32_e64 v22, s[0:1], 2, v3
	v_subb_co_u32_e32 v9, vcc, v21, v9, vcc
	v_addc_co_u32_e64 v23, s[0:1], 0, v10, s[0:1]
	v_cmp_le_u32_e32 vcc, s59, v9
	v_add_co_u32_e64 v24, s[0:1], 1, v3
	v_cndmask_b32_e64 v21, 0, -1, vcc
	v_cmp_le_u32_e32 vcc, s58, v8
	v_addc_co_u32_e64 v25, s[0:1], 0, v10, s[0:1]
	v_cndmask_b32_e64 v8, 0, -1, vcc
	v_cmp_eq_u32_e32 vcc, s59, v9
	v_cmp_ne_u32_e64 s[0:1], 0, v11
	v_cndmask_b32_e32 v8, v21, v8, vcc
	v_cmp_ne_u32_e32 vcc, 0, v8
	v_cndmask_b32_e64 v9, v24, v22, s[0:1]
	v_cndmask_b32_e64 v11, v25, v23, s[0:1]
	v_cndmask_b32_e32 v3, v3, v9, vcc
	v_xor_b32_e32 v9, s56, v17
	v_cndmask_b32_e32 v8, v10, v11, vcc
	v_xor_b32_e32 v3, v3, v9
	v_xor_b32_e32 v8, v8, v9
	v_sub_co_u32_e32 v10, vcc, v3, v9
	v_subb_co_u32_e32 v11, vcc, v8, v9, vcc
                                        ; implicit-def: $vgpr8_vgpr9
.LBB59_17:                              ;   in Loop: Header=BB59_3 Depth=1
	s_andn2_saveexec_b64 s[0:1], s[54:55]
	s_cbranch_execz .LBB59_19
; %bb.18:                               ;   in Loop: Header=BB59_3 Depth=1
	v_rcp_iflag_f32_e32 v3, v14
	s_sub_i32 s54, 0, s46
	v_mov_b32_e32 v11, v2
	v_mul_f32_e32 v3, 0x4f7ffffe, v3
	v_cvt_u32_f32_e32 v3, v3
	v_mul_lo_u32 v9, s54, v3
	v_mul_hi_u32 v9, v3, v9
	v_add_u32_e32 v3, v3, v9
	v_mul_hi_u32 v3, v8, v3
	v_mul_lo_u32 v9, v3, s46
	v_sub_u32_e32 v8, v8, v9
	v_add_u32_e32 v10, 1, v3
	v_subrev_u32_e32 v9, s46, v8
	v_cmp_le_u32_e32 vcc, s46, v8
	v_cndmask_b32_e32 v8, v8, v9, vcc
	v_cndmask_b32_e32 v3, v3, v10, vcc
	v_add_u32_e32 v9, 1, v3
	v_cmp_le_u32_e32 vcc, s46, v8
	v_cndmask_b32_e32 v10, v3, v9, vcc
.LBB59_19:                              ;   in Loop: Header=BB59_3 Depth=1
	s_or_b64 exec, exec, s[0:1]
	v_mad_u64_u32 v[8:9], s[0:1], s8, v13, 0
	v_add3_u32 v3, v9, v16, v15
	v_mul_lo_u32 v9, v11, s46
	v_mul_lo_u32 v13, v10, s47
	v_mad_u64_u32 v[16:17], s[0:1], v10, s46, 0
	v_add3_u32 v9, v17, v13, v9
	v_sub_co_u32_e32 v8, vcc, v8, v16
	v_subb_co_u32_e32 v3, vcc, v3, v9, vcc
	v_add_co_u32_e32 v8, vcc, v0, v8
	v_addc_co_u32_e32 v3, vcc, v1, v3, vcc
	v_mul_lo_u32 v3, v3, s6
	v_mul_lo_u32 v13, v8, s7
	v_mad_u64_u32 v[8:9], s[0:1], v8, s6, 0
	v_add3_u32 v9, v9, v13, v3
	v_mul_lo_u32 v3, v11, s4
	v_mul_lo_u32 v13, v10, s5
	v_mad_u64_u32 v[10:11], s[0:1], v10, s4, 0
	v_add3_u32 v11, v11, v13, v3
	v_lshlrev_b64 v[10:11], 1, v[10:11]
	v_mov_b32_e32 v3, s45
	v_add_co_u32_e32 v10, vcc, s44, v10
	v_addc_co_u32_e32 v3, vcc, v3, v11, vcc
	v_lshlrev_b64 v[8:9], 1, v[8:9]
	v_add_co_u32_e32 v8, vcc, v10, v8
	v_addc_co_u32_e32 v9, vcc, v3, v9, vcc
	global_load_ushort v13, v[8:9], off
	v_add_co_u32_e32 v15, vcc, 3, v6
	v_addc_co_u32_e32 v3, vcc, 0, v7, vcc
	v_mul_lo_u32 v16, s9, v15
	v_mul_lo_u32 v17, s8, v3
	v_mad_u64_u32 v[8:9], s[0:1], s8, v15, v[0:1]
	v_add3_u32 v9, v16, v9, v17
	v_or_b32_e32 v3, s47, v9
	v_cmp_ne_u64_e32 vcc, 0, v[2:3]
                                        ; implicit-def: $vgpr10_vgpr11
	s_and_saveexec_b64 s[0:1], vcc
	s_xor_b64 s[54:55], exec, s[0:1]
	s_cbranch_execz .LBB59_21
; %bb.20:                               ;   in Loop: Header=BB59_3 Depth=1
	s_ashr_i32 s56, s47, 31
	s_add_u32 s0, s46, s56
	s_mov_b32 s57, s56
	s_addc_u32 s1, s47, s56
	s_xor_b64 s[58:59], s[0:1], s[56:57]
	v_cvt_f32_u32_e32 v3, s58
	v_cvt_f32_u32_e32 v10, s59
	s_sub_u32 s0, 0, s58
	s_subb_u32 s1, 0, s59
	v_mac_f32_e32 v3, 0x4f800000, v10
	v_rcp_f32_e32 v3, v3
	v_mul_f32_e32 v3, 0x5f7ffffc, v3
	v_mul_f32_e32 v10, 0x2f800000, v3
	v_trunc_f32_e32 v10, v10
	v_mac_f32_e32 v3, 0xcf800000, v10
	v_cvt_u32_f32_e32 v10, v10
	v_cvt_u32_f32_e32 v3, v3
	v_mul_lo_u32 v11, s0, v10
	v_mul_hi_u32 v22, s0, v3
	v_mul_lo_u32 v21, s1, v3
	v_add_u32_e32 v11, v22, v11
	v_mul_lo_u32 v23, s0, v3
	v_add_u32_e32 v11, v11, v21
	v_mul_lo_u32 v22, v3, v11
	v_mul_hi_u32 v24, v3, v23
	v_mul_hi_u32 v21, v3, v11
	v_add_co_u32_e32 v22, vcc, v24, v22
	v_addc_co_u32_e32 v21, vcc, 0, v21, vcc
	v_mul_hi_u32 v25, v10, v23
	v_mul_lo_u32 v23, v10, v23
	v_add_co_u32_e32 v22, vcc, v22, v23
	v_mul_hi_u32 v24, v10, v11
	v_addc_co_u32_e32 v21, vcc, v21, v25, vcc
	v_addc_co_u32_e32 v22, vcc, 0, v24, vcc
	v_mul_lo_u32 v11, v10, v11
	v_add_co_u32_e32 v11, vcc, v21, v11
	v_addc_co_u32_e32 v21, vcc, 0, v22, vcc
	v_add_co_u32_e32 v3, vcc, v3, v11
	v_addc_co_u32_e32 v10, vcc, v10, v21, vcc
	v_mul_lo_u32 v11, s0, v10
	v_mul_hi_u32 v21, s0, v3
	v_add_u32_e32 v11, v21, v11
	v_mul_lo_u32 v21, s1, v3
	v_add_u32_e32 v11, v11, v21
	v_mul_lo_u32 v22, s0, v3
	v_mul_hi_u32 v23, v10, v22
	v_mul_lo_u32 v24, v10, v22
	v_mul_lo_u32 v26, v3, v11
	v_mul_hi_u32 v22, v3, v22
	v_mul_hi_u32 v25, v3, v11
	v_add_co_u32_e32 v22, vcc, v22, v26
	v_addc_co_u32_e32 v25, vcc, 0, v25, vcc
	v_add_co_u32_e32 v22, vcc, v22, v24
	v_mul_hi_u32 v21, v10, v11
	v_addc_co_u32_e32 v22, vcc, v25, v23, vcc
	v_addc_co_u32_e32 v21, vcc, 0, v21, vcc
	v_mul_lo_u32 v11, v10, v11
	v_add_co_u32_e32 v11, vcc, v22, v11
	v_addc_co_u32_e32 v21, vcc, 0, v21, vcc
	v_add_co_u32_e32 v3, vcc, v3, v11
	v_addc_co_u32_e32 v10, vcc, v10, v21, vcc
	v_ashrrev_i32_e32 v21, 31, v9
	v_add_co_u32_e32 v8, vcc, v8, v21
	v_addc_co_u32_e32 v9, vcc, v9, v21, vcc
	v_xor_b32_e32 v23, v8, v21
	v_xor_b32_e32 v22, v9, v21
	v_mad_u64_u32 v[8:9], s[0:1], v23, v10, 0
	v_mul_hi_u32 v11, v23, v3
	v_add_co_u32_e32 v24, vcc, v11, v8
	v_addc_co_u32_e32 v25, vcc, 0, v9, vcc
	v_mad_u64_u32 v[8:9], s[0:1], v22, v10, 0
	v_mad_u64_u32 v[10:11], s[0:1], v22, v3, 0
	v_add_co_u32_e32 v3, vcc, v24, v10
	v_addc_co_u32_e32 v3, vcc, v25, v11, vcc
	v_addc_co_u32_e32 v9, vcc, 0, v9, vcc
	v_add_co_u32_e32 v3, vcc, v3, v8
	v_addc_co_u32_e32 v10, vcc, 0, v9, vcc
	v_mul_lo_u32 v11, s59, v3
	v_mul_lo_u32 v24, s58, v10
	v_mad_u64_u32 v[8:9], s[0:1], s58, v3, 0
	v_add3_u32 v9, v9, v24, v11
	v_sub_u32_e32 v11, v22, v9
	v_mov_b32_e32 v24, s59
	v_sub_co_u32_e32 v8, vcc, v23, v8
	v_subb_co_u32_e64 v11, s[0:1], v11, v24, vcc
	v_subrev_co_u32_e64 v23, s[0:1], s58, v8
	v_subbrev_co_u32_e64 v11, s[0:1], 0, v11, s[0:1]
	v_cmp_le_u32_e64 s[0:1], s59, v11
	v_cndmask_b32_e64 v24, 0, -1, s[0:1]
	v_cmp_le_u32_e64 s[0:1], s58, v23
	v_cndmask_b32_e64 v23, 0, -1, s[0:1]
	v_cmp_eq_u32_e64 s[0:1], s59, v11
	v_cndmask_b32_e64 v11, v24, v23, s[0:1]
	v_add_co_u32_e64 v23, s[0:1], 2, v3
	v_subb_co_u32_e32 v9, vcc, v22, v9, vcc
	v_addc_co_u32_e64 v24, s[0:1], 0, v10, s[0:1]
	v_cmp_le_u32_e32 vcc, s59, v9
	v_add_co_u32_e64 v25, s[0:1], 1, v3
	v_cndmask_b32_e64 v22, 0, -1, vcc
	v_cmp_le_u32_e32 vcc, s58, v8
	v_addc_co_u32_e64 v26, s[0:1], 0, v10, s[0:1]
	v_cndmask_b32_e64 v8, 0, -1, vcc
	v_cmp_eq_u32_e32 vcc, s59, v9
	v_cmp_ne_u32_e64 s[0:1], 0, v11
	v_cndmask_b32_e32 v8, v22, v8, vcc
	v_cmp_ne_u32_e32 vcc, 0, v8
	v_cndmask_b32_e64 v9, v25, v23, s[0:1]
	v_cndmask_b32_e64 v11, v26, v24, s[0:1]
	v_cndmask_b32_e32 v3, v3, v9, vcc
	v_xor_b32_e32 v9, s56, v21
	v_cndmask_b32_e32 v8, v10, v11, vcc
	v_xor_b32_e32 v3, v3, v9
	v_xor_b32_e32 v8, v8, v9
	v_sub_co_u32_e32 v10, vcc, v3, v9
	v_subb_co_u32_e32 v11, vcc, v8, v9, vcc
                                        ; implicit-def: $vgpr8_vgpr9
.LBB59_21:                              ;   in Loop: Header=BB59_3 Depth=1
	s_andn2_saveexec_b64 s[0:1], s[54:55]
	s_cbranch_execz .LBB59_23
; %bb.22:                               ;   in Loop: Header=BB59_3 Depth=1
	v_rcp_iflag_f32_e32 v3, v14
	s_sub_i32 s54, 0, s46
	v_mov_b32_e32 v11, v2
	v_mul_f32_e32 v3, 0x4f7ffffe, v3
	v_cvt_u32_f32_e32 v3, v3
	v_mul_lo_u32 v9, s54, v3
	v_mul_hi_u32 v9, v3, v9
	v_add_u32_e32 v3, v3, v9
	v_mul_hi_u32 v3, v8, v3
	v_mul_lo_u32 v9, v3, s46
	v_sub_u32_e32 v8, v8, v9
	v_add_u32_e32 v10, 1, v3
	v_subrev_u32_e32 v9, s46, v8
	v_cmp_le_u32_e32 vcc, s46, v8
	v_cndmask_b32_e32 v8, v8, v9, vcc
	v_cndmask_b32_e32 v3, v3, v10, vcc
	v_add_u32_e32 v9, 1, v3
	v_cmp_le_u32_e32 vcc, s46, v8
	v_cndmask_b32_e32 v10, v3, v9, vcc
.LBB59_23:                              ;   in Loop: Header=BB59_3 Depth=1
	s_or_b64 exec, exec, s[0:1]
	v_mad_u64_u32 v[8:9], s[0:1], s8, v15, 0
	v_add3_u32 v3, v9, v17, v16
	v_mul_lo_u32 v9, v11, s46
	v_mul_lo_u32 v15, v10, s47
	v_mad_u64_u32 v[16:17], s[0:1], v10, s46, 0
	v_add3_u32 v9, v17, v15, v9
	v_sub_co_u32_e32 v8, vcc, v8, v16
	v_subb_co_u32_e32 v3, vcc, v3, v9, vcc
	v_add_co_u32_e32 v8, vcc, v0, v8
	v_addc_co_u32_e32 v3, vcc, v1, v3, vcc
	v_mul_lo_u32 v3, v3, s6
	v_mul_lo_u32 v15, v8, s7
	v_mad_u64_u32 v[8:9], s[0:1], v8, s6, 0
	v_add3_u32 v9, v9, v15, v3
	v_mul_lo_u32 v3, v11, s4
	v_mul_lo_u32 v15, v10, s5
	v_mad_u64_u32 v[10:11], s[0:1], v10, s4, 0
	v_add3_u32 v11, v11, v15, v3
	v_lshlrev_b64 v[10:11], 1, v[10:11]
	v_mov_b32_e32 v3, s45
	v_add_co_u32_e32 v10, vcc, s44, v10
	v_addc_co_u32_e32 v3, vcc, v3, v11, vcc
	v_lshlrev_b64 v[8:9], 1, v[8:9]
	v_add_co_u32_e32 v8, vcc, v10, v8
	v_addc_co_u32_e32 v9, vcc, v3, v9, vcc
	global_load_ushort v16, v[8:9], off
	v_add_co_u32_e32 v10, vcc, 4, v6
	v_addc_co_u32_e32 v3, vcc, 0, v7, vcc
	v_mul_lo_u32 v11, s9, v10
	v_mul_lo_u32 v15, s8, v3
	v_mad_u64_u32 v[6:7], s[0:1], s8, v10, v[0:1]
	v_add3_u32 v7, v11, v7, v15
	v_or_b32_e32 v3, s47, v7
	v_cmp_ne_u64_e32 vcc, 0, v[2:3]
                                        ; implicit-def: $vgpr8_vgpr9
	s_and_saveexec_b64 s[0:1], vcc
	s_xor_b64 s[54:55], exec, s[0:1]
	s_cbranch_execz .LBB59_25
; %bb.24:                               ;   in Loop: Header=BB59_3 Depth=1
	s_ashr_i32 s56, s47, 31
	s_add_u32 s0, s46, s56
	s_mov_b32 s57, s56
	s_addc_u32 s1, s47, s56
	s_xor_b64 s[58:59], s[0:1], s[56:57]
	v_cvt_f32_u32_e32 v3, s58
	v_cvt_f32_u32_e32 v8, s59
	s_sub_u32 s0, 0, s58
	s_subb_u32 s1, 0, s59
	v_mac_f32_e32 v3, 0x4f800000, v8
	v_rcp_f32_e32 v3, v3
	v_mul_f32_e32 v3, 0x5f7ffffc, v3
	v_mul_f32_e32 v8, 0x2f800000, v3
	v_trunc_f32_e32 v8, v8
	v_mac_f32_e32 v3, 0xcf800000, v8
	v_cvt_u32_f32_e32 v8, v8
	v_cvt_u32_f32_e32 v3, v3
	v_mul_lo_u32 v9, s0, v8
	v_mul_hi_u32 v17, s0, v3
	v_mul_lo_u32 v14, s1, v3
	v_add_u32_e32 v9, v17, v9
	v_mul_lo_u32 v21, s0, v3
	v_add_u32_e32 v9, v9, v14
	v_mul_lo_u32 v17, v3, v9
	v_mul_hi_u32 v22, v3, v21
	v_mul_hi_u32 v14, v3, v9
	v_add_co_u32_e32 v17, vcc, v22, v17
	v_addc_co_u32_e32 v14, vcc, 0, v14, vcc
	v_mul_hi_u32 v23, v8, v21
	v_mul_lo_u32 v21, v8, v21
	v_add_co_u32_e32 v17, vcc, v17, v21
	v_mul_hi_u32 v22, v8, v9
	v_addc_co_u32_e32 v14, vcc, v14, v23, vcc
	v_addc_co_u32_e32 v17, vcc, 0, v22, vcc
	v_mul_lo_u32 v9, v8, v9
	v_add_co_u32_e32 v9, vcc, v14, v9
	v_addc_co_u32_e32 v14, vcc, 0, v17, vcc
	v_add_co_u32_e32 v3, vcc, v3, v9
	v_addc_co_u32_e32 v8, vcc, v8, v14, vcc
	v_mul_lo_u32 v9, s0, v8
	v_mul_hi_u32 v14, s0, v3
	v_add_u32_e32 v9, v14, v9
	v_mul_lo_u32 v14, s1, v3
	v_add_u32_e32 v9, v9, v14
	v_mul_lo_u32 v17, s0, v3
	v_mul_hi_u32 v21, v8, v17
	v_mul_lo_u32 v22, v8, v17
	v_mul_lo_u32 v24, v3, v9
	v_mul_hi_u32 v17, v3, v17
	v_mul_hi_u32 v23, v3, v9
	v_add_co_u32_e32 v17, vcc, v17, v24
	v_addc_co_u32_e32 v23, vcc, 0, v23, vcc
	v_add_co_u32_e32 v17, vcc, v17, v22
	v_mul_hi_u32 v14, v8, v9
	v_addc_co_u32_e32 v17, vcc, v23, v21, vcc
	v_addc_co_u32_e32 v14, vcc, 0, v14, vcc
	v_mul_lo_u32 v9, v8, v9
	v_add_co_u32_e32 v9, vcc, v17, v9
	v_addc_co_u32_e32 v14, vcc, 0, v14, vcc
	v_add_co_u32_e32 v3, vcc, v3, v9
	v_addc_co_u32_e32 v8, vcc, v8, v14, vcc
	v_ashrrev_i32_e32 v14, 31, v7
	v_add_co_u32_e32 v6, vcc, v6, v14
	v_addc_co_u32_e32 v7, vcc, v7, v14, vcc
	v_xor_b32_e32 v21, v6, v14
	v_xor_b32_e32 v17, v7, v14
	v_mad_u64_u32 v[6:7], s[0:1], v21, v8, 0
	v_mul_hi_u32 v9, v21, v3
	v_add_co_u32_e32 v22, vcc, v9, v6
	v_addc_co_u32_e32 v23, vcc, 0, v7, vcc
	v_mad_u64_u32 v[6:7], s[0:1], v17, v8, 0
	v_mad_u64_u32 v[8:9], s[0:1], v17, v3, 0
	v_add_co_u32_e32 v3, vcc, v22, v8
	v_addc_co_u32_e32 v3, vcc, v23, v9, vcc
	v_addc_co_u32_e32 v7, vcc, 0, v7, vcc
	v_add_co_u32_e32 v3, vcc, v3, v6
	v_addc_co_u32_e32 v8, vcc, 0, v7, vcc
	v_mul_lo_u32 v9, s59, v3
	v_mul_lo_u32 v22, s58, v8
	v_mad_u64_u32 v[6:7], s[0:1], s58, v3, 0
	v_add3_u32 v7, v7, v22, v9
	v_sub_u32_e32 v9, v17, v7
	v_mov_b32_e32 v22, s59
	v_sub_co_u32_e32 v6, vcc, v21, v6
	v_subb_co_u32_e64 v9, s[0:1], v9, v22, vcc
	v_subrev_co_u32_e64 v21, s[0:1], s58, v6
	v_subbrev_co_u32_e64 v9, s[0:1], 0, v9, s[0:1]
	v_cmp_le_u32_e64 s[0:1], s59, v9
	v_cndmask_b32_e64 v22, 0, -1, s[0:1]
	v_cmp_le_u32_e64 s[0:1], s58, v21
	v_cndmask_b32_e64 v21, 0, -1, s[0:1]
	v_cmp_eq_u32_e64 s[0:1], s59, v9
	v_cndmask_b32_e64 v9, v22, v21, s[0:1]
	v_add_co_u32_e64 v21, s[0:1], 2, v3
	v_subb_co_u32_e32 v7, vcc, v17, v7, vcc
	v_addc_co_u32_e64 v22, s[0:1], 0, v8, s[0:1]
	v_cmp_le_u32_e32 vcc, s59, v7
	v_add_co_u32_e64 v23, s[0:1], 1, v3
	v_cndmask_b32_e64 v17, 0, -1, vcc
	v_cmp_le_u32_e32 vcc, s58, v6
	v_addc_co_u32_e64 v24, s[0:1], 0, v8, s[0:1]
	v_cndmask_b32_e64 v6, 0, -1, vcc
	v_cmp_eq_u32_e32 vcc, s59, v7
	v_cmp_ne_u32_e64 s[0:1], 0, v9
	v_cndmask_b32_e32 v6, v17, v6, vcc
	v_cmp_ne_u32_e32 vcc, 0, v6
	v_cndmask_b32_e64 v7, v23, v21, s[0:1]
	v_cndmask_b32_e64 v9, v24, v22, s[0:1]
	v_cndmask_b32_e32 v3, v3, v7, vcc
	v_xor_b32_e32 v7, s56, v14
	v_cndmask_b32_e32 v6, v8, v9, vcc
	v_xor_b32_e32 v3, v3, v7
	v_xor_b32_e32 v6, v6, v7
	v_sub_co_u32_e32 v8, vcc, v3, v7
	v_subb_co_u32_e32 v9, vcc, v6, v7, vcc
                                        ; implicit-def: $vgpr14
                                        ; implicit-def: $vgpr6_vgpr7
.LBB59_25:                              ;   in Loop: Header=BB59_3 Depth=1
	s_andn2_saveexec_b64 s[0:1], s[54:55]
	s_cbranch_execz .LBB59_27
; %bb.26:                               ;   in Loop: Header=BB59_3 Depth=1
	v_rcp_iflag_f32_e32 v3, v14
	s_sub_i32 s54, 0, s46
	v_mov_b32_e32 v9, v2
	v_mul_f32_e32 v3, 0x4f7ffffe, v3
	v_cvt_u32_f32_e32 v3, v3
	v_mul_lo_u32 v7, s54, v3
	v_mul_hi_u32 v7, v3, v7
	v_add_u32_e32 v3, v3, v7
	v_mul_hi_u32 v3, v6, v3
	v_mul_lo_u32 v7, v3, s46
	v_sub_u32_e32 v6, v6, v7
	v_add_u32_e32 v8, 1, v3
	v_subrev_u32_e32 v7, s46, v6
	v_cmp_le_u32_e32 vcc, s46, v6
	v_cndmask_b32_e32 v6, v6, v7, vcc
	v_cndmask_b32_e32 v3, v3, v8, vcc
	v_add_u32_e32 v7, 1, v3
	v_cmp_le_u32_e32 vcc, s46, v6
	v_cndmask_b32_e32 v8, v3, v7, vcc
.LBB59_27:                              ;   in Loop: Header=BB59_3 Depth=1
	s_or_b64 exec, exec, s[0:1]
	v_mad_u64_u32 v[6:7], s[0:1], s8, v10, 0
	v_add3_u32 v3, v7, v15, v11
	v_mul_lo_u32 v7, v9, s46
	v_mul_lo_u32 v14, v8, s47
	v_mad_u64_u32 v[10:11], s[0:1], v8, s46, 0
	v_add3_u32 v7, v11, v14, v7
	v_sub_co_u32_e32 v6, vcc, v6, v10
	v_subb_co_u32_e32 v3, vcc, v3, v7, vcc
	v_add_co_u32_e32 v6, vcc, v0, v6
	v_addc_co_u32_e32 v3, vcc, v1, v3, vcc
	v_mul_lo_u32 v3, v3, s6
	v_mul_lo_u32 v10, v6, s7
	v_mad_u64_u32 v[6:7], s[0:1], v6, s6, 0
	v_add3_u32 v7, v7, v10, v3
	v_mul_lo_u32 v3, v9, s4
	v_mul_lo_u32 v10, v8, s5
	v_mad_u64_u32 v[8:9], s[0:1], v8, s4, 0
	v_add3_u32 v9, v9, v10, v3
	v_lshlrev_b64 v[8:9], 1, v[8:9]
	v_mov_b32_e32 v3, s45
	v_add_co_u32_e32 v8, vcc, s44, v8
	v_addc_co_u32_e32 v3, vcc, v3, v9, vcc
	v_lshlrev_b64 v[6:7], 1, v[6:7]
	v_add_co_u32_e32 v6, vcc, v8, v6
	v_addc_co_u32_e32 v7, vcc, v3, v7, vcc
	global_load_ushort v14, v[6:7], off
	v_or_b32_e32 v3, s39, v1
	v_cmp_ne_u64_e32 vcc, 0, v[2:3]
                                        ; implicit-def: $vgpr6_vgpr7
	s_and_saveexec_b64 s[0:1], vcc
	s_xor_b64 s[54:55], exec, s[0:1]
	s_cbranch_execz .LBB59_29
; %bb.28:                               ;   in Loop: Header=BB59_3 Depth=1
	s_ashr_i32 s56, s39, 31
	s_add_u32 s0, s38, s56
	s_mov_b32 s57, s56
	s_addc_u32 s1, s39, s56
	s_xor_b64 s[58:59], s[0:1], s[56:57]
	v_cvt_f32_u32_e32 v3, s58
	v_cvt_f32_u32_e32 v6, s59
	s_sub_u32 s0, 0, s58
	s_subb_u32 s1, 0, s59
	v_mac_f32_e32 v3, 0x4f800000, v6
	v_rcp_f32_e32 v3, v3
	v_mul_f32_e32 v3, 0x5f7ffffc, v3
	v_mul_f32_e32 v6, 0x2f800000, v3
	v_trunc_f32_e32 v6, v6
	v_mac_f32_e32 v3, 0xcf800000, v6
	v_cvt_u32_f32_e32 v6, v6
	v_cvt_u32_f32_e32 v3, v3
	v_mul_lo_u32 v7, s0, v6
	v_mul_hi_u32 v9, s0, v3
	v_mul_lo_u32 v8, s1, v3
	v_add_u32_e32 v7, v9, v7
	v_mul_lo_u32 v10, s0, v3
	v_add_u32_e32 v7, v7, v8
	v_mul_lo_u32 v9, v3, v7
	v_mul_hi_u32 v11, v3, v10
	v_mul_hi_u32 v8, v3, v7
	v_add_co_u32_e32 v9, vcc, v11, v9
	v_addc_co_u32_e32 v8, vcc, 0, v8, vcc
	v_mul_hi_u32 v15, v6, v10
	v_mul_lo_u32 v10, v6, v10
	v_add_co_u32_e32 v9, vcc, v9, v10
	v_mul_hi_u32 v11, v6, v7
	v_addc_co_u32_e32 v8, vcc, v8, v15, vcc
	v_addc_co_u32_e32 v9, vcc, 0, v11, vcc
	v_mul_lo_u32 v7, v6, v7
	v_add_co_u32_e32 v7, vcc, v8, v7
	v_addc_co_u32_e32 v8, vcc, 0, v9, vcc
	v_add_co_u32_e32 v3, vcc, v3, v7
	v_addc_co_u32_e32 v6, vcc, v6, v8, vcc
	v_mul_lo_u32 v7, s0, v6
	v_mul_hi_u32 v8, s0, v3
	v_add_u32_e32 v7, v8, v7
	v_mul_lo_u32 v8, s1, v3
	v_add_u32_e32 v7, v7, v8
	v_mul_lo_u32 v9, s0, v3
	v_mul_hi_u32 v10, v6, v9
	v_mul_lo_u32 v11, v6, v9
	v_mul_lo_u32 v17, v3, v7
	v_mul_hi_u32 v9, v3, v9
	v_mul_hi_u32 v15, v3, v7
	v_add_co_u32_e32 v9, vcc, v9, v17
	v_addc_co_u32_e32 v15, vcc, 0, v15, vcc
	v_add_co_u32_e32 v9, vcc, v9, v11
	v_mul_hi_u32 v8, v6, v7
	v_addc_co_u32_e32 v9, vcc, v15, v10, vcc
	v_addc_co_u32_e32 v8, vcc, 0, v8, vcc
	v_mul_lo_u32 v7, v6, v7
	v_add_co_u32_e32 v7, vcc, v9, v7
	v_addc_co_u32_e32 v8, vcc, 0, v8, vcc
	v_add_co_u32_e32 v3, vcc, v3, v7
	v_addc_co_u32_e32 v8, vcc, v6, v8, vcc
	;; [unrolled: 2-line block ×3, first 2 shown]
	v_xor_b32_e32 v11, v6, v19
	v_xor_b32_e32 v10, v7, v19
	v_mad_u64_u32 v[6:7], s[0:1], v11, v8, 0
	v_mul_hi_u32 v9, v11, v3
	v_add_co_u32_e32 v15, vcc, v9, v6
	v_addc_co_u32_e32 v17, vcc, 0, v7, vcc
	v_mad_u64_u32 v[6:7], s[0:1], v10, v8, 0
	v_mad_u64_u32 v[8:9], s[0:1], v10, v3, 0
	v_add_co_u32_e32 v3, vcc, v15, v8
	v_addc_co_u32_e32 v3, vcc, v17, v9, vcc
	v_addc_co_u32_e32 v7, vcc, 0, v7, vcc
	v_add_co_u32_e32 v3, vcc, v3, v6
	v_addc_co_u32_e32 v8, vcc, 0, v7, vcc
	v_mul_lo_u32 v9, s59, v3
	v_mul_lo_u32 v15, s58, v8
	v_mad_u64_u32 v[6:7], s[0:1], s58, v3, 0
	v_add3_u32 v7, v7, v15, v9
	v_sub_u32_e32 v9, v10, v7
	v_mov_b32_e32 v15, s59
	v_sub_co_u32_e32 v6, vcc, v11, v6
	v_subb_co_u32_e64 v9, s[0:1], v9, v15, vcc
	v_subrev_co_u32_e64 v11, s[0:1], s58, v6
	v_subbrev_co_u32_e64 v9, s[0:1], 0, v9, s[0:1]
	v_cmp_le_u32_e64 s[0:1], s59, v9
	v_cndmask_b32_e64 v15, 0, -1, s[0:1]
	v_cmp_le_u32_e64 s[0:1], s58, v11
	v_cndmask_b32_e64 v11, 0, -1, s[0:1]
	v_cmp_eq_u32_e64 s[0:1], s59, v9
	v_cndmask_b32_e64 v9, v15, v11, s[0:1]
	v_add_co_u32_e64 v11, s[0:1], 2, v3
	v_subb_co_u32_e32 v7, vcc, v10, v7, vcc
	v_addc_co_u32_e64 v15, s[0:1], 0, v8, s[0:1]
	v_cmp_le_u32_e32 vcc, s59, v7
	v_add_co_u32_e64 v17, s[0:1], 1, v3
	v_cndmask_b32_e64 v10, 0, -1, vcc
	v_cmp_le_u32_e32 vcc, s58, v6
	v_addc_co_u32_e64 v21, s[0:1], 0, v8, s[0:1]
	v_cndmask_b32_e64 v6, 0, -1, vcc
	v_cmp_eq_u32_e32 vcc, s59, v7
	v_cmp_ne_u32_e64 s[0:1], 0, v9
	v_cndmask_b32_e32 v6, v10, v6, vcc
	v_cmp_ne_u32_e32 vcc, 0, v6
	v_cndmask_b32_e64 v7, v17, v11, s[0:1]
	v_cndmask_b32_e64 v9, v21, v15, s[0:1]
	v_cndmask_b32_e32 v3, v3, v7, vcc
	v_xor_b32_e32 v7, s56, v19
	v_cndmask_b32_e32 v6, v8, v9, vcc
	v_xor_b32_e32 v3, v3, v7
	v_xor_b32_e32 v8, v6, v7
	v_sub_co_u32_e32 v6, vcc, v3, v7
	v_subb_co_u32_e32 v7, vcc, v8, v7, vcc
.LBB59_29:                              ;   in Loop: Header=BB59_3 Depth=1
	s_andn2_saveexec_b64 s[0:1], s[54:55]
	s_cbranch_execz .LBB59_31
; %bb.30:                               ;   in Loop: Header=BB59_3 Depth=1
	v_cvt_f32_u32_e32 v3, s38
	s_sub_i32 s54, 0, s38
	v_rcp_iflag_f32_e32 v3, v3
	v_mul_f32_e32 v3, 0x4f7ffffe, v3
	v_cvt_u32_f32_e32 v3, v3
	v_mul_lo_u32 v6, s54, v3
	v_mul_hi_u32 v6, v3, v6
	v_add_u32_e32 v3, v3, v6
	v_mul_hi_u32 v3, v0, v3
	v_mul_lo_u32 v6, v3, s38
	v_sub_u32_e32 v6, v0, v6
	v_add_u32_e32 v7, 1, v3
	v_subrev_u32_e32 v8, s38, v6
	v_cmp_le_u32_e32 vcc, s38, v6
	v_cndmask_b32_e32 v6, v6, v8, vcc
	v_cndmask_b32_e32 v3, v3, v7, vcc
	v_add_u32_e32 v7, 1, v3
	v_cmp_le_u32_e32 vcc, s38, v6
	v_cndmask_b32_e32 v6, v3, v7, vcc
	v_mov_b32_e32 v7, v2
.LBB59_31:                              ;   in Loop: Header=BB59_3 Depth=1
	s_or_b64 exec, exec, s[0:1]
	v_mad_u64_u32 v[8:9], s[0:1], s61, v6, v[0:1]
	v_mul_lo_u32 v3, s61, v7
	v_mul_lo_u32 v10, s62, v6
	v_add3_u32 v3, v10, v9, v3
	v_mul_lo_u32 v10, v8, s23
	v_mul_lo_u32 v3, v3, s22
	v_mad_u64_u32 v[8:9], s[0:1], v8, s22, 0
	v_add3_u32 v9, v9, v10, v3
	v_mul_lo_u32 v3, v7, s20
	v_mul_lo_u32 v10, v6, s21
	v_mad_u64_u32 v[6:7], s[0:1], v6, s20, 0
	v_add3_u32 v7, v7, v10, v3
	v_lshlrev_b64 v[6:7], 1, v[6:7]
	v_mov_b32_e32 v3, s37
	v_add_co_u32_e32 v10, vcc, s36, v6
	v_addc_co_u32_e32 v3, vcc, v3, v7, vcc
	v_lshlrev_b64 v[6:7], 1, v[8:9]
	v_add_co_u32_e32 v6, vcc, v10, v6
	v_addc_co_u32_e32 v7, vcc, v3, v7, vcc
	global_load_ushort v21, v[6:7], off
	v_mul_lo_u32 v15, s51, v4
	v_mul_lo_u32 v22, s50, v5
	v_mad_u64_u32 v[6:7], s[0:1], s50, v4, v[0:1]
	v_add3_u32 v7, v15, v7, v22
	v_or_b32_e32 v3, s29, v7
	v_cmp_ne_u64_e32 vcc, 0, v[2:3]
	v_ashrrev_i32_e32 v23, 31, v7
                                        ; implicit-def: $vgpr8_vgpr9
	s_and_saveexec_b64 s[0:1], vcc
	s_xor_b64 s[54:55], exec, s[0:1]
	s_cbranch_execz .LBB59_33
; %bb.32:                               ;   in Loop: Header=BB59_3 Depth=1
	s_ashr_i32 s56, s29, 31
	s_add_u32 s0, s28, s56
	s_mov_b32 s57, s56
	s_addc_u32 s1, s29, s56
	s_xor_b64 s[58:59], s[0:1], s[56:57]
	v_cvt_f32_u32_e32 v3, s58
	v_cvt_f32_u32_e32 v8, s59
	s_sub_u32 s0, 0, s58
	s_subb_u32 s1, 0, s59
	v_mac_f32_e32 v3, 0x4f800000, v8
	v_rcp_f32_e32 v3, v3
	v_mul_f32_e32 v3, 0x5f7ffffc, v3
	v_mul_f32_e32 v8, 0x2f800000, v3
	v_trunc_f32_e32 v8, v8
	v_mac_f32_e32 v3, 0xcf800000, v8
	v_cvt_u32_f32_e32 v8, v8
	v_cvt_u32_f32_e32 v3, v3
	v_mul_lo_u32 v9, s0, v8
	v_mul_hi_u32 v11, s0, v3
	v_mul_lo_u32 v10, s1, v3
	v_add_u32_e32 v9, v11, v9
	v_mul_lo_u32 v17, s0, v3
	v_add_u32_e32 v9, v9, v10
	v_mul_lo_u32 v11, v3, v9
	v_mul_hi_u32 v24, v3, v17
	v_mul_hi_u32 v10, v3, v9
	v_add_co_u32_e32 v11, vcc, v24, v11
	v_addc_co_u32_e32 v10, vcc, 0, v10, vcc
	v_mul_hi_u32 v25, v8, v17
	v_mul_lo_u32 v17, v8, v17
	v_add_co_u32_e32 v11, vcc, v11, v17
	v_mul_hi_u32 v24, v8, v9
	v_addc_co_u32_e32 v10, vcc, v10, v25, vcc
	v_addc_co_u32_e32 v11, vcc, 0, v24, vcc
	v_mul_lo_u32 v9, v8, v9
	v_add_co_u32_e32 v9, vcc, v10, v9
	v_addc_co_u32_e32 v10, vcc, 0, v11, vcc
	v_add_co_u32_e32 v3, vcc, v3, v9
	v_addc_co_u32_e32 v8, vcc, v8, v10, vcc
	v_mul_lo_u32 v9, s0, v8
	v_mul_hi_u32 v10, s0, v3
	v_add_u32_e32 v9, v10, v9
	v_mul_lo_u32 v10, s1, v3
	v_add_u32_e32 v9, v9, v10
	v_mul_lo_u32 v11, s0, v3
	v_mul_hi_u32 v17, v8, v11
	v_mul_lo_u32 v24, v8, v11
	v_mul_lo_u32 v26, v3, v9
	v_mul_hi_u32 v11, v3, v11
	v_mul_hi_u32 v25, v3, v9
	v_add_co_u32_e32 v11, vcc, v11, v26
	v_addc_co_u32_e32 v25, vcc, 0, v25, vcc
	v_add_co_u32_e32 v11, vcc, v11, v24
	v_mul_hi_u32 v10, v8, v9
	v_addc_co_u32_e32 v11, vcc, v25, v17, vcc
	v_addc_co_u32_e32 v10, vcc, 0, v10, vcc
	v_mul_lo_u32 v9, v8, v9
	v_add_co_u32_e32 v9, vcc, v11, v9
	v_addc_co_u32_e32 v10, vcc, 0, v10, vcc
	v_add_co_u32_e32 v3, vcc, v3, v9
	v_addc_co_u32_e32 v10, vcc, v8, v10, vcc
	;; [unrolled: 2-line block ×3, first 2 shown]
	v_xor_b32_e32 v24, v8, v23
	v_xor_b32_e32 v17, v9, v23
	v_mad_u64_u32 v[8:9], s[0:1], v24, v10, 0
	v_mul_hi_u32 v11, v24, v3
	v_add_co_u32_e32 v25, vcc, v11, v8
	v_addc_co_u32_e32 v26, vcc, 0, v9, vcc
	v_mad_u64_u32 v[8:9], s[0:1], v17, v10, 0
	v_mad_u64_u32 v[10:11], s[0:1], v17, v3, 0
	v_add_co_u32_e32 v3, vcc, v25, v10
	v_addc_co_u32_e32 v3, vcc, v26, v11, vcc
	v_addc_co_u32_e32 v9, vcc, 0, v9, vcc
	v_add_co_u32_e32 v3, vcc, v3, v8
	v_addc_co_u32_e32 v10, vcc, 0, v9, vcc
	v_mul_lo_u32 v11, s59, v3
	v_mul_lo_u32 v25, s58, v10
	v_mad_u64_u32 v[8:9], s[0:1], s58, v3, 0
	v_add3_u32 v9, v9, v25, v11
	v_sub_u32_e32 v11, v17, v9
	v_mov_b32_e32 v25, s59
	v_sub_co_u32_e32 v8, vcc, v24, v8
	v_subb_co_u32_e64 v11, s[0:1], v11, v25, vcc
	v_subrev_co_u32_e64 v24, s[0:1], s58, v8
	v_subbrev_co_u32_e64 v11, s[0:1], 0, v11, s[0:1]
	v_cmp_le_u32_e64 s[0:1], s59, v11
	v_cndmask_b32_e64 v25, 0, -1, s[0:1]
	v_cmp_le_u32_e64 s[0:1], s58, v24
	v_cndmask_b32_e64 v24, 0, -1, s[0:1]
	v_cmp_eq_u32_e64 s[0:1], s59, v11
	v_cndmask_b32_e64 v11, v25, v24, s[0:1]
	v_add_co_u32_e64 v24, s[0:1], 2, v3
	v_subb_co_u32_e32 v9, vcc, v17, v9, vcc
	v_addc_co_u32_e64 v25, s[0:1], 0, v10, s[0:1]
	v_cmp_le_u32_e32 vcc, s59, v9
	v_add_co_u32_e64 v26, s[0:1], 1, v3
	v_cndmask_b32_e64 v17, 0, -1, vcc
	v_cmp_le_u32_e32 vcc, s58, v8
	v_addc_co_u32_e64 v27, s[0:1], 0, v10, s[0:1]
	v_cndmask_b32_e64 v8, 0, -1, vcc
	v_cmp_eq_u32_e32 vcc, s59, v9
	v_cmp_ne_u32_e64 s[0:1], 0, v11
	v_cndmask_b32_e32 v8, v17, v8, vcc
	v_cmp_ne_u32_e32 vcc, 0, v8
	v_cndmask_b32_e64 v9, v26, v24, s[0:1]
	v_cndmask_b32_e64 v11, v27, v25, s[0:1]
	v_cndmask_b32_e32 v3, v3, v9, vcc
	v_xor_b32_e32 v9, s56, v23
	v_cndmask_b32_e32 v8, v10, v11, vcc
	v_xor_b32_e32 v3, v3, v9
	v_xor_b32_e32 v10, v8, v9
	v_sub_co_u32_e32 v8, vcc, v3, v9
	v_subb_co_u32_e32 v9, vcc, v10, v9, vcc
.LBB59_33:                              ;   in Loop: Header=BB59_3 Depth=1
	s_or_saveexec_b64 s[0:1], s[54:55]
	v_cvt_f32_u32_e32 v29, s28
	s_xor_b64 exec, exec, s[0:1]
	s_cbranch_execz .LBB59_35
; %bb.34:                               ;   in Loop: Header=BB59_3 Depth=1
	v_rcp_iflag_f32_e32 v3, v29
	s_sub_i32 s54, 0, s28
	v_mul_f32_e32 v3, 0x4f7ffffe, v3
	v_cvt_u32_f32_e32 v3, v3
	v_mul_lo_u32 v8, s54, v3
	v_mul_hi_u32 v8, v3, v8
	v_add_u32_e32 v3, v3, v8
	v_mul_hi_u32 v3, v6, v3
	v_mul_lo_u32 v8, v3, s28
	v_sub_u32_e32 v8, v6, v8
	v_add_u32_e32 v9, 1, v3
	v_subrev_u32_e32 v10, s28, v8
	v_cmp_le_u32_e32 vcc, s28, v8
	v_cndmask_b32_e32 v8, v8, v10, vcc
	v_cndmask_b32_e32 v3, v3, v9, vcc
	v_add_u32_e32 v9, 1, v3
	v_cmp_le_u32_e32 vcc, s28, v8
	v_cndmask_b32_e32 v8, v3, v9, vcc
	v_mov_b32_e32 v9, v2
.LBB59_35:                              ;   in Loop: Header=BB59_3 Depth=1
	s_or_b64 exec, exec, s[0:1]
	s_waitcnt vmcnt(4)
	v_cvt_f32_f16_e32 v17, v20
	s_waitcnt vmcnt(0)
	v_cvt_f32_f16_e32 v27, v21
	v_mad_u64_u32 v[10:11], s[0:1], s50, v4, 0
	v_add3_u32 v26, v11, v22, v15
	v_cvt_f32_f16_e32 v14, v14
	v_cvt_f32_f16_e32 v11, v12
	v_sub_f32_e32 v30, 1.0, v17
	v_mul_f32_e32 v3, v30, v27
	v_fma_mix_f32 v15, -v13, v13, s65 op_sel_hi:[1,1,0]
	v_mul_f32_e32 v22, v15, v3
	v_mul_f32_e32 v3, v22, v14
	v_sub_f32_e32 v14, 1.0, v11
	v_mul_f32_e32 v3, v14, v3
	v_fma_mixlo_f16 v25, v3, v12, 0 op_sel_hi:[0,1,0]
	v_mul_lo_u32 v3, v9, s28
	v_mul_lo_u32 v12, v8, s29
	v_mad_u64_u32 v[14:15], s[0:1], v8, s28, 0
	v_add3_u32 v3, v15, v12, v3
	v_sub_co_u32_e32 v12, vcc, v10, v14
	v_subb_co_u32_e32 v3, vcc, v26, v3, vcc
	v_add_co_u32_e32 v12, vcc, v0, v12
	v_addc_co_u32_e32 v3, vcc, v1, v3, vcc
	v_mul_lo_u32 v3, v3, s14
	v_mul_lo_u32 v24, v12, s15
	v_mad_u64_u32 v[14:15], s[0:1], v12, s14, 0
	v_add3_u32 v15, v15, v24, v3
	v_mul_lo_u32 v3, v9, s12
	v_mul_lo_u32 v12, v8, s13
	v_mad_u64_u32 v[8:9], s[0:1], v8, s12, 0
	v_add3_u32 v9, v9, v12, v3
	v_lshlrev_b64 v[8:9], 1, v[8:9]
	v_mov_b32_e32 v3, s3
	v_add_co_u32_e32 v12, vcc, s2, v8
	v_addc_co_u32_e32 v3, vcc, v3, v9, vcc
	v_lshlrev_b64 v[8:9], 1, v[14:15]
	v_add_co_u32_e32 v8, vcc, v12, v8
	v_addc_co_u32_e32 v9, vcc, v3, v9, vcc
	global_store_short v[8:9], v25, off
	v_lshlrev_b64 v[8:9], 1, v[4:5]
	v_or_b32_e32 v12, 1, v8
	v_mul_lo_u32 v28, s9, v12
	v_mul_lo_u32 v31, s8, v9
	v_mad_u64_u32 v[4:5], s[0:1], s8, v12, v[0:1]
	v_add3_u32 v5, v28, v5, v31
	v_or_b32_e32 v3, s29, v5
	v_cmp_ne_u64_e32 vcc, 0, v[2:3]
	v_ashrrev_i32_e32 v24, 31, v5
                                        ; implicit-def: $vgpr14_vgpr15
	s_and_saveexec_b64 s[0:1], vcc
	s_xor_b64 s[54:55], exec, s[0:1]
	s_cbranch_execz .LBB59_37
; %bb.36:                               ;   in Loop: Header=BB59_3 Depth=1
	s_ashr_i32 s56, s29, 31
	s_add_u32 s0, s28, s56
	s_mov_b32 s57, s56
	s_addc_u32 s1, s29, s56
	s_xor_b64 s[58:59], s[0:1], s[56:57]
	v_cvt_f32_u32_e32 v3, s58
	v_cvt_f32_u32_e32 v14, s59
	s_sub_u32 s0, 0, s58
	s_subb_u32 s1, 0, s59
	v_mac_f32_e32 v3, 0x4f800000, v14
	v_rcp_f32_e32 v3, v3
	v_mul_f32_e32 v3, 0x5f7ffffc, v3
	v_mul_f32_e32 v14, 0x2f800000, v3
	v_trunc_f32_e32 v14, v14
	v_mac_f32_e32 v3, 0xcf800000, v14
	v_cvt_u32_f32_e32 v14, v14
	v_cvt_u32_f32_e32 v3, v3
	v_mul_lo_u32 v15, s0, v14
	v_mul_hi_u32 v33, s0, v3
	v_mul_lo_u32 v32, s1, v3
	v_add_u32_e32 v15, v33, v15
	v_mul_lo_u32 v34, s0, v3
	v_add_u32_e32 v15, v15, v32
	v_mul_lo_u32 v33, v3, v15
	v_mul_hi_u32 v35, v3, v34
	v_mul_hi_u32 v32, v3, v15
	v_add_co_u32_e32 v33, vcc, v35, v33
	v_addc_co_u32_e32 v32, vcc, 0, v32, vcc
	v_mul_hi_u32 v36, v14, v34
	v_mul_lo_u32 v34, v14, v34
	v_add_co_u32_e32 v33, vcc, v33, v34
	v_mul_hi_u32 v35, v14, v15
	v_addc_co_u32_e32 v32, vcc, v32, v36, vcc
	v_addc_co_u32_e32 v33, vcc, 0, v35, vcc
	v_mul_lo_u32 v15, v14, v15
	v_add_co_u32_e32 v15, vcc, v32, v15
	v_addc_co_u32_e32 v32, vcc, 0, v33, vcc
	v_add_co_u32_e32 v3, vcc, v3, v15
	v_addc_co_u32_e32 v14, vcc, v14, v32, vcc
	v_mul_lo_u32 v15, s0, v14
	v_mul_hi_u32 v32, s0, v3
	v_add_u32_e32 v15, v32, v15
	v_mul_lo_u32 v32, s1, v3
	v_add_u32_e32 v15, v15, v32
	v_mul_lo_u32 v33, s0, v3
	v_mul_hi_u32 v34, v14, v33
	v_mul_lo_u32 v35, v14, v33
	v_mul_lo_u32 v37, v3, v15
	v_mul_hi_u32 v33, v3, v33
	v_mul_hi_u32 v36, v3, v15
	v_add_co_u32_e32 v33, vcc, v33, v37
	v_addc_co_u32_e32 v36, vcc, 0, v36, vcc
	v_add_co_u32_e32 v33, vcc, v33, v35
	v_mul_hi_u32 v32, v14, v15
	v_addc_co_u32_e32 v33, vcc, v36, v34, vcc
	v_addc_co_u32_e32 v32, vcc, 0, v32, vcc
	v_mul_lo_u32 v15, v14, v15
	v_add_co_u32_e32 v15, vcc, v33, v15
	v_addc_co_u32_e32 v32, vcc, 0, v32, vcc
	v_add_co_u32_e32 v3, vcc, v3, v15
	v_addc_co_u32_e32 v32, vcc, v14, v32, vcc
	;; [unrolled: 2-line block ×3, first 2 shown]
	v_xor_b32_e32 v35, v14, v24
	v_xor_b32_e32 v34, v15, v24
	v_mad_u64_u32 v[14:15], s[0:1], v35, v32, 0
	v_mul_hi_u32 v33, v35, v3
	v_add_co_u32_e32 v36, vcc, v33, v14
	v_addc_co_u32_e32 v37, vcc, 0, v15, vcc
	v_mad_u64_u32 v[14:15], s[0:1], v34, v32, 0
	v_mad_u64_u32 v[32:33], s[0:1], v34, v3, 0
	v_add_co_u32_e32 v3, vcc, v36, v32
	v_addc_co_u32_e32 v3, vcc, v37, v33, vcc
	v_addc_co_u32_e32 v15, vcc, 0, v15, vcc
	v_add_co_u32_e32 v3, vcc, v3, v14
	v_addc_co_u32_e32 v32, vcc, 0, v15, vcc
	v_mul_lo_u32 v33, s59, v3
	v_mul_lo_u32 v36, s58, v32
	v_mad_u64_u32 v[14:15], s[0:1], s58, v3, 0
	v_add3_u32 v15, v15, v36, v33
	v_sub_u32_e32 v33, v34, v15
	v_mov_b32_e32 v36, s59
	v_sub_co_u32_e32 v14, vcc, v35, v14
	v_subb_co_u32_e64 v33, s[0:1], v33, v36, vcc
	v_subrev_co_u32_e64 v35, s[0:1], s58, v14
	v_subbrev_co_u32_e64 v33, s[0:1], 0, v33, s[0:1]
	v_cmp_le_u32_e64 s[0:1], s59, v33
	v_cndmask_b32_e64 v36, 0, -1, s[0:1]
	v_cmp_le_u32_e64 s[0:1], s58, v35
	v_cndmask_b32_e64 v35, 0, -1, s[0:1]
	v_cmp_eq_u32_e64 s[0:1], s59, v33
	v_cndmask_b32_e64 v33, v36, v35, s[0:1]
	v_add_co_u32_e64 v35, s[0:1], 2, v3
	v_subb_co_u32_e32 v15, vcc, v34, v15, vcc
	v_addc_co_u32_e64 v36, s[0:1], 0, v32, s[0:1]
	v_cmp_le_u32_e32 vcc, s59, v15
	v_add_co_u32_e64 v37, s[0:1], 1, v3
	v_cndmask_b32_e64 v34, 0, -1, vcc
	v_cmp_le_u32_e32 vcc, s58, v14
	v_addc_co_u32_e64 v38, s[0:1], 0, v32, s[0:1]
	v_cndmask_b32_e64 v14, 0, -1, vcc
	v_cmp_eq_u32_e32 vcc, s59, v15
	v_cmp_ne_u32_e64 s[0:1], 0, v33
	v_cndmask_b32_e32 v14, v34, v14, vcc
	v_cmp_ne_u32_e32 vcc, 0, v14
	v_cndmask_b32_e64 v15, v37, v35, s[0:1]
	v_cndmask_b32_e64 v33, v38, v36, s[0:1]
	v_cndmask_b32_e32 v3, v3, v15, vcc
	v_xor_b32_e32 v15, s56, v24
	v_cndmask_b32_e32 v14, v32, v33, vcc
	v_xor_b32_e32 v3, v3, v15
	v_xor_b32_e32 v32, v14, v15
	v_sub_co_u32_e32 v14, vcc, v3, v15
	v_subb_co_u32_e32 v15, vcc, v32, v15, vcc
.LBB59_37:                              ;   in Loop: Header=BB59_3 Depth=1
	s_andn2_saveexec_b64 s[0:1], s[54:55]
	s_cbranch_execz .LBB59_39
; %bb.38:                               ;   in Loop: Header=BB59_3 Depth=1
	v_rcp_iflag_f32_e32 v3, v29
	s_sub_i32 s54, 0, s28
	v_mul_f32_e32 v3, 0x4f7ffffe, v3
	v_cvt_u32_f32_e32 v3, v3
	v_mul_lo_u32 v14, s54, v3
	v_mul_hi_u32 v14, v3, v14
	v_add_u32_e32 v3, v3, v14
	v_mul_hi_u32 v3, v4, v3
	v_mul_lo_u32 v14, v3, s28
	v_sub_u32_e32 v14, v4, v14
	v_add_u32_e32 v15, 1, v3
	v_subrev_u32_e32 v32, s28, v14
	v_cmp_le_u32_e32 vcc, s28, v14
	v_cndmask_b32_e32 v14, v14, v32, vcc
	v_cndmask_b32_e32 v3, v3, v15, vcc
	v_add_u32_e32 v15, 1, v3
	v_cmp_le_u32_e32 vcc, s28, v14
	v_cndmask_b32_e32 v14, v3, v15, vcc
	v_mov_b32_e32 v15, v2
.LBB59_39:                              ;   in Loop: Header=BB59_3 Depth=1
	s_or_b64 exec, exec, s[0:1]
	v_cvt_f32_f16_e32 v3, v13
	v_cvt_f32_f16_e32 v16, v16
	v_mad_u64_u32 v[12:13], s[0:1], s8, v12, 0
	v_add3_u32 v28, v13, v31, v28
	v_sub_f32_e32 v3, v16, v3
	v_mul_f32_e32 v3, v3, v27
	v_mul_f32_e32 v3, v30, v3
	v_fma_mixlo_f16 v27, v3, v17, 0
	v_mul_lo_u32 v3, v15, s28
	v_mul_lo_u32 v13, v14, s29
	v_mad_u64_u32 v[16:17], s[0:1], v14, s28, 0
	v_add3_u32 v3, v17, v13, v3
	v_sub_co_u32_e32 v13, vcc, v12, v16
	v_subb_co_u32_e32 v3, vcc, v28, v3, vcc
	v_add_co_u32_e32 v13, vcc, v0, v13
	v_addc_co_u32_e32 v3, vcc, v1, v3, vcc
	v_mul_lo_u32 v3, v3, s14
	v_mul_lo_u32 v30, v13, s15
	v_mad_u64_u32 v[16:17], s[0:1], v13, s14, 0
	v_add3_u32 v17, v17, v30, v3
	v_mul_lo_u32 v3, v15, s12
	v_mul_lo_u32 v13, v14, s13
	v_mad_u64_u32 v[14:15], s[0:1], v14, s12, 0
	v_add3_u32 v15, v15, v13, v3
	v_lshlrev_b64 v[14:15], 1, v[14:15]
	v_mov_b32_e32 v3, s3
	v_add_co_u32_e32 v13, vcc, s2, v14
	v_addc_co_u32_e32 v3, vcc, v3, v15, vcc
	v_lshlrev_b64 v[14:15], 1, v[16:17]
	v_add_co_u32_e32 v14, vcc, v13, v14
	v_addc_co_u32_e32 v15, vcc, v3, v15, vcc
	global_store_short v[14:15], v27, off
	v_add_co_u32_e32 v14, vcc, 2, v8
	v_addc_co_u32_e32 v3, vcc, 0, v9, vcc
	v_mul_lo_u32 v30, s9, v14
	v_mul_lo_u32 v31, s8, v3
	v_mad_u64_u32 v[8:9], s[0:1], s8, v14, v[0:1]
	v_add3_u32 v9, v30, v9, v31
	v_or_b32_e32 v3, s29, v9
	v_cmp_ne_u64_e32 vcc, 0, v[2:3]
	v_ashrrev_i32_e32 v13, 31, v9
                                        ; implicit-def: $vgpr16_vgpr17
	s_and_saveexec_b64 s[0:1], vcc
	s_xor_b64 s[54:55], exec, s[0:1]
	s_cbranch_execz .LBB59_41
; %bb.40:                               ;   in Loop: Header=BB59_3 Depth=1
	s_ashr_i32 s56, s29, 31
	s_add_u32 s0, s28, s56
	s_mov_b32 s57, s56
	s_addc_u32 s1, s29, s56
	s_xor_b64 s[58:59], s[0:1], s[56:57]
	v_cvt_f32_u32_e32 v3, s58
	v_cvt_f32_u32_e32 v15, s59
	s_sub_u32 s0, 0, s58
	s_subb_u32 s1, 0, s59
	v_mac_f32_e32 v3, 0x4f800000, v15
	v_rcp_f32_e32 v3, v3
	v_mul_f32_e32 v3, 0x5f7ffffc, v3
	v_mul_f32_e32 v15, 0x2f800000, v3
	v_trunc_f32_e32 v15, v15
	v_mac_f32_e32 v3, 0xcf800000, v15
	v_cvt_u32_f32_e32 v15, v15
	v_cvt_u32_f32_e32 v3, v3
	v_mul_lo_u32 v16, s0, v15
	v_mul_hi_u32 v29, s0, v3
	v_mul_lo_u32 v17, s1, v3
	v_add_u32_e32 v16, v29, v16
	v_mul_lo_u32 v32, s0, v3
	v_add_u32_e32 v16, v16, v17
	v_mul_lo_u32 v29, v3, v16
	v_mul_hi_u32 v33, v3, v32
	v_mul_hi_u32 v17, v3, v16
	v_add_co_u32_e32 v29, vcc, v33, v29
	v_addc_co_u32_e32 v17, vcc, 0, v17, vcc
	v_mul_hi_u32 v34, v15, v32
	v_mul_lo_u32 v32, v15, v32
	v_add_co_u32_e32 v29, vcc, v29, v32
	v_mul_hi_u32 v33, v15, v16
	v_addc_co_u32_e32 v17, vcc, v17, v34, vcc
	v_addc_co_u32_e32 v29, vcc, 0, v33, vcc
	v_mul_lo_u32 v16, v15, v16
	v_add_co_u32_e32 v16, vcc, v17, v16
	v_addc_co_u32_e32 v17, vcc, 0, v29, vcc
	v_add_co_u32_e32 v3, vcc, v3, v16
	v_addc_co_u32_e32 v15, vcc, v15, v17, vcc
	v_mul_lo_u32 v16, s0, v15
	v_mul_hi_u32 v17, s0, v3
	v_add_u32_e32 v16, v17, v16
	v_mul_lo_u32 v17, s1, v3
	v_add_u32_e32 v16, v16, v17
	v_mul_lo_u32 v29, s0, v3
	v_mul_hi_u32 v32, v15, v29
	v_mul_lo_u32 v33, v15, v29
	v_mul_lo_u32 v35, v3, v16
	v_mul_hi_u32 v29, v3, v29
	v_mul_hi_u32 v34, v3, v16
	v_add_co_u32_e32 v29, vcc, v29, v35
	v_addc_co_u32_e32 v34, vcc, 0, v34, vcc
	v_add_co_u32_e32 v29, vcc, v29, v33
	v_mul_hi_u32 v17, v15, v16
	v_addc_co_u32_e32 v29, vcc, v34, v32, vcc
	v_addc_co_u32_e32 v17, vcc, 0, v17, vcc
	v_mul_lo_u32 v16, v15, v16
	v_add_co_u32_e32 v16, vcc, v29, v16
	v_addc_co_u32_e32 v17, vcc, 0, v17, vcc
	v_add_co_u32_e32 v3, vcc, v3, v16
	v_addc_co_u32_e32 v15, vcc, v15, v17, vcc
	;; [unrolled: 2-line block ×3, first 2 shown]
	v_xor_b32_e32 v34, v16, v13
	v_xor_b32_e32 v29, v17, v13
	v_mad_u64_u32 v[16:17], s[0:1], v34, v15, 0
	v_mul_hi_u32 v32, v34, v3
	v_add_co_u32_e32 v35, vcc, v32, v16
	v_addc_co_u32_e32 v36, vcc, 0, v17, vcc
	v_mad_u64_u32 v[32:33], s[0:1], v29, v3, 0
	v_add_co_u32_e32 v3, vcc, v35, v32
	v_mad_u64_u32 v[16:17], s[0:1], v29, v15, 0
	v_addc_co_u32_e32 v3, vcc, v36, v33, vcc
	v_addc_co_u32_e32 v15, vcc, 0, v17, vcc
	v_add_co_u32_e32 v3, vcc, v3, v16
	v_addc_co_u32_e32 v15, vcc, 0, v15, vcc
	v_mul_lo_u32 v32, s59, v3
	v_mul_lo_u32 v33, s58, v15
	v_mad_u64_u32 v[16:17], s[0:1], s58, v3, 0
	v_add3_u32 v17, v17, v33, v32
	v_sub_u32_e32 v32, v29, v17
	v_mov_b32_e32 v33, s59
	v_sub_co_u32_e32 v16, vcc, v34, v16
	v_subb_co_u32_e64 v32, s[0:1], v32, v33, vcc
	v_subrev_co_u32_e64 v33, s[0:1], s58, v16
	v_subbrev_co_u32_e64 v32, s[0:1], 0, v32, s[0:1]
	v_cmp_le_u32_e64 s[0:1], s59, v32
	v_cndmask_b32_e64 v34, 0, -1, s[0:1]
	v_cmp_le_u32_e64 s[0:1], s58, v33
	v_cndmask_b32_e64 v33, 0, -1, s[0:1]
	v_cmp_eq_u32_e64 s[0:1], s59, v32
	v_cndmask_b32_e64 v32, v34, v33, s[0:1]
	v_add_co_u32_e64 v33, s[0:1], 2, v3
	v_subb_co_u32_e32 v17, vcc, v29, v17, vcc
	v_addc_co_u32_e64 v34, s[0:1], 0, v15, s[0:1]
	v_cmp_le_u32_e32 vcc, s59, v17
	v_add_co_u32_e64 v35, s[0:1], 1, v3
	v_cndmask_b32_e64 v29, 0, -1, vcc
	v_cmp_le_u32_e32 vcc, s58, v16
	v_addc_co_u32_e64 v36, s[0:1], 0, v15, s[0:1]
	v_cndmask_b32_e64 v16, 0, -1, vcc
	v_cmp_eq_u32_e32 vcc, s59, v17
	v_cmp_ne_u32_e64 s[0:1], 0, v32
	v_cndmask_b32_e32 v16, v29, v16, vcc
	v_cmp_ne_u32_e32 vcc, 0, v16
	v_cndmask_b32_e64 v16, v35, v33, s[0:1]
	v_cndmask_b32_e64 v32, v36, v34, s[0:1]
	v_cndmask_b32_e32 v3, v3, v16, vcc
	v_xor_b32_e32 v17, s56, v13
	v_cndmask_b32_e32 v15, v15, v32, vcc
	v_xor_b32_e32 v3, v3, v17
	v_xor_b32_e32 v15, v15, v17
	v_sub_co_u32_e32 v16, vcc, v3, v17
	v_subb_co_u32_e32 v17, vcc, v15, v17, vcc
                                        ; implicit-def: $vgpr29
.LBB59_41:                              ;   in Loop: Header=BB59_3 Depth=1
	s_andn2_saveexec_b64 s[0:1], s[54:55]
	s_cbranch_execz .LBB59_43
; %bb.42:                               ;   in Loop: Header=BB59_3 Depth=1
	v_rcp_iflag_f32_e32 v3, v29
	s_sub_i32 s54, 0, s28
	v_mul_f32_e32 v3, 0x4f7ffffe, v3
	v_cvt_u32_f32_e32 v3, v3
	v_mul_lo_u32 v15, s54, v3
	v_mul_hi_u32 v15, v3, v15
	v_add_u32_e32 v3, v3, v15
	v_mul_hi_u32 v3, v8, v3
	v_mul_lo_u32 v15, v3, s28
	v_sub_u32_e32 v15, v8, v15
	v_add_u32_e32 v16, 1, v3
	v_subrev_u32_e32 v17, s28, v15
	v_cmp_le_u32_e32 vcc, s28, v15
	v_cndmask_b32_e32 v15, v15, v17, vcc
	v_cndmask_b32_e32 v3, v3, v16, vcc
	v_add_u32_e32 v16, 1, v3
	v_cmp_le_u32_e32 vcc, s28, v15
	v_cndmask_b32_e32 v16, v3, v16, vcc
	v_mov_b32_e32 v17, v2
.LBB59_43:                              ;   in Loop: Header=BB59_3 Depth=1
	s_or_b64 exec, exec, s[0:1]
	v_mad_u64_u32 v[14:15], s[0:1], s8, v14, 0
	v_add3_u32 v15, v15, v31, v30
	v_mul_lo_u32 v29, v17, s28
	v_mul_lo_u32 v32, v16, s29
	v_mad_u64_u32 v[30:31], s[0:1], v16, s28, 0
	v_add3_u32 v29, v31, v32, v29
	v_sub_co_u32_e32 v30, vcc, v14, v30
	v_subb_co_u32_e32 v29, vcc, v15, v29, vcc
	v_add_co_u32_e32 v30, vcc, v0, v30
	v_addc_co_u32_e32 v29, vcc, v1, v29, vcc
	v_mul_lo_u32 v29, v29, s14
	v_mul_lo_u32 v32, v30, s15
	v_mad_u64_u32 v[30:31], s[0:1], v30, s14, 0
	v_add3_u32 v31, v31, v32, v29
	v_mul_lo_u32 v29, v17, s12
	v_mul_lo_u32 v32, v16, s13
	v_mad_u64_u32 v[16:17], s[0:1], v16, s12, 0
	v_add3_u32 v17, v17, v32, v29
	v_lshlrev_b64 v[16:17], 1, v[16:17]
	v_cvt_f16_f32_e32 v3, v22
	v_mov_b32_e32 v29, s3
	v_add_co_u32_e32 v32, vcc, s2, v16
	v_addc_co_u32_e32 v29, vcc, v29, v17, vcc
	v_lshlrev_b64 v[16:17], 1, v[30:31]
	v_add_co_u32_e32 v16, vcc, v32, v16
	v_addc_co_u32_e32 v17, vcc, v29, v17, vcc
	global_store_short v[16:17], v3, off
	v_or_b32_e32 v3, s35, v7
	v_cmp_ne_u64_e32 vcc, 0, v[2:3]
                                        ; implicit-def: $vgpr16_vgpr17
	s_and_saveexec_b64 s[0:1], vcc
	s_xor_b64 s[54:55], exec, s[0:1]
	s_cbranch_execz .LBB59_45
; %bb.44:                               ;   in Loop: Header=BB59_3 Depth=1
	s_ashr_i32 s56, s35, 31
	s_add_u32 s0, s34, s56
	s_mov_b32 s57, s56
	s_addc_u32 s1, s35, s56
	s_xor_b64 s[58:59], s[0:1], s[56:57]
	v_cvt_f32_u32_e32 v3, s58
	v_cvt_f32_u32_e32 v16, s59
	s_sub_u32 s0, 0, s58
	s_subb_u32 s1, 0, s59
	v_mac_f32_e32 v3, 0x4f800000, v16
	v_rcp_f32_e32 v3, v3
	v_mul_f32_e32 v3, 0x5f7ffffc, v3
	v_mul_f32_e32 v16, 0x2f800000, v3
	v_trunc_f32_e32 v16, v16
	v_mac_f32_e32 v3, 0xcf800000, v16
	v_cvt_u32_f32_e32 v16, v16
	v_cvt_u32_f32_e32 v3, v3
	v_mul_lo_u32 v17, s0, v16
	v_mul_hi_u32 v30, s0, v3
	v_mul_lo_u32 v29, s1, v3
	v_add_u32_e32 v17, v30, v17
	v_mul_lo_u32 v31, s0, v3
	v_add_u32_e32 v17, v17, v29
	v_mul_lo_u32 v30, v3, v17
	v_mul_hi_u32 v32, v3, v31
	v_mul_hi_u32 v29, v3, v17
	v_add_co_u32_e32 v30, vcc, v32, v30
	v_addc_co_u32_e32 v29, vcc, 0, v29, vcc
	v_mul_hi_u32 v33, v16, v31
	v_mul_lo_u32 v31, v16, v31
	v_add_co_u32_e32 v30, vcc, v30, v31
	v_mul_hi_u32 v32, v16, v17
	v_addc_co_u32_e32 v29, vcc, v29, v33, vcc
	v_addc_co_u32_e32 v30, vcc, 0, v32, vcc
	v_mul_lo_u32 v17, v16, v17
	v_add_co_u32_e32 v17, vcc, v29, v17
	v_addc_co_u32_e32 v29, vcc, 0, v30, vcc
	v_add_co_u32_e32 v3, vcc, v3, v17
	v_addc_co_u32_e32 v16, vcc, v16, v29, vcc
	v_mul_lo_u32 v17, s0, v16
	v_mul_hi_u32 v29, s0, v3
	v_add_u32_e32 v17, v29, v17
	v_mul_lo_u32 v29, s1, v3
	v_add_u32_e32 v17, v17, v29
	v_mul_lo_u32 v30, s0, v3
	v_mul_hi_u32 v31, v16, v30
	v_mul_lo_u32 v32, v16, v30
	v_mul_lo_u32 v34, v3, v17
	v_mul_hi_u32 v30, v3, v30
	v_mul_hi_u32 v33, v3, v17
	v_add_co_u32_e32 v30, vcc, v30, v34
	v_addc_co_u32_e32 v33, vcc, 0, v33, vcc
	v_add_co_u32_e32 v30, vcc, v30, v32
	v_mul_hi_u32 v29, v16, v17
	v_addc_co_u32_e32 v30, vcc, v33, v31, vcc
	v_addc_co_u32_e32 v29, vcc, 0, v29, vcc
	v_mul_lo_u32 v17, v16, v17
	v_add_co_u32_e32 v17, vcc, v30, v17
	v_addc_co_u32_e32 v29, vcc, 0, v29, vcc
	v_add_co_u32_e32 v3, vcc, v3, v17
	v_addc_co_u32_e32 v16, vcc, v16, v29, vcc
	;; [unrolled: 2-line block ×3, first 2 shown]
	v_xor_b32_e32 v30, v6, v23
	v_xor_b32_e32 v29, v7, v23
	v_mad_u64_u32 v[6:7], s[0:1], v30, v16, 0
	v_mul_hi_u32 v17, v30, v3
	v_add_co_u32_e32 v31, vcc, v17, v6
	v_addc_co_u32_e32 v32, vcc, 0, v7, vcc
	v_mad_u64_u32 v[6:7], s[0:1], v29, v16, 0
	v_mad_u64_u32 v[16:17], s[0:1], v29, v3, 0
	v_add_co_u32_e32 v3, vcc, v31, v16
	v_addc_co_u32_e32 v3, vcc, v32, v17, vcc
	v_addc_co_u32_e32 v7, vcc, 0, v7, vcc
	v_add_co_u32_e32 v3, vcc, v3, v6
	v_addc_co_u32_e32 v16, vcc, 0, v7, vcc
	v_mul_lo_u32 v17, s59, v3
	v_mul_lo_u32 v31, s58, v16
	v_mad_u64_u32 v[6:7], s[0:1], s58, v3, 0
	v_add3_u32 v7, v7, v31, v17
	v_sub_u32_e32 v17, v29, v7
	v_mov_b32_e32 v31, s59
	v_sub_co_u32_e32 v6, vcc, v30, v6
	v_subb_co_u32_e64 v17, s[0:1], v17, v31, vcc
	v_subrev_co_u32_e64 v30, s[0:1], s58, v6
	v_subbrev_co_u32_e64 v17, s[0:1], 0, v17, s[0:1]
	v_cmp_le_u32_e64 s[0:1], s59, v17
	v_cndmask_b32_e64 v31, 0, -1, s[0:1]
	v_cmp_le_u32_e64 s[0:1], s58, v30
	v_cndmask_b32_e64 v30, 0, -1, s[0:1]
	v_cmp_eq_u32_e64 s[0:1], s59, v17
	v_cndmask_b32_e64 v17, v31, v30, s[0:1]
	v_add_co_u32_e64 v30, s[0:1], 2, v3
	v_subb_co_u32_e32 v7, vcc, v29, v7, vcc
	v_addc_co_u32_e64 v31, s[0:1], 0, v16, s[0:1]
	v_cmp_le_u32_e32 vcc, s59, v7
	v_add_co_u32_e64 v32, s[0:1], 1, v3
	v_cndmask_b32_e64 v29, 0, -1, vcc
	v_cmp_le_u32_e32 vcc, s58, v6
	v_addc_co_u32_e64 v33, s[0:1], 0, v16, s[0:1]
	v_cndmask_b32_e64 v6, 0, -1, vcc
	v_cmp_eq_u32_e32 vcc, s59, v7
	v_cmp_ne_u32_e64 s[0:1], 0, v17
	v_cndmask_b32_e32 v6, v29, v6, vcc
	v_cmp_ne_u32_e32 vcc, 0, v6
	v_cndmask_b32_e64 v7, v32, v30, s[0:1]
	v_cndmask_b32_e64 v17, v33, v31, s[0:1]
	v_cndmask_b32_e32 v3, v3, v7, vcc
	v_xor_b32_e32 v7, s56, v23
	v_cndmask_b32_e32 v6, v16, v17, vcc
	v_xor_b32_e32 v3, v3, v7
	v_xor_b32_e32 v6, v6, v7
	v_sub_co_u32_e32 v16, vcc, v3, v7
	v_subb_co_u32_e32 v17, vcc, v6, v7, vcc
                                        ; implicit-def: $vgpr6_vgpr7
.LBB59_45:                              ;   in Loop: Header=BB59_3 Depth=1
	s_or_saveexec_b64 s[0:1], s[54:55]
	v_cvt_f32_u32_e32 v23, s34
	s_xor_b64 exec, exec, s[0:1]
	s_cbranch_execz .LBB59_47
; %bb.46:                               ;   in Loop: Header=BB59_3 Depth=1
	v_rcp_iflag_f32_e32 v3, v23
	s_sub_i32 s54, 0, s34
	v_mov_b32_e32 v17, v2
	v_mul_f32_e32 v3, 0x4f7ffffe, v3
	v_cvt_u32_f32_e32 v3, v3
	v_mul_lo_u32 v7, s54, v3
	v_mul_hi_u32 v7, v3, v7
	v_add_u32_e32 v3, v3, v7
	v_mul_hi_u32 v3, v6, v3
	v_mul_lo_u32 v7, v3, s34
	v_sub_u32_e32 v6, v6, v7
	v_add_u32_e32 v16, 1, v3
	v_subrev_u32_e32 v7, s34, v6
	v_cmp_le_u32_e32 vcc, s34, v6
	v_cndmask_b32_e32 v6, v6, v7, vcc
	v_cndmask_b32_e32 v3, v3, v16, vcc
	v_add_u32_e32 v7, 1, v3
	v_cmp_le_u32_e32 vcc, s34, v6
	v_cndmask_b32_e32 v16, v3, v7, vcc
.LBB59_47:                              ;   in Loop: Header=BB59_3 Depth=1
	s_or_b64 exec, exec, s[0:1]
	v_mul_lo_u32 v3, v17, s34
	v_mul_lo_u32 v29, v16, s35
	v_mad_u64_u32 v[6:7], s[0:1], v16, s34, 0
	v_add3_u32 v3, v7, v29, v3
	v_sub_co_u32_e32 v6, vcc, v10, v6
	v_subb_co_u32_e32 v3, vcc, v26, v3, vcc
	v_add_co_u32_e32 v6, vcc, v0, v6
	v_addc_co_u32_e32 v3, vcc, v1, v3, vcc
	v_mul_lo_u32 v3, v3, s18
	v_mul_lo_u32 v10, v6, s19
	v_mad_u64_u32 v[6:7], s[0:1], v6, s18, 0
	v_add3_u32 v7, v7, v10, v3
	v_mul_lo_u32 v3, v17, s16
	v_mul_lo_u32 v10, v16, s17
	v_mad_u64_u32 v[16:17], s[0:1], v16, s16, 0
	v_add3_u32 v17, v17, v10, v3
	v_lshlrev_b64 v[16:17], 1, v[16:17]
	v_mov_b32_e32 v3, s31
	v_add_co_u32_e32 v10, vcc, s30, v16
	v_addc_co_u32_e32 v3, vcc, v3, v17, vcc
	v_lshlrev_b64 v[6:7], 1, v[6:7]
	v_add_co_u32_e32 v6, vcc, v10, v6
	v_addc_co_u32_e32 v7, vcc, v3, v7, vcc
	v_or_b32_e32 v3, s35, v5
	v_cmp_ne_u64_e32 vcc, 0, v[2:3]
	global_store_short v[6:7], v25, off
                                        ; implicit-def: $vgpr6_vgpr7
	s_and_saveexec_b64 s[0:1], vcc
	s_xor_b64 s[54:55], exec, s[0:1]
	s_cbranch_execz .LBB59_49
; %bb.48:                               ;   in Loop: Header=BB59_3 Depth=1
	s_ashr_i32 s56, s35, 31
	s_add_u32 s0, s34, s56
	s_mov_b32 s57, s56
	s_addc_u32 s1, s35, s56
	s_xor_b64 s[58:59], s[0:1], s[56:57]
	v_cvt_f32_u32_e32 v3, s58
	v_cvt_f32_u32_e32 v6, s59
	s_sub_u32 s0, 0, s58
	s_subb_u32 s1, 0, s59
	v_mac_f32_e32 v3, 0x4f800000, v6
	v_rcp_f32_e32 v3, v3
	v_mul_f32_e32 v3, 0x5f7ffffc, v3
	v_mul_f32_e32 v6, 0x2f800000, v3
	v_trunc_f32_e32 v6, v6
	v_mac_f32_e32 v3, 0xcf800000, v6
	v_cvt_u32_f32_e32 v6, v6
	v_cvt_u32_f32_e32 v3, v3
	v_mul_lo_u32 v7, s0, v6
	v_mul_hi_u32 v16, s0, v3
	v_mul_lo_u32 v10, s1, v3
	v_add_u32_e32 v7, v16, v7
	v_mul_lo_u32 v17, s0, v3
	v_add_u32_e32 v7, v7, v10
	v_mul_lo_u32 v16, v3, v7
	v_mul_hi_u32 v25, v3, v17
	v_mul_hi_u32 v10, v3, v7
	v_add_co_u32_e32 v16, vcc, v25, v16
	v_addc_co_u32_e32 v10, vcc, 0, v10, vcc
	v_mul_hi_u32 v26, v6, v17
	v_mul_lo_u32 v17, v6, v17
	v_add_co_u32_e32 v16, vcc, v16, v17
	v_mul_hi_u32 v25, v6, v7
	v_addc_co_u32_e32 v10, vcc, v10, v26, vcc
	v_addc_co_u32_e32 v16, vcc, 0, v25, vcc
	v_mul_lo_u32 v7, v6, v7
	v_add_co_u32_e32 v7, vcc, v10, v7
	v_addc_co_u32_e32 v10, vcc, 0, v16, vcc
	v_add_co_u32_e32 v3, vcc, v3, v7
	v_addc_co_u32_e32 v6, vcc, v6, v10, vcc
	v_mul_lo_u32 v7, s0, v6
	v_mul_hi_u32 v10, s0, v3
	v_add_u32_e32 v7, v10, v7
	v_mul_lo_u32 v10, s1, v3
	v_add_u32_e32 v7, v7, v10
	v_mul_lo_u32 v16, s0, v3
	v_mul_hi_u32 v17, v6, v16
	v_mul_lo_u32 v25, v6, v16
	v_mul_lo_u32 v29, v3, v7
	v_mul_hi_u32 v16, v3, v16
	v_mul_hi_u32 v26, v3, v7
	v_add_co_u32_e32 v16, vcc, v16, v29
	v_addc_co_u32_e32 v26, vcc, 0, v26, vcc
	v_add_co_u32_e32 v16, vcc, v16, v25
	v_mul_hi_u32 v10, v6, v7
	v_addc_co_u32_e32 v16, vcc, v26, v17, vcc
	v_addc_co_u32_e32 v10, vcc, 0, v10, vcc
	v_mul_lo_u32 v7, v6, v7
	v_add_co_u32_e32 v7, vcc, v16, v7
	v_addc_co_u32_e32 v10, vcc, 0, v10, vcc
	v_add_co_u32_e32 v3, vcc, v3, v7
	v_addc_co_u32_e32 v6, vcc, v6, v10, vcc
	;; [unrolled: 2-line block ×3, first 2 shown]
	v_xor_b32_e32 v16, v4, v24
	v_xor_b32_e32 v10, v5, v24
	v_mad_u64_u32 v[4:5], s[0:1], v16, v6, 0
	v_mul_hi_u32 v7, v16, v3
	v_add_co_u32_e32 v17, vcc, v7, v4
	v_addc_co_u32_e32 v25, vcc, 0, v5, vcc
	v_mad_u64_u32 v[4:5], s[0:1], v10, v6, 0
	v_mad_u64_u32 v[6:7], s[0:1], v10, v3, 0
	v_add_co_u32_e32 v3, vcc, v17, v6
	v_addc_co_u32_e32 v3, vcc, v25, v7, vcc
	v_addc_co_u32_e32 v5, vcc, 0, v5, vcc
	v_add_co_u32_e32 v3, vcc, v3, v4
	v_addc_co_u32_e32 v6, vcc, 0, v5, vcc
	v_mul_lo_u32 v7, s59, v3
	v_mul_lo_u32 v17, s58, v6
	v_mad_u64_u32 v[4:5], s[0:1], s58, v3, 0
	v_add3_u32 v5, v5, v17, v7
	v_sub_u32_e32 v7, v10, v5
	v_mov_b32_e32 v17, s59
	v_sub_co_u32_e32 v4, vcc, v16, v4
	v_subb_co_u32_e64 v7, s[0:1], v7, v17, vcc
	v_subrev_co_u32_e64 v16, s[0:1], s58, v4
	v_subbrev_co_u32_e64 v7, s[0:1], 0, v7, s[0:1]
	v_cmp_le_u32_e64 s[0:1], s59, v7
	v_cndmask_b32_e64 v17, 0, -1, s[0:1]
	v_cmp_le_u32_e64 s[0:1], s58, v16
	v_cndmask_b32_e64 v16, 0, -1, s[0:1]
	v_cmp_eq_u32_e64 s[0:1], s59, v7
	v_cndmask_b32_e64 v7, v17, v16, s[0:1]
	v_add_co_u32_e64 v16, s[0:1], 2, v3
	v_subb_co_u32_e32 v5, vcc, v10, v5, vcc
	v_addc_co_u32_e64 v17, s[0:1], 0, v6, s[0:1]
	v_cmp_le_u32_e32 vcc, s59, v5
	v_add_co_u32_e64 v25, s[0:1], 1, v3
	v_cndmask_b32_e64 v10, 0, -1, vcc
	v_cmp_le_u32_e32 vcc, s58, v4
	v_addc_co_u32_e64 v26, s[0:1], 0, v6, s[0:1]
	v_cndmask_b32_e64 v4, 0, -1, vcc
	v_cmp_eq_u32_e32 vcc, s59, v5
	v_cmp_ne_u32_e64 s[0:1], 0, v7
	v_cndmask_b32_e32 v4, v10, v4, vcc
	v_cmp_ne_u32_e32 vcc, 0, v4
	v_cndmask_b32_e64 v5, v25, v16, s[0:1]
	v_cndmask_b32_e64 v7, v26, v17, s[0:1]
	v_cndmask_b32_e32 v3, v3, v5, vcc
	v_xor_b32_e32 v5, s56, v24
	v_cndmask_b32_e32 v4, v6, v7, vcc
	v_xor_b32_e32 v3, v3, v5
	v_xor_b32_e32 v4, v4, v5
	v_sub_co_u32_e32 v6, vcc, v3, v5
	v_subb_co_u32_e32 v7, vcc, v4, v5, vcc
                                        ; implicit-def: $vgpr4_vgpr5
.LBB59_49:                              ;   in Loop: Header=BB59_3 Depth=1
	s_andn2_saveexec_b64 s[0:1], s[54:55]
	s_cbranch_execz .LBB59_51
; %bb.50:                               ;   in Loop: Header=BB59_3 Depth=1
	v_rcp_iflag_f32_e32 v3, v23
	s_sub_i32 s54, 0, s34
	v_mov_b32_e32 v7, v2
	v_mul_f32_e32 v3, 0x4f7ffffe, v3
	v_cvt_u32_f32_e32 v3, v3
	v_mul_lo_u32 v5, s54, v3
	v_mul_hi_u32 v5, v3, v5
	v_add_u32_e32 v3, v3, v5
	v_mul_hi_u32 v3, v4, v3
	v_mul_lo_u32 v5, v3, s34
	v_sub_u32_e32 v4, v4, v5
	v_add_u32_e32 v6, 1, v3
	v_subrev_u32_e32 v5, s34, v4
	v_cmp_le_u32_e32 vcc, s34, v4
	v_cndmask_b32_e32 v4, v4, v5, vcc
	v_cndmask_b32_e32 v3, v3, v6, vcc
	v_add_u32_e32 v5, 1, v3
	v_cmp_le_u32_e32 vcc, s34, v4
	v_cndmask_b32_e32 v6, v3, v5, vcc
.LBB59_51:                              ;   in Loop: Header=BB59_3 Depth=1
	s_or_b64 exec, exec, s[0:1]
	v_mul_lo_u32 v3, v7, s34
	v_mul_lo_u32 v10, v6, s35
	v_mad_u64_u32 v[4:5], s[0:1], v6, s34, 0
	v_add3_u32 v3, v5, v10, v3
	v_sub_co_u32_e32 v4, vcc, v12, v4
	v_subb_co_u32_e32 v3, vcc, v28, v3, vcc
	v_add_co_u32_e32 v4, vcc, v0, v4
	v_addc_co_u32_e32 v3, vcc, v1, v3, vcc
	v_mul_lo_u32 v3, v3, s18
	v_mul_lo_u32 v10, v4, s19
	v_mad_u64_u32 v[4:5], s[0:1], v4, s18, 0
	v_add3_u32 v5, v5, v10, v3
	v_mul_lo_u32 v3, v7, s16
	v_mul_lo_u32 v10, v6, s17
	v_mad_u64_u32 v[6:7], s[0:1], v6, s16, 0
	v_add3_u32 v7, v7, v10, v3
	v_lshlrev_b64 v[6:7], 1, v[6:7]
	v_mov_b32_e32 v3, s31
	v_add_co_u32_e32 v6, vcc, s30, v6
	v_addc_co_u32_e32 v3, vcc, v3, v7, vcc
	v_lshlrev_b64 v[4:5], 1, v[4:5]
	v_add_co_u32_e32 v4, vcc, v6, v4
	v_addc_co_u32_e32 v5, vcc, v3, v5, vcc
	v_or_b32_e32 v3, s35, v9
	v_cmp_ne_u64_e32 vcc, 0, v[2:3]
	global_store_short v[4:5], v27, off
                                        ; implicit-def: $vgpr4_vgpr5
	s_and_saveexec_b64 s[0:1], vcc
	s_xor_b64 s[54:55], exec, s[0:1]
	s_cbranch_execz .LBB59_53
; %bb.52:                               ;   in Loop: Header=BB59_3 Depth=1
	s_ashr_i32 s56, s35, 31
	s_add_u32 s0, s34, s56
	s_mov_b32 s57, s56
	s_addc_u32 s1, s35, s56
	s_xor_b64 s[58:59], s[0:1], s[56:57]
	v_cvt_f32_u32_e32 v3, s58
	v_cvt_f32_u32_e32 v4, s59
	s_sub_u32 s0, 0, s58
	s_subb_u32 s1, 0, s59
                                        ; implicit-def: $vgpr23
	v_mac_f32_e32 v3, 0x4f800000, v4
	v_rcp_f32_e32 v3, v3
	v_mul_f32_e32 v3, 0x5f7ffffc, v3
	v_mul_f32_e32 v4, 0x2f800000, v3
	v_trunc_f32_e32 v4, v4
	v_mac_f32_e32 v3, 0xcf800000, v4
	v_cvt_u32_f32_e32 v4, v4
	v_cvt_u32_f32_e32 v3, v3
	v_mul_lo_u32 v5, s0, v4
	v_mul_hi_u32 v7, s0, v3
	v_mul_lo_u32 v6, s1, v3
	v_add_u32_e32 v5, v7, v5
	v_mul_lo_u32 v10, s0, v3
	v_add_u32_e32 v5, v5, v6
	v_mul_lo_u32 v7, v3, v5
	v_mul_hi_u32 v12, v3, v10
	v_mul_hi_u32 v6, v3, v5
	v_add_co_u32_e32 v7, vcc, v12, v7
	v_addc_co_u32_e32 v6, vcc, 0, v6, vcc
	v_mul_hi_u32 v16, v4, v10
	v_mul_lo_u32 v10, v4, v10
	v_add_co_u32_e32 v7, vcc, v7, v10
	v_mul_hi_u32 v12, v4, v5
	v_addc_co_u32_e32 v6, vcc, v6, v16, vcc
	v_addc_co_u32_e32 v7, vcc, 0, v12, vcc
	v_mul_lo_u32 v5, v4, v5
	v_add_co_u32_e32 v5, vcc, v6, v5
	v_addc_co_u32_e32 v6, vcc, 0, v7, vcc
	v_add_co_u32_e32 v3, vcc, v3, v5
	v_addc_co_u32_e32 v4, vcc, v4, v6, vcc
	v_mul_lo_u32 v5, s0, v4
	v_mul_hi_u32 v6, s0, v3
	v_add_u32_e32 v5, v6, v5
	v_mul_lo_u32 v6, s1, v3
	v_add_u32_e32 v5, v5, v6
	v_mul_lo_u32 v7, s0, v3
	v_mul_hi_u32 v10, v4, v7
	v_mul_lo_u32 v12, v4, v7
	v_mul_lo_u32 v17, v3, v5
	v_mul_hi_u32 v7, v3, v7
	v_mul_hi_u32 v16, v3, v5
	v_add_co_u32_e32 v7, vcc, v7, v17
	v_addc_co_u32_e32 v16, vcc, 0, v16, vcc
	v_add_co_u32_e32 v7, vcc, v7, v12
	v_mul_hi_u32 v6, v4, v5
	v_addc_co_u32_e32 v7, vcc, v16, v10, vcc
	v_addc_co_u32_e32 v6, vcc, 0, v6, vcc
	v_mul_lo_u32 v5, v4, v5
	v_add_co_u32_e32 v5, vcc, v7, v5
	v_addc_co_u32_e32 v6, vcc, 0, v6, vcc
	v_add_co_u32_e32 v3, vcc, v3, v5
	v_addc_co_u32_e32 v6, vcc, v4, v6, vcc
	;; [unrolled: 2-line block ×3, first 2 shown]
	v_xor_b32_e32 v9, v4, v13
	v_xor_b32_e32 v8, v5, v13
	v_mad_u64_u32 v[4:5], s[0:1], v9, v6, 0
	v_mul_hi_u32 v7, v9, v3
	v_add_co_u32_e32 v10, vcc, v7, v4
	v_addc_co_u32_e32 v12, vcc, 0, v5, vcc
	v_mad_u64_u32 v[4:5], s[0:1], v8, v6, 0
	v_mad_u64_u32 v[6:7], s[0:1], v8, v3, 0
	v_add_co_u32_e32 v3, vcc, v10, v6
	v_addc_co_u32_e32 v3, vcc, v12, v7, vcc
	v_addc_co_u32_e32 v5, vcc, 0, v5, vcc
	v_add_co_u32_e32 v3, vcc, v3, v4
	v_addc_co_u32_e32 v6, vcc, 0, v5, vcc
	v_mul_lo_u32 v7, s59, v3
	v_mul_lo_u32 v10, s58, v6
	v_mad_u64_u32 v[4:5], s[0:1], s58, v3, 0
	v_add3_u32 v5, v5, v10, v7
	v_sub_u32_e32 v7, v8, v5
	v_mov_b32_e32 v10, s59
	v_sub_co_u32_e32 v4, vcc, v9, v4
	v_subb_co_u32_e64 v7, s[0:1], v7, v10, vcc
	v_subrev_co_u32_e64 v9, s[0:1], s58, v4
	v_subbrev_co_u32_e64 v7, s[0:1], 0, v7, s[0:1]
	v_cmp_le_u32_e64 s[0:1], s59, v7
	v_cndmask_b32_e64 v10, 0, -1, s[0:1]
	v_cmp_le_u32_e64 s[0:1], s58, v9
	v_cndmask_b32_e64 v9, 0, -1, s[0:1]
	v_cmp_eq_u32_e64 s[0:1], s59, v7
	v_cndmask_b32_e64 v7, v10, v9, s[0:1]
	v_add_co_u32_e64 v9, s[0:1], 2, v3
	v_subb_co_u32_e32 v5, vcc, v8, v5, vcc
	v_addc_co_u32_e64 v10, s[0:1], 0, v6, s[0:1]
	v_cmp_le_u32_e32 vcc, s59, v5
	v_add_co_u32_e64 v12, s[0:1], 1, v3
	v_cndmask_b32_e64 v8, 0, -1, vcc
	v_cmp_le_u32_e32 vcc, s58, v4
	v_addc_co_u32_e64 v16, s[0:1], 0, v6, s[0:1]
	v_cndmask_b32_e64 v4, 0, -1, vcc
	v_cmp_eq_u32_e32 vcc, s59, v5
	v_cmp_ne_u32_e64 s[0:1], 0, v7
	v_cndmask_b32_e32 v4, v8, v4, vcc
	v_cmp_ne_u32_e32 vcc, 0, v4
	v_cndmask_b32_e64 v5, v12, v9, s[0:1]
	v_cndmask_b32_e64 v7, v16, v10, s[0:1]
	v_cndmask_b32_e32 v3, v3, v5, vcc
	v_xor_b32_e32 v5, s56, v13
	v_cndmask_b32_e32 v4, v6, v7, vcc
	v_xor_b32_e32 v3, v3, v5
	v_xor_b32_e32 v6, v4, v5
	v_sub_co_u32_e32 v4, vcc, v3, v5
	v_subb_co_u32_e32 v5, vcc, v6, v5, vcc
                                        ; implicit-def: $vgpr8_vgpr9
.LBB59_53:                              ;   in Loop: Header=BB59_3 Depth=1
	s_andn2_saveexec_b64 s[0:1], s[54:55]
	s_cbranch_execz .LBB59_55
; %bb.54:                               ;   in Loop: Header=BB59_3 Depth=1
	v_rcp_iflag_f32_e32 v3, v23
	s_sub_i32 s54, 0, s34
	v_mul_f32_e32 v3, 0x4f7ffffe, v3
	v_cvt_u32_f32_e32 v3, v3
	v_mul_lo_u32 v4, s54, v3
	v_mul_hi_u32 v4, v3, v4
	v_add_u32_e32 v3, v3, v4
	v_mul_hi_u32 v3, v8, v3
	v_mul_lo_u32 v4, v3, s34
	v_sub_u32_e32 v4, v8, v4
	v_add_u32_e32 v5, 1, v3
	v_subrev_u32_e32 v6, s34, v4
	v_cmp_le_u32_e32 vcc, s34, v4
	v_cndmask_b32_e32 v4, v4, v6, vcc
	v_cndmask_b32_e32 v3, v3, v5, vcc
	v_add_u32_e32 v5, 1, v3
	v_cmp_le_u32_e32 vcc, s34, v4
	v_cndmask_b32_e32 v4, v3, v5, vcc
	v_mov_b32_e32 v5, v2
.LBB59_55:                              ;   in Loop: Header=BB59_3 Depth=1
	s_or_b64 exec, exec, s[0:1]
	v_mul_lo_u32 v8, v5, s34
	v_mul_lo_u32 v9, v4, s35
	v_mad_u64_u32 v[6:7], s[0:1], v4, s34, 0
	v_add3_u32 v7, v7, v9, v8
	v_sub_co_u32_e32 v6, vcc, v14, v6
	v_subb_co_u32_e32 v7, vcc, v15, v7, vcc
	v_add_co_u32_e32 v6, vcc, v0, v6
	v_addc_co_u32_e32 v7, vcc, v1, v7, vcc
	v_mul_lo_u32 v8, v7, s18
	v_mul_lo_u32 v9, v6, s19
	v_mad_u64_u32 v[6:7], s[0:1], v6, s18, 0
	v_add3_u32 v7, v7, v9, v8
	v_mul_lo_u32 v8, v5, s16
	v_mul_lo_u32 v9, v4, s17
	v_mad_u64_u32 v[4:5], s[0:1], v4, s16, 0
	v_add3_u32 v5, v5, v9, v8
	v_lshlrev_b64 v[4:5], 1, v[4:5]
	v_mov_b32_e32 v8, s31
	v_add_co_u32_e32 v9, vcc, s30, v4
	v_addc_co_u32_e32 v8, vcc, v8, v5, vcc
	v_lshlrev_b64 v[4:5], 1, v[6:7]
	v_add_co_u32_e32 v4, vcc, v9, v4
	v_fma_mixlo_f16 v3, v22, v11, 0
	v_addc_co_u32_e32 v5, vcc, v8, v5, vcc
	global_store_short v[4:5], v3, off
	v_or_b32_e32 v3, s43, v1
	v_cmp_ne_u64_e32 vcc, 0, v[2:3]
                                        ; implicit-def: $vgpr4_vgpr5
	s_and_saveexec_b64 s[0:1], vcc
	s_xor_b64 s[54:55], exec, s[0:1]
	s_cbranch_execz .LBB59_57
; %bb.56:                               ;   in Loop: Header=BB59_3 Depth=1
	s_ashr_i32 s56, s43, 31
	s_add_u32 s0, s42, s56
	s_mov_b32 s57, s56
	s_addc_u32 s1, s43, s56
	s_xor_b64 s[58:59], s[0:1], s[56:57]
	v_cvt_f32_u32_e32 v3, s58
	v_cvt_f32_u32_e32 v4, s59
	s_sub_u32 s0, 0, s58
	s_subb_u32 s1, 0, s59
	v_mac_f32_e32 v3, 0x4f800000, v4
	v_rcp_f32_e32 v3, v3
	v_mul_f32_e32 v3, 0x5f7ffffc, v3
	v_mul_f32_e32 v4, 0x2f800000, v3
	v_trunc_f32_e32 v4, v4
	v_mac_f32_e32 v3, 0xcf800000, v4
	v_cvt_u32_f32_e32 v4, v4
	v_cvt_u32_f32_e32 v3, v3
	v_mul_lo_u32 v5, s0, v4
	v_mul_hi_u32 v7, s0, v3
	v_mul_lo_u32 v6, s1, v3
	v_add_u32_e32 v5, v7, v5
	v_mul_lo_u32 v8, s0, v3
	v_add_u32_e32 v5, v5, v6
	v_mul_lo_u32 v7, v3, v5
	v_mul_hi_u32 v9, v3, v8
	v_mul_hi_u32 v6, v3, v5
	v_add_co_u32_e32 v7, vcc, v9, v7
	v_addc_co_u32_e32 v6, vcc, 0, v6, vcc
	v_mul_hi_u32 v10, v4, v8
	v_mul_lo_u32 v8, v4, v8
	v_add_co_u32_e32 v7, vcc, v7, v8
	v_mul_hi_u32 v9, v4, v5
	v_addc_co_u32_e32 v6, vcc, v6, v10, vcc
	v_addc_co_u32_e32 v7, vcc, 0, v9, vcc
	v_mul_lo_u32 v5, v4, v5
	v_add_co_u32_e32 v5, vcc, v6, v5
	v_addc_co_u32_e32 v6, vcc, 0, v7, vcc
	v_add_co_u32_e32 v3, vcc, v3, v5
	v_addc_co_u32_e32 v4, vcc, v4, v6, vcc
	v_mul_lo_u32 v5, s0, v4
	v_mul_hi_u32 v6, s0, v3
	v_add_u32_e32 v5, v6, v5
	v_mul_lo_u32 v6, s1, v3
	v_add_u32_e32 v5, v5, v6
	v_mul_lo_u32 v7, s0, v3
	v_mul_hi_u32 v8, v4, v7
	v_mul_lo_u32 v9, v4, v7
	v_mul_lo_u32 v11, v3, v5
	v_mul_hi_u32 v7, v3, v7
	v_mul_hi_u32 v10, v3, v5
	v_add_co_u32_e32 v7, vcc, v7, v11
	v_addc_co_u32_e32 v10, vcc, 0, v10, vcc
	v_add_co_u32_e32 v7, vcc, v7, v9
	v_mul_hi_u32 v6, v4, v5
	v_addc_co_u32_e32 v7, vcc, v10, v8, vcc
	v_addc_co_u32_e32 v6, vcc, 0, v6, vcc
	v_mul_lo_u32 v5, v4, v5
	v_add_co_u32_e32 v5, vcc, v7, v5
	v_addc_co_u32_e32 v6, vcc, 0, v6, vcc
	v_add_co_u32_e32 v3, vcc, v3, v5
	v_addc_co_u32_e32 v6, vcc, v4, v6, vcc
	;; [unrolled: 2-line block ×3, first 2 shown]
	v_xor_b32_e32 v9, v4, v19
	v_xor_b32_e32 v8, v5, v19
	v_mad_u64_u32 v[4:5], s[0:1], v9, v6, 0
	v_mul_hi_u32 v7, v9, v3
	v_add_co_u32_e32 v10, vcc, v7, v4
	v_addc_co_u32_e32 v11, vcc, 0, v5, vcc
	v_mad_u64_u32 v[4:5], s[0:1], v8, v6, 0
	v_mad_u64_u32 v[6:7], s[0:1], v8, v3, 0
	v_add_co_u32_e32 v3, vcc, v10, v6
	v_addc_co_u32_e32 v3, vcc, v11, v7, vcc
	v_addc_co_u32_e32 v5, vcc, 0, v5, vcc
	v_add_co_u32_e32 v3, vcc, v3, v4
	v_addc_co_u32_e32 v6, vcc, 0, v5, vcc
	v_mul_lo_u32 v7, s59, v3
	v_mul_lo_u32 v10, s58, v6
	v_mad_u64_u32 v[4:5], s[0:1], s58, v3, 0
	v_add3_u32 v5, v5, v10, v7
	v_sub_u32_e32 v7, v8, v5
	v_mov_b32_e32 v10, s59
	v_sub_co_u32_e32 v4, vcc, v9, v4
	v_subb_co_u32_e64 v7, s[0:1], v7, v10, vcc
	v_subrev_co_u32_e64 v9, s[0:1], s58, v4
	v_subbrev_co_u32_e64 v7, s[0:1], 0, v7, s[0:1]
	v_cmp_le_u32_e64 s[0:1], s59, v7
	v_cndmask_b32_e64 v10, 0, -1, s[0:1]
	v_cmp_le_u32_e64 s[0:1], s58, v9
	v_cndmask_b32_e64 v9, 0, -1, s[0:1]
	v_cmp_eq_u32_e64 s[0:1], s59, v7
	v_cndmask_b32_e64 v7, v10, v9, s[0:1]
	v_add_co_u32_e64 v9, s[0:1], 2, v3
	v_subb_co_u32_e32 v5, vcc, v8, v5, vcc
	v_addc_co_u32_e64 v10, s[0:1], 0, v6, s[0:1]
	v_cmp_le_u32_e32 vcc, s59, v5
	v_add_co_u32_e64 v11, s[0:1], 1, v3
	v_cndmask_b32_e64 v8, 0, -1, vcc
	v_cmp_le_u32_e32 vcc, s58, v4
	v_addc_co_u32_e64 v12, s[0:1], 0, v6, s[0:1]
	v_cndmask_b32_e64 v4, 0, -1, vcc
	v_cmp_eq_u32_e32 vcc, s59, v5
	v_cmp_ne_u32_e64 s[0:1], 0, v7
	v_cndmask_b32_e32 v4, v8, v4, vcc
	v_cmp_ne_u32_e32 vcc, 0, v4
	v_cndmask_b32_e64 v5, v11, v9, s[0:1]
	v_cndmask_b32_e64 v7, v12, v10, s[0:1]
	v_cndmask_b32_e32 v3, v3, v5, vcc
	v_xor_b32_e32 v5, s56, v19
	v_cndmask_b32_e32 v4, v6, v7, vcc
	v_xor_b32_e32 v3, v3, v5
	v_xor_b32_e32 v6, v4, v5
	v_sub_co_u32_e32 v4, vcc, v3, v5
	v_subb_co_u32_e32 v5, vcc, v6, v5, vcc
.LBB59_57:                              ;   in Loop: Header=BB59_3 Depth=1
	s_andn2_saveexec_b64 s[0:1], s[54:55]
	s_cbranch_execz .LBB59_2
; %bb.58:                               ;   in Loop: Header=BB59_3 Depth=1
	v_cvt_f32_u32_e32 v3, s42
	s_sub_i32 s54, 0, s42
	v_rcp_iflag_f32_e32 v3, v3
	v_mul_f32_e32 v3, 0x4f7ffffe, v3
	v_cvt_u32_f32_e32 v3, v3
	v_mul_lo_u32 v4, s54, v3
	v_mul_hi_u32 v4, v3, v4
	v_add_u32_e32 v3, v3, v4
	v_mul_hi_u32 v3, v0, v3
	v_mul_lo_u32 v4, v3, s42
	v_sub_u32_e32 v4, v0, v4
	v_add_u32_e32 v5, 1, v3
	v_subrev_u32_e32 v6, s42, v4
	v_cmp_le_u32_e32 vcc, s42, v4
	v_cndmask_b32_e32 v4, v4, v6, vcc
	v_cndmask_b32_e32 v3, v3, v5, vcc
	v_add_u32_e32 v5, 1, v3
	v_cmp_le_u32_e32 vcc, s42, v4
	v_cndmask_b32_e32 v4, v3, v5, vcc
	v_mov_b32_e32 v5, v2
	s_branch .LBB59_2
.LBB59_59:
	s_endpgm
	.section	.rodata,"a",@progbits
	.p2align	6, 0x0
	.amdhsa_kernel _ZN2at6native12_GLOBAL__N_16kernel17gru_cell_backwardIN3c104HalfEflLi2EEEvNS_4cuda6detail10TensorInfoIT_T1_EESB_SB_SB_SB_SA_SA_
		.amdhsa_group_segment_fixed_size 0
		.amdhsa_private_segment_fixed_size 0
		.amdhsa_kernarg_size 2352
		.amdhsa_user_sgpr_count 6
		.amdhsa_user_sgpr_private_segment_buffer 1
		.amdhsa_user_sgpr_dispatch_ptr 0
		.amdhsa_user_sgpr_queue_ptr 0
		.amdhsa_user_sgpr_kernarg_segment_ptr 1
		.amdhsa_user_sgpr_dispatch_id 0
		.amdhsa_user_sgpr_flat_scratch_init 0
		.amdhsa_user_sgpr_kernarg_preload_length 0
		.amdhsa_user_sgpr_kernarg_preload_offset 0
		.amdhsa_user_sgpr_private_segment_size 0
		.amdhsa_uses_dynamic_stack 0
		.amdhsa_system_sgpr_private_segment_wavefront_offset 0
		.amdhsa_system_sgpr_workgroup_id_x 1
		.amdhsa_system_sgpr_workgroup_id_y 0
		.amdhsa_system_sgpr_workgroup_id_z 0
		.amdhsa_system_sgpr_workgroup_info 0
		.amdhsa_system_vgpr_workitem_id 0
		.amdhsa_next_free_vgpr 39
		.amdhsa_next_free_sgpr 66
		.amdhsa_accum_offset 40
		.amdhsa_reserve_vcc 1
		.amdhsa_reserve_flat_scratch 0
		.amdhsa_float_round_mode_32 0
		.amdhsa_float_round_mode_16_64 0
		.amdhsa_float_denorm_mode_32 3
		.amdhsa_float_denorm_mode_16_64 3
		.amdhsa_dx10_clamp 1
		.amdhsa_ieee_mode 1
		.amdhsa_fp16_overflow 0
		.amdhsa_tg_split 0
		.amdhsa_exception_fp_ieee_invalid_op 0
		.amdhsa_exception_fp_denorm_src 0
		.amdhsa_exception_fp_ieee_div_zero 0
		.amdhsa_exception_fp_ieee_overflow 0
		.amdhsa_exception_fp_ieee_underflow 0
		.amdhsa_exception_fp_ieee_inexact 0
		.amdhsa_exception_int_div_zero 0
	.end_amdhsa_kernel
	.section	.text._ZN2at6native12_GLOBAL__N_16kernel17gru_cell_backwardIN3c104HalfEflLi2EEEvNS_4cuda6detail10TensorInfoIT_T1_EESB_SB_SB_SB_SA_SA_,"axG",@progbits,_ZN2at6native12_GLOBAL__N_16kernel17gru_cell_backwardIN3c104HalfEflLi2EEEvNS_4cuda6detail10TensorInfoIT_T1_EESB_SB_SB_SB_SA_SA_,comdat
.Lfunc_end59:
	.size	_ZN2at6native12_GLOBAL__N_16kernel17gru_cell_backwardIN3c104HalfEflLi2EEEvNS_4cuda6detail10TensorInfoIT_T1_EESB_SB_SB_SB_SA_SA_, .Lfunc_end59-_ZN2at6native12_GLOBAL__N_16kernel17gru_cell_backwardIN3c104HalfEflLi2EEEvNS_4cuda6detail10TensorInfoIT_T1_EESB_SB_SB_SB_SA_SA_
                                        ; -- End function
	.section	.AMDGPU.csdata,"",@progbits
; Kernel info:
; codeLenInByte = 13988
; NumSgprs: 70
; NumVgprs: 39
; NumAgprs: 0
; TotalNumVgprs: 39
; ScratchSize: 0
; MemoryBound: 0
; FloatMode: 240
; IeeeMode: 1
; LDSByteSize: 0 bytes/workgroup (compile time only)
; SGPRBlocks: 8
; VGPRBlocks: 4
; NumSGPRsForWavesPerEU: 70
; NumVGPRsForWavesPerEU: 39
; AccumOffset: 40
; Occupancy: 8
; WaveLimiterHint : 1
; COMPUTE_PGM_RSRC2:SCRATCH_EN: 0
; COMPUTE_PGM_RSRC2:USER_SGPR: 6
; COMPUTE_PGM_RSRC2:TRAP_HANDLER: 0
; COMPUTE_PGM_RSRC2:TGID_X_EN: 1
; COMPUTE_PGM_RSRC2:TGID_Y_EN: 0
; COMPUTE_PGM_RSRC2:TGID_Z_EN: 0
; COMPUTE_PGM_RSRC2:TIDIG_COMP_CNT: 0
; COMPUTE_PGM_RSRC3_GFX90A:ACCUM_OFFSET: 9
; COMPUTE_PGM_RSRC3_GFX90A:TG_SPLIT: 0
	.section	.text._ZN2at6native12_GLOBAL__N_16kernel17gru_cell_backwardIN3c108BFloat16EfiLi1EEEvNS_4cuda6detail10TensorInfoIT_T1_EESB_SB_SB_SB_SA_SA_,"axG",@progbits,_ZN2at6native12_GLOBAL__N_16kernel17gru_cell_backwardIN3c108BFloat16EfiLi1EEEvNS_4cuda6detail10TensorInfoIT_T1_EESB_SB_SB_SB_SA_SA_,comdat
	.globl	_ZN2at6native12_GLOBAL__N_16kernel17gru_cell_backwardIN3c108BFloat16EfiLi1EEEvNS_4cuda6detail10TensorInfoIT_T1_EESB_SB_SB_SB_SA_SA_ ; -- Begin function _ZN2at6native12_GLOBAL__N_16kernel17gru_cell_backwardIN3c108BFloat16EfiLi1EEEvNS_4cuda6detail10TensorInfoIT_T1_EESB_SB_SB_SB_SA_SA_
	.p2align	8
	.type	_ZN2at6native12_GLOBAL__N_16kernel17gru_cell_backwardIN3c108BFloat16EfiLi1EEEvNS_4cuda6detail10TensorInfoIT_T1_EESB_SB_SB_SB_SA_SA_,@function
_ZN2at6native12_GLOBAL__N_16kernel17gru_cell_backwardIN3c108BFloat16EfiLi1EEEvNS_4cuda6detail10TensorInfoIT_T1_EESB_SB_SB_SB_SA_SA_: ; @_ZN2at6native12_GLOBAL__N_16kernel17gru_cell_backwardIN3c108BFloat16EfiLi1EEEvNS_4cuda6detail10TensorInfoIT_T1_EESB_SB_SB_SB_SA_SA_
; %bb.0:
	s_load_dword s7, s[4:5], 0x44c
	s_load_dwordx2 s[2:3], s[4:5], 0x438
	s_add_u32 s0, s4, 0x440
	s_addc_u32 s1, s5, 0
	s_waitcnt lgkmcnt(0)
	s_and_b32 s20, s7, 0xffff
	s_mul_i32 s6, s6, s20
	v_add_u32_e32 v0, s6, v0
	v_cmp_gt_i32_e32 vcc, s3, v0
	s_and_saveexec_b64 s[6:7], vcc
	s_cbranch_execz .LBB60_3
; %bb.1:
	s_abs_i32 s18, s2
	v_cvt_f32_u32_e32 v1, s18
	s_load_dwordx2 s[6:7], s[4:5], 0x0
	s_load_dword s16, s[4:5], 0x6c
	s_load_dwordx2 s[8:9], s[4:5], 0xd8
	s_load_dword s17, s[4:5], 0x144
	;; [unrolled: 2-line block ×4, first 2 shown]
	s_load_dword s21, s[0:1], 0x0
	s_load_dwordx2 s[14:15], s[4:5], 0x360
	s_load_dword s19, s[4:5], 0x3cc
	v_rcp_iflag_f32_e32 v1, v1
	s_sub_i32 s0, 0, s18
	s_waitcnt lgkmcnt(0)
	s_mul_i32 s20, s21, s20
	s_ashr_i32 s21, s2, 31
	v_mul_f32_e32 v1, 0x4f7ffffe, v1
	v_cvt_u32_f32_e32 v1, v1
	s_lshl_b32 s22, s2, 2
	s_lshl_b32 s23, s2, 1
	v_mul_lo_u32 v4, v0, s25
	v_mul_lo_u32 v2, s0, v1
	v_mul_hi_u32 v2, v1, v2
	v_add_u32_e32 v1, v1, v2
	v_mul_lo_u32 v2, v0, s24
	s_mul_i32 s24, s20, s24
	s_mul_i32 s25, s20, s25
	s_mov_b64 s[4:5], 0
	v_mov_b32_e32 v8, s15
	v_mov_b32_e32 v9, s11
	s_movk_i32 s11, 0x7fff
	v_mov_b32_e32 v10, 0x7fc0
	v_mov_b32_e32 v11, s7
	v_mov_b32_e32 v12, s9
	v_mov_b32_e32 v13, s13
.LBB60_2:                               ; =>This Inner Loop Header: Depth=1
	v_ashrrev_i32_e32 v6, 31, v0
	v_sub_u32_e32 v7, 0, v0
	v_ashrrev_i32_e32 v3, 31, v2
	v_xor_b32_e32 v18, s21, v6
	v_max_i32_e32 v19, v0, v7
	v_lshlrev_b64 v[6:7], 1, v[2:3]
	v_ashrrev_i32_e32 v5, 31, v4
	v_add_co_u32_e32 v16, vcc, s10, v6
	v_lshlrev_b64 v[14:15], 1, v[4:5]
	v_mul_hi_u32 v3, v19, v1
	v_addc_co_u32_e32 v17, vcc, v9, v7, vcc
	v_add_co_u32_e32 v6, vcc, s12, v14
	v_mul_lo_u32 v14, v3, s18
	v_addc_co_u32_e32 v7, vcc, v13, v15, vcc
	v_sub_u32_e32 v14, v19, v14
	v_add_u32_e32 v15, 1, v3
	v_cmp_le_u32_e32 vcc, s18, v14
	v_cndmask_b32_e32 v3, v3, v15, vcc
	v_subrev_u32_e32 v15, s18, v14
	v_cndmask_b32_e32 v14, v14, v15, vcc
	v_add_u32_e32 v15, 1, v3
	v_cmp_le_u32_e32 vcc, s18, v14
	v_cndmask_b32_e32 v3, v3, v15, vcc
	v_xor_b32_e32 v3, v3, v18
	v_lshlrev_b32_e32 v5, 2, v18
	global_load_ushort v36, v[16:17], off
	v_sub_u32_e32 v16, v3, v18
	v_lshlrev_b32_e32 v17, 2, v3
	v_mad_u64_u32 v[14:15], s[0:1], s22, v16, v[0:1]
	v_sub_u32_e32 v5, v17, v5
	v_mad_u64_u32 v[16:17], s[0:1], s23, v16, v[0:1]
	v_lshlrev_b32_e32 v20, 1, v18
	v_lshlrev_b32_e32 v3, 1, v3
	v_mul_lo_u32 v14, v14, s19
	v_or_b32_e32 v17, 1, v5
	v_sub_u32_e32 v3, v3, v20
	v_ashrrev_i32_e32 v15, 31, v14
	v_mad_u64_u32 v[20:21], s[0:1], s2, v17, v[0:1]
	v_or_b32_e32 v19, 2, v5
	v_lshlrev_b64 v[14:15], 1, v[14:15]
	v_mul_lo_u32 v20, v20, s19
	v_mad_u64_u32 v[22:23], s[0:1], s2, v19, v[0:1]
	v_add_co_u32_e32 v14, vcc, s14, v14
	v_ashrrev_i32_e32 v21, 31, v20
	v_or_b32_e32 v24, 3, v5
	v_mul_lo_u32 v22, v22, s19
	v_addc_co_u32_e32 v15, vcc, v8, v15, vcc
	v_lshlrev_b64 v[20:21], 1, v[20:21]
	v_mad_u64_u32 v[24:25], s[0:1], s2, v24, v[0:1]
	v_ashrrev_i32_e32 v23, 31, v22
	v_add_co_u32_e32 v20, vcc, s14, v20
	v_add_u32_e32 v5, 4, v5
	v_mul_lo_u32 v24, v24, s19
	v_lshlrev_b64 v[22:23], 1, v[22:23]
	v_addc_co_u32_e32 v21, vcc, v8, v21, vcc
	v_mad_u64_u32 v[26:27], s[0:1], s2, v5, v[0:1]
	v_ashrrev_i32_e32 v25, 31, v24
	v_add_co_u32_e32 v22, vcc, s14, v22
	v_mul_lo_u32 v26, v26, s19
	v_lshlrev_b64 v[24:25], 1, v[24:25]
	v_addc_co_u32_e32 v23, vcc, v8, v23, vcc
	v_ashrrev_i32_e32 v27, 31, v26
	v_add_co_u32_e32 v24, vcc, s14, v24
	v_lshlrev_b64 v[26:27], 1, v[26:27]
	v_addc_co_u32_e32 v25, vcc, v8, v25, vcc
	v_or_b32_e32 v28, 1, v3
	v_add_u32_e32 v3, 2, v3
	v_add_co_u32_e32 v26, vcc, s14, v26
	v_mad_u64_u32 v[30:31], s[0:1], s2, v3, v[0:1]
	v_addc_co_u32_e32 v27, vcc, v8, v27, vcc
	global_load_ushort v3, v[26:27], off
	global_load_ushort v5, v[22:23], off
	global_load_ushort v31, v[24:25], off
	global_load_ushort v37, v[20:21], off
	global_load_ushort v38, v[14:15], off
	v_mad_u64_u32 v[28:29], s[0:1], s2, v28, v[0:1]
	v_mul_lo_u32 v32, v28, s16
	v_add_u32_e32 v0, s20, v0
	v_ashrrev_i32_e32 v33, 31, v32
	v_mul_lo_u32 v34, v30, s16
	v_cmp_le_i32_e32 vcc, s3, v0
	v_lshlrev_b64 v[20:21], 1, v[32:33]
	v_ashrrev_i32_e32 v35, 31, v34
	s_or_b64 s[4:5], vcc, s[4:5]
	v_add_co_u32_e32 v20, vcc, s6, v20
	v_mul_lo_u32 v28, v28, s17
	v_lshlrev_b64 v[22:23], 1, v[34:35]
	v_addc_co_u32_e32 v21, vcc, v11, v21, vcc
	v_ashrrev_i32_e32 v29, 31, v28
	v_add_co_u32_e32 v22, vcc, s6, v22
	v_mul_lo_u32 v14, v30, s17
	v_lshlrev_b64 v[24:25], 1, v[28:29]
	v_addc_co_u32_e32 v23, vcc, v11, v23, vcc
	v_mul_lo_u32 v18, v16, s16
	v_ashrrev_i32_e32 v15, 31, v14
	v_add_co_u32_e32 v24, vcc, s8, v24
	s_waitcnt vmcnt(5)
	v_lshlrev_b32_e32 v32, 16, v36
	v_ashrrev_i32_e32 v19, 31, v18
	v_lshlrev_b64 v[14:15], 1, v[14:15]
	v_addc_co_u32_e32 v25, vcc, v12, v25, vcc
	v_mul_lo_u32 v16, v16, s17
	v_lshlrev_b64 v[18:19], 1, v[18:19]
	v_add_co_u32_e32 v14, vcc, s8, v14
	v_ashrrev_i32_e32 v17, 31, v16
	v_add_co_u32_e64 v18, s[0:1], s6, v18
	v_addc_co_u32_e32 v15, vcc, v12, v15, vcc
	v_lshlrev_b64 v[16:17], 1, v[16:17]
	v_addc_co_u32_e64 v19, s[0:1], v11, v19, s[0:1]
	v_add_co_u32_e64 v16, s[0:1], s8, v16
	v_addc_co_u32_e64 v17, s[0:1], v12, v17, s[0:1]
	v_add_u32_e32 v2, s24, v2
	v_add_u32_e32 v4, s25, v4
	s_waitcnt vmcnt(4)
	v_lshlrev_b32_e32 v3, 16, v3
	s_waitcnt vmcnt(3)
	v_lshlrev_b32_e32 v27, 16, v5
	;; [unrolled: 2-line block ×3, first 2 shown]
	v_pk_mul_f32 v[30:31], v[26:27], v[26:27]
	s_waitcnt vmcnt(1)
	v_lshlrev_b32_e32 v29, 16, v37
	v_sub_f32_e32 v26, v26, v27
	v_mov_b32_e32 v28, v31
	v_mul_f32_e32 v33, v32, v29
	v_mul_f32_e32 v31, v26, v32
	v_pk_add_f32 v[26:27], v[28:29], 1.0 op_sel_hi:[1,0] neg_lo:[1,0] neg_hi:[1,0]
	v_bfe_u32 v34, v33, 16, 1
	v_mul_f32_e32 v31, v27, v31
	v_mul_f32_e32 v27, v27, v32
	s_waitcnt vmcnt(0)
	v_lshlrev_b32_e32 v5, 16, v38
	v_add3_u32 v28, v33, v34, s11
	v_mul_f32_e32 v26, v26, v27
	v_sub_f32_e32 v30, 1.0, v5
	v_lshrrev_b32_e32 v28, 16, v28
	v_cmp_o_f32_e32 vcc, v33, v33
	v_mul_f32_e32 v29, v31, v29
	v_mul_f32_e32 v3, v26, v3
	v_cndmask_b32_e32 v27, v10, v28, vcc
	v_mul_f32_e32 v28, v26, v5
	v_bfe_u32 v31, v29, 16, 1
	v_bfe_u32 v32, v26, 16, 1
	v_mul_f32_e32 v3, v30, v3
	v_add3_u32 v30, v29, v31, s11
	v_add3_u32 v31, v26, v32, s11
	v_bfe_u32 v32, v28, 16, 1
	v_mul_f32_e32 v3, v3, v5
	v_lshrrev_b32_e32 v5, 16, v30
	v_lshrrev_b32_e32 v30, 16, v31
	v_cmp_o_f32_e32 vcc, v26, v26
	v_add3_u32 v26, v28, v32, s11
	v_cmp_o_f32_e64 s[0:1], v29, v29
	v_bfe_u32 v29, v3, 16, 1
	v_cndmask_b32_e32 v30, v10, v30, vcc
	v_lshrrev_b32_e32 v26, 16, v26
	v_cmp_o_f32_e32 vcc, v28, v28
	v_add3_u32 v28, v3, v29, s11
	v_cndmask_b32_e32 v26, v10, v26, vcc
	v_lshrrev_b32_e32 v28, 16, v28
	v_cmp_o_f32_e32 vcc, v3, v3
	v_cndmask_b32_e32 v3, v10, v28, vcc
	v_cndmask_b32_e64 v5, v10, v5, s[0:1]
	global_store_short v[18:19], v3, off
	global_store_short v[20:21], v5, off
	;; [unrolled: 1-line block ×7, first 2 shown]
	s_andn2_b64 exec, exec, s[4:5]
	s_cbranch_execnz .LBB60_2
.LBB60_3:
	s_endpgm
	.section	.rodata,"a",@progbits
	.p2align	6, 0x0
	.amdhsa_kernel _ZN2at6native12_GLOBAL__N_16kernel17gru_cell_backwardIN3c108BFloat16EfiLi1EEEvNS_4cuda6detail10TensorInfoIT_T1_EESB_SB_SB_SB_SA_SA_
		.amdhsa_group_segment_fixed_size 0
		.amdhsa_private_segment_fixed_size 0
		.amdhsa_kernarg_size 1344
		.amdhsa_user_sgpr_count 6
		.amdhsa_user_sgpr_private_segment_buffer 1
		.amdhsa_user_sgpr_dispatch_ptr 0
		.amdhsa_user_sgpr_queue_ptr 0
		.amdhsa_user_sgpr_kernarg_segment_ptr 1
		.amdhsa_user_sgpr_dispatch_id 0
		.amdhsa_user_sgpr_flat_scratch_init 0
		.amdhsa_user_sgpr_kernarg_preload_length 0
		.amdhsa_user_sgpr_kernarg_preload_offset 0
		.amdhsa_user_sgpr_private_segment_size 0
		.amdhsa_uses_dynamic_stack 0
		.amdhsa_system_sgpr_private_segment_wavefront_offset 0
		.amdhsa_system_sgpr_workgroup_id_x 1
		.amdhsa_system_sgpr_workgroup_id_y 0
		.amdhsa_system_sgpr_workgroup_id_z 0
		.amdhsa_system_sgpr_workgroup_info 0
		.amdhsa_system_vgpr_workitem_id 0
		.amdhsa_next_free_vgpr 39
		.amdhsa_next_free_sgpr 26
		.amdhsa_accum_offset 40
		.amdhsa_reserve_vcc 1
		.amdhsa_reserve_flat_scratch 0
		.amdhsa_float_round_mode_32 0
		.amdhsa_float_round_mode_16_64 0
		.amdhsa_float_denorm_mode_32 3
		.amdhsa_float_denorm_mode_16_64 3
		.amdhsa_dx10_clamp 1
		.amdhsa_ieee_mode 1
		.amdhsa_fp16_overflow 0
		.amdhsa_tg_split 0
		.amdhsa_exception_fp_ieee_invalid_op 0
		.amdhsa_exception_fp_denorm_src 0
		.amdhsa_exception_fp_ieee_div_zero 0
		.amdhsa_exception_fp_ieee_overflow 0
		.amdhsa_exception_fp_ieee_underflow 0
		.amdhsa_exception_fp_ieee_inexact 0
		.amdhsa_exception_int_div_zero 0
	.end_amdhsa_kernel
	.section	.text._ZN2at6native12_GLOBAL__N_16kernel17gru_cell_backwardIN3c108BFloat16EfiLi1EEEvNS_4cuda6detail10TensorInfoIT_T1_EESB_SB_SB_SB_SA_SA_,"axG",@progbits,_ZN2at6native12_GLOBAL__N_16kernel17gru_cell_backwardIN3c108BFloat16EfiLi1EEEvNS_4cuda6detail10TensorInfoIT_T1_EESB_SB_SB_SB_SA_SA_,comdat
.Lfunc_end60:
	.size	_ZN2at6native12_GLOBAL__N_16kernel17gru_cell_backwardIN3c108BFloat16EfiLi1EEEvNS_4cuda6detail10TensorInfoIT_T1_EESB_SB_SB_SB_SA_SA_, .Lfunc_end60-_ZN2at6native12_GLOBAL__N_16kernel17gru_cell_backwardIN3c108BFloat16EfiLi1EEEvNS_4cuda6detail10TensorInfoIT_T1_EESB_SB_SB_SB_SA_SA_
                                        ; -- End function
	.section	.AMDGPU.csdata,"",@progbits
; Kernel info:
; codeLenInByte = 1228
; NumSgprs: 30
; NumVgprs: 39
; NumAgprs: 0
; TotalNumVgprs: 39
; ScratchSize: 0
; MemoryBound: 0
; FloatMode: 240
; IeeeMode: 1
; LDSByteSize: 0 bytes/workgroup (compile time only)
; SGPRBlocks: 3
; VGPRBlocks: 4
; NumSGPRsForWavesPerEU: 30
; NumVGPRsForWavesPerEU: 39
; AccumOffset: 40
; Occupancy: 8
; WaveLimiterHint : 1
; COMPUTE_PGM_RSRC2:SCRATCH_EN: 0
; COMPUTE_PGM_RSRC2:USER_SGPR: 6
; COMPUTE_PGM_RSRC2:TRAP_HANDLER: 0
; COMPUTE_PGM_RSRC2:TGID_X_EN: 1
; COMPUTE_PGM_RSRC2:TGID_Y_EN: 0
; COMPUTE_PGM_RSRC2:TGID_Z_EN: 0
; COMPUTE_PGM_RSRC2:TIDIG_COMP_CNT: 0
; COMPUTE_PGM_RSRC3_GFX90A:ACCUM_OFFSET: 9
; COMPUTE_PGM_RSRC3_GFX90A:TG_SPLIT: 0
	.section	.text._ZN2at6native12_GLOBAL__N_16kernel17gru_cell_backwardIN3c108BFloat16EfiLi2EEEvNS_4cuda6detail10TensorInfoIT_T1_EESB_SB_SB_SB_SA_SA_,"axG",@progbits,_ZN2at6native12_GLOBAL__N_16kernel17gru_cell_backwardIN3c108BFloat16EfiLi2EEEvNS_4cuda6detail10TensorInfoIT_T1_EESB_SB_SB_SB_SA_SA_,comdat
	.globl	_ZN2at6native12_GLOBAL__N_16kernel17gru_cell_backwardIN3c108BFloat16EfiLi2EEEvNS_4cuda6detail10TensorInfoIT_T1_EESB_SB_SB_SB_SA_SA_ ; -- Begin function _ZN2at6native12_GLOBAL__N_16kernel17gru_cell_backwardIN3c108BFloat16EfiLi2EEEvNS_4cuda6detail10TensorInfoIT_T1_EESB_SB_SB_SB_SA_SA_
	.p2align	8
	.type	_ZN2at6native12_GLOBAL__N_16kernel17gru_cell_backwardIN3c108BFloat16EfiLi2EEEvNS_4cuda6detail10TensorInfoIT_T1_EESB_SB_SB_SB_SA_SA_,@function
_ZN2at6native12_GLOBAL__N_16kernel17gru_cell_backwardIN3c108BFloat16EfiLi2EEEvNS_4cuda6detail10TensorInfoIT_T1_EESB_SB_SB_SB_SA_SA_: ; @_ZN2at6native12_GLOBAL__N_16kernel17gru_cell_backwardIN3c108BFloat16EfiLi2EEEvNS_4cuda6detail10TensorInfoIT_T1_EESB_SB_SB_SB_SA_SA_
; %bb.0:
	s_load_dword s2, s[4:5], 0x44c
	s_load_dwordx2 s[14:15], s[4:5], 0x438
	s_add_u32 s0, s4, 0x440
	s_addc_u32 s1, s5, 0
	s_waitcnt lgkmcnt(0)
	s_and_b32 s2, s2, 0xffff
	s_mul_i32 s6, s6, s2
	v_add_u32_e32 v0, s6, v0
	v_cmp_gt_i32_e32 vcc, s15, v0
	s_and_saveexec_b64 s[6:7], vcc
	s_cbranch_execz .LBB61_3
; %bb.1:
	s_abs_i32 s41, s14
	v_cvt_f32_u32_e32 v1, s41
	s_load_dwordx2 s[16:17], s[4:5], 0x0
	s_load_dword s33, s[4:5], 0xc
	s_load_dwordx2 s[18:19], s[4:5], 0x6c
	s_load_dwordx2 s[20:21], s[4:5], 0xd8
	s_load_dword s40, s[4:5], 0xe4
	s_load_dwordx2 s[22:23], s[4:5], 0x144
	;; [unrolled: 3-line block ×3, first 2 shown]
	s_load_dword s42, s[4:5], 0x36c
	s_load_dword s43, s[0:1], 0x0
	s_sub_i32 s1, 0, s41
	v_rcp_iflag_f32_e32 v1, v1
	s_waitcnt lgkmcnt(0)
	s_abs_i32 s48, s33
	s_abs_i32 s44, s42
	v_cvt_f32_u32_e32 v2, s44
	v_mul_f32_e32 v1, 0x4f7ffffe, v1
	v_cvt_u32_f32_e32 v1, v1
	s_abs_i32 s46, s3
	v_rcp_iflag_f32_e32 v2, v2
	s_load_dwordx2 s[28:29], s[4:5], 0x21c
	s_load_dwordx2 s[30:31], s[4:5], 0x288
	s_load_dword s0, s[4:5], 0x294
	s_load_dwordx2 s[34:35], s[4:5], 0x2f4
	s_load_dwordx2 s[36:37], s[4:5], 0x3cc
	v_mul_lo_u32 v3, s1, v1
	v_mul_hi_u32 v3, v1, v3
	v_add_u32_e32 v1, v1, v3
	v_cvt_f32_u32_e32 v3, s46
	v_mul_f32_e32 v2, 0x4f7ffffe, v2
	v_cvt_u32_f32_e32 v2, v2
	s_sub_i32 s1, 0, s44
	v_rcp_iflag_f32_e32 v3, v3
	s_abs_i32 s51, s40
	v_mul_lo_u32 v4, s1, v2
	v_mul_hi_u32 v4, v2, v4
	v_add_u32_e32 v4, v2, v4
	v_mul_f32_e32 v2, 0x4f7ffffe, v3
	v_cvt_f32_u32_e32 v3, s48
	v_cvt_u32_f32_e32 v2, v2
	s_sub_i32 s1, 0, s46
	s_waitcnt lgkmcnt(0)
	s_abs_i32 s52, s0
	v_rcp_iflag_f32_e32 v3, v3
	v_mul_lo_u32 v5, s1, v2
	v_mul_hi_u32 v5, v2, v5
	v_add_u32_e32 v5, v2, v5
	v_mul_f32_e32 v2, 0x4f7ffffe, v3
	v_cvt_u32_f32_e32 v2, v2
	s_sub_i32 s1, 0, s48
	v_cvt_f32_u32_e32 v3, s51
	s_mul_i32 s43, s43, s2
	v_mul_lo_u32 v6, s1, v2
	v_mul_hi_u32 v6, v2, v6
	v_add_u32_e32 v6, v2, v6
	v_cvt_f32_u32_e32 v2, s52
	v_rcp_iflag_f32_e32 v3, v3
	s_sub_i32 s1, 0, s51
	s_ashr_i32 s45, s14, 31
	v_rcp_iflag_f32_e32 v2, v2
	v_mul_f32_e32 v3, 0x4f7ffffe, v3
	v_cvt_u32_f32_e32 v3, v3
	s_ashr_i32 s47, s42, 31
	v_mul_f32_e32 v2, 0x4f7ffffe, v2
	v_cvt_u32_f32_e32 v2, v2
	v_mul_lo_u32 v7, s1, v3
	v_mul_hi_u32 v7, v3, v7
	s_sub_i32 s1, 0, s52
	v_add_u32_e32 v7, v3, v7
	v_mul_lo_u32 v3, s1, v2
	v_mul_hi_u32 v3, v2, v3
	s_ashr_i32 s49, s3, 31
	s_ashr_i32 s50, s33, 31
	;; [unrolled: 1-line block ×4, first 2 shown]
	v_add_u32_e32 v8, v2, v3
	s_lshl_b32 s55, s14, 2
	s_lshl_b32 s56, s14, 1
	s_sub_i32 s57, 0, s3
	s_sub_i32 s58, 0, s0
	s_mov_b64 s[38:39], 0
	v_mov_b32_e32 v9, s27
	v_mov_b32_e32 v10, s25
	s_movk_i32 s25, 0x7fff
	v_mov_b32_e32 v11, 0x7fc0
	v_mov_b32_e32 v12, s17
	;; [unrolled: 1-line block ×4, first 2 shown]
.LBB61_2:                               ; =>This Inner Loop Header: Depth=1
	v_sub_u32_e32 v3, 0, v0
	v_max_i32_e32 v3, v0, v3
	v_mul_hi_u32 v17, v3, v1
	v_mul_hi_u32 v19, v3, v5
	v_mul_lo_u32 v22, v17, s41
	v_mul_lo_u32 v24, v19, s46
	v_sub_u32_e32 v22, v3, v22
	v_mul_hi_u32 v21, v3, v8
	v_add_u32_e32 v23, 1, v17
	v_sub_u32_e32 v24, v3, v24
	v_cmp_le_u32_e32 vcc, s41, v22
	v_add_u32_e32 v25, 1, v19
	v_mul_lo_u32 v26, v21, s52
	v_cndmask_b32_e32 v17, v17, v23, vcc
	v_subrev_u32_e32 v23, s41, v22
	v_cmp_le_u32_e64 s[0:1], s46, v24
	v_sub_u32_e32 v3, v3, v26
	v_cndmask_b32_e64 v19, v19, v25, s[0:1]
	v_subrev_u32_e32 v25, s46, v24
	v_cndmask_b32_e32 v22, v22, v23, vcc
	v_add_u32_e32 v27, 1, v21
	v_cmp_le_u32_e64 s[2:3], s52, v3
	v_subrev_u32_e32 v26, s52, v3
	v_add_u32_e32 v23, 1, v17
	v_cndmask_b32_e64 v24, v24, v25, s[0:1]
	v_cmp_le_u32_e32 vcc, s41, v22
	v_ashrrev_i32_e32 v15, 31, v0
	v_cndmask_b32_e64 v21, v21, v27, s[2:3]
	v_add_u32_e32 v25, 1, v19
	v_cndmask_b32_e64 v3, v3, v26, s[2:3]
	v_cndmask_b32_e32 v17, v17, v23, vcc
	v_cmp_le_u32_e32 vcc, s46, v24
	v_xor_b32_e32 v2, s45, v15
	v_xor_b32_e32 v16, s49, v15
	v_add_u32_e32 v26, 1, v21
	v_cndmask_b32_e32 v19, v19, v25, vcc
	v_cmp_le_u32_e32 vcc, s52, v3
	v_xor_b32_e32 v15, s54, v15
	v_cndmask_b32_e32 v3, v21, v26, vcc
	v_xor_b32_e32 v17, v17, v2
	v_xor_b32_e32 v19, v19, v16
	v_lshlrev_b32_e32 v18, 2, v2
	v_lshlrev_b32_e32 v20, 1, v2
	v_xor_b32_e32 v3, v3, v15
	v_sub_u32_e32 v21, v17, v2
	v_lshlrev_b32_e32 v2, 2, v17
	v_sub_u32_e32 v19, v19, v16
	v_lshlrev_b32_e32 v16, 1, v17
	v_sub_u32_e32 v15, v3, v15
	v_sub_u32_e32 v18, v2, v18
	v_mad_u64_u32 v[2:3], s[0:1], s57, v19, v[0:1]
	v_mul_lo_u32 v22, s55, v21
	v_mul_lo_u32 v21, s56, v21
	v_sub_u32_e32 v3, v16, v20
	v_mul_lo_u32 v2, v2, s29
	v_mad_u64_u32 v[16:17], s[0:1], s58, v15, v[0:1]
	v_or_b32_e32 v20, 1, v18
	v_or_b32_e32 v23, 2, v18
	;; [unrolled: 1-line block ×3, first 2 shown]
	v_add_u32_e32 v18, 4, v18
	v_add_u32_e32 v25, v0, v21
	v_or_b32_e32 v26, 1, v3
	v_add_u32_e32 v27, 2, v3
	v_mad_u64_u32 v[2:3], s[0:1], v19, s28, v[2:3]
	v_add_u32_e32 v17, v0, v22
	v_mul_lo_u32 v20, s14, v20
	v_mul_lo_u32 v23, s14, v23
	;; [unrolled: 1-line block ×3, first 2 shown]
	v_ashrrev_i32_e32 v18, 31, v25
	v_ashrrev_i32_e32 v3, 31, v2
	v_mul_lo_u32 v16, v16, s35
	v_ashrrev_i32_e32 v28, 31, v17
	v_mul_lo_u32 v25, s14, v26
	v_mul_lo_u32 v26, s14, v27
	v_add_u32_e32 v27, v0, v20
	v_add_u32_e32 v30, v0, v23
	v_add3_u32 v34, v18, v21, v0
	v_lshlrev_b64 v[2:3], 1, v[2:3]
	v_mul_lo_u32 v24, s14, v24
	v_mad_u64_u32 v[16:17], s[0:1], v15, s34, v[16:17]
	v_add3_u32 v19, v28, v22, v0
	v_xor_b32_e32 v33, s50, v18
	v_xor_b32_e32 v37, s53, v18
	v_ashrrev_i32_e32 v27, 31, v27
	v_ashrrev_i32_e32 v30, 31, v30
	v_xor_b32_e32 v34, v34, v18
	v_add_co_u32_e32 v18, vcc, s24, v2
	v_xor_b32_e32 v15, s47, v28
	v_add_u32_e32 v31, v0, v24
	v_add_u32_e32 v32, v0, v29
	v_ashrrev_i32_e32 v17, 31, v16
	v_xor_b32_e32 v28, v19, v28
	v_add3_u32 v40, v27, v20, v0
	v_add3_u32 v42, v30, v23, v0
	v_addc_co_u32_e32 v19, vcc, v10, v3, vcc
	v_mul_hi_u32 v47, v34, v6
	v_mul_hi_u32 v52, v34, v7
	v_ashrrev_i32_e32 v31, 31, v31
	v_ashrrev_i32_e32 v32, 31, v32
	v_lshlrev_b64 v[16:17], 1, v[16:17]
	v_mul_hi_u32 v38, v28, v4
	v_xor_b32_e32 v39, s47, v27
	v_xor_b32_e32 v41, s47, v30
	;; [unrolled: 1-line block ×4, first 2 shown]
	global_load_ushort v40, v[18:19], off
	v_mul_lo_u32 v18, v47, s48
	v_mul_lo_u32 v42, v52, s51
	v_add_u32_e32 v35, v0, v25
	v_add3_u32 v44, v31, v24, v0
	v_add3_u32 v46, v32, v29, v0
	v_add_co_u32_e32 v2, vcc, s30, v16
	v_mul_lo_u32 v16, v38, s44
	v_sub_u32_e32 v18, v34, v18
	v_sub_u32_e32 v34, v34, v42
	v_add_u32_e32 v36, v0, v26
	v_ashrrev_i32_e32 v35, 31, v35
	v_xor_b32_e32 v43, s47, v31
	v_xor_b32_e32 v45, s47, v32
	v_addc_co_u32_e32 v3, vcc, v14, v17, vcc
	v_xor_b32_e32 v31, v44, v31
	v_xor_b32_e32 v32, v46, v32
	v_add_u32_e32 v44, 1, v52
	v_sub_u32_e32 v16, v28, v16
	v_mul_hi_u32 v46, v30, v4
	v_cmp_le_u32_e64 s[2:3], s51, v34
	v_ashrrev_i32_e32 v36, 31, v36
	v_add3_u32 v49, v35, v25, v0
	v_add_u32_e32 v17, 1, v38
	v_cmp_le_u32_e32 vcc, s44, v16
	v_cndmask_b32_e64 v44, v52, v44, s[2:3]
	v_mul_lo_u32 v52, v46, s44
	v_xor_b32_e32 v48, s50, v35
	v_add3_u32 v51, v36, v26, v0
	v_xor_b32_e32 v53, s53, v35
	v_xor_b32_e32 v35, v49, v35
	v_mul_hi_u32 v28, v27, v4
	v_mul_hi_u32 v49, v31, v4
	v_cndmask_b32_e32 v17, v38, v17, vcc
	v_subrev_u32_e32 v38, s44, v16
	v_cmp_le_u32_e64 s[0:1], s48, v18
	v_sub_u32_e32 v30, v30, v52
	v_subrev_u32_e32 v52, s48, v18
	v_xor_b32_e32 v50, s50, v36
	v_xor_b32_e32 v54, s53, v36
	;; [unrolled: 1-line block ×3, first 2 shown]
	v_mul_hi_u32 v51, v32, v4
	v_mul_hi_u32 v55, v35, v6
	;; [unrolled: 1-line block ×3, first 2 shown]
	v_mul_lo_u32 v58, v28, s44
	v_cndmask_b32_e32 v16, v16, v38, vcc
	v_mul_lo_u32 v38, v49, s44
	v_cndmask_b32_e64 v18, v18, v52, s[0:1]
	v_subrev_u32_e32 v52, s51, v34
	v_mul_hi_u32 v56, v36, v6
	v_mul_hi_u32 v57, v36, v7
	v_sub_u32_e32 v27, v27, v58
	v_mul_lo_u32 v58, v51, s44
	v_sub_u32_e32 v31, v31, v38
	v_mul_lo_u32 v38, v55, s48
	v_cndmask_b32_e64 v34, v34, v52, s[2:3]
	v_mul_lo_u32 v52, v42, s51
	v_sub_u32_e32 v32, v32, v58
	v_mul_lo_u32 v58, v56, s48
	v_sub_u32_e32 v38, v35, v38
	v_sub_u32_e32 v35, v35, v52
	v_mul_lo_u32 v52, v57, s51
	v_add_u32_e32 v19, 1, v47
	v_sub_u32_e32 v58, v36, v58
	v_sub_u32_e32 v36, v36, v52
	v_add_u32_e32 v52, 1, v17
	v_cmp_le_u32_e32 vcc, s44, v16
	v_cndmask_b32_e64 v19, v47, v19, s[0:1]
	v_add_u32_e32 v47, 1, v28
	v_cndmask_b32_e32 v17, v17, v52, vcc
	v_cmp_le_u32_e32 vcc, s44, v27
	v_cndmask_b32_e32 v28, v28, v47, vcc
	v_add_u32_e32 v47, 1, v51
	v_cmp_le_u32_e64 s[4:5], s44, v32
	v_add_u32_e32 v16, 1, v46
	v_cmp_le_u32_e64 s[0:1], s44, v30
	v_cndmask_b32_e64 v47, v51, v47, s[4:5]
	v_add_u32_e32 v51, 1, v19
	v_cmp_le_u32_e64 s[6:7], s48, v18
	v_add_u32_e32 v52, 1, v49
	v_cndmask_b32_e64 v16, v46, v16, s[0:1]
	v_add_u32_e32 v46, 1, v55
	v_cmp_le_u32_e64 s[2:3], s44, v31
	v_cndmask_b32_e64 v19, v19, v51, s[6:7]
	v_cmp_le_u32_e64 s[6:7], s48, v38
	v_cndmask_b32_e64 v49, v49, v52, s[2:3]
	v_add_u32_e32 v52, 1, v56
	v_cndmask_b32_e64 v46, v55, v46, s[6:7]
	v_add_u32_e32 v55, 1, v44
	v_cmp_le_u32_e64 s[8:9], s48, v58
	v_cmp_le_u32_e64 s[10:11], s51, v34
	v_add_u32_e32 v18, 1, v42
	v_cndmask_b32_e64 v52, v56, v52, s[8:9]
	v_subrev_u32_e32 v56, s44, v27
	v_cndmask_b32_e64 v44, v44, v55, s[10:11]
	v_cmp_le_u32_e64 s[10:11], s51, v35
	v_add_u32_e32 v51, 1, v57
	v_subrev_u32_e32 v34, s44, v30
	v_cndmask_b32_e64 v18, v42, v18, s[10:11]
	v_subrev_u32_e32 v42, s44, v32
	v_cmp_le_u32_e64 s[12:13], s51, v36
	v_cndmask_b32_e32 v27, v27, v56, vcc
	v_subrev_u32_e32 v55, s44, v31
	v_cndmask_b32_e64 v51, v57, v51, s[12:13]
	v_subrev_u32_e32 v57, s48, v38
	v_cndmask_b32_e64 v30, v30, v34, s[0:1]
	v_cndmask_b32_e64 v32, v32, v42, s[4:5]
	v_add_u32_e32 v42, 1, v28
	v_cmp_le_u32_e32 vcc, s44, v27
	v_subrev_u32_e32 v56, s48, v58
	v_cndmask_b32_e64 v31, v31, v55, s[2:3]
	v_cndmask_b32_e64 v38, v38, v57, s[6:7]
	v_add_u32_e32 v57, 1, v16
	v_cndmask_b32_e32 v28, v28, v42, vcc
	v_cmp_le_u32_e32 vcc, s44, v30
	v_subrev_u32_e32 v34, s51, v35
	v_cndmask_b32_e64 v56, v58, v56, s[8:9]
	v_add_u32_e32 v58, 1, v49
	v_cndmask_b32_e32 v16, v16, v57, vcc
	v_cmp_le_u32_e32 vcc, s44, v31
	v_subrev_u32_e32 v55, s51, v36
	v_cndmask_b32_e64 v34, v35, v34, s[10:11]
	v_add_u32_e32 v35, 1, v47
	v_cndmask_b32_e32 v30, v49, v58, vcc
	v_cmp_le_u32_e32 vcc, s44, v32
	v_xor_b32_e32 v17, v17, v15
	v_cndmask_b32_e64 v36, v36, v55, s[12:13]
	v_add_u32_e32 v55, 1, v46
	v_cndmask_b32_e32 v31, v47, v35, vcc
	v_cmp_le_u32_e32 vcc, s48, v38
	v_sub_u32_e32 v15, v17, v15
	v_add_u32_e32 v17, 1, v52
	v_cndmask_b32_e32 v32, v46, v55, vcc
	v_cmp_le_u32_e32 vcc, s48, v56
	v_xor_b32_e32 v19, v19, v33
	v_add_u32_e32 v27, 1, v18
	v_cndmask_b32_e32 v17, v52, v17, vcc
	v_cmp_le_u32_e32 vcc, s51, v34
	v_xor_b32_e32 v44, v44, v37
	v_add_u32_e32 v42, 1, v51
	v_sub_u32_e32 v19, v19, v33
	v_cndmask_b32_e32 v18, v18, v27, vcc
	v_cmp_le_u32_e32 vcc, s51, v36
	v_sub_u32_e32 v33, v44, v37
	v_cndmask_b32_e32 v27, v51, v42, vcc
	v_mul_lo_u32 v34, v15, s42
	v_xor_b32_e32 v28, v28, v39
	v_xor_b32_e32 v16, v16, v41
	v_xor_b32_e32 v30, v30, v43
	v_xor_b32_e32 v31, v31, v45
	v_mul_lo_u32 v35, v19, s33
	v_xor_b32_e32 v32, v32, v48
	v_xor_b32_e32 v17, v17, v50
	;; [unrolled: 1-line block ×3, first 2 shown]
	v_mul_lo_u32 v36, v33, s40
	v_xor_b32_e32 v27, v27, v54
	v_sub_u32_e32 v22, v22, v34
	v_sub_u32_e32 v37, v28, v39
	;; [unrolled: 1-line block ×11, first 2 shown]
	v_add_u32_e32 v18, v0, v22
	v_mul_lo_u32 v21, v37, s42
	v_mul_lo_u32 v22, v38, s42
	;; [unrolled: 1-line block ×7, first 2 shown]
	v_add_u32_e32 v30, v0, v16
	v_add_u32_e32 v17, v0, v17
	v_mul_lo_u32 v44, v43, s40
	v_mul_lo_u32 v16, v18, s37
	v_sub_u32_e32 v21, v20, v21
	v_sub_u32_e32 v22, v23, v22
	;; [unrolled: 1-line block ×7, first 2 shown]
	v_mul_lo_u32 v18, v30, s19
	v_mul_lo_u32 v20, v17, s23
	v_sub_u32_e32 v26, v26, v44
	v_mad_u64_u32 v[16:17], s[0:1], v15, s36, v[16:17]
	v_add_u32_e32 v15, v0, v21
	v_add_u32_e32 v29, v0, v22
	;; [unrolled: 1-line block ×7, first 2 shown]
	v_mad_u64_u32 v[20:21], s[0:1], v33, s22, v[20:21]
	v_add_u32_e32 v33, v0, v26
	v_ashrrev_i32_e32 v17, 31, v16
	v_mul_lo_u32 v22, v15, s37
	v_mul_lo_u32 v24, v29, s37
	;; [unrolled: 1-line block ×7, first 2 shown]
	v_mad_u64_u32 v[18:19], s[0:1], v19, s18, v[18:19]
	v_mul_lo_u32 v36, v33, s23
	v_lshlrev_b64 v[16:17], 1, v[16:17]
	v_mad_u64_u32 v[22:23], s[0:1], v37, s36, v[22:23]
	v_mad_u64_u32 v[24:25], s[0:1], v38, s36, v[24:25]
	;; [unrolled: 1-line block ×7, first 2 shown]
	v_add_co_u32_e64 v16, s[0:1], s26, v16
	v_ashrrev_i32_e32 v23, 31, v22
	v_addc_co_u32_e64 v17, s[0:1], v9, v17, s[0:1]
	v_lshlrev_b64 v[22:23], 1, v[22:23]
	v_ashrrev_i32_e32 v25, 31, v24
	v_add_co_u32_e64 v22, s[0:1], s26, v22
	v_lshlrev_b64 v[24:25], 1, v[24:25]
	v_addc_co_u32_e64 v23, s[0:1], v9, v23, s[0:1]
	v_ashrrev_i32_e32 v27, 31, v26
	v_add_co_u32_e64 v24, s[0:1], s26, v24
	v_lshlrev_b64 v[26:27], 1, v[26:27]
	v_addc_co_u32_e64 v25, s[0:1], v9, v25, s[0:1]
	;; [unrolled: 4-line block ×3, first 2 shown]
	v_add_co_u32_e64 v28, s[0:1], s26, v28
	v_addc_co_u32_e64 v29, s[0:1], v9, v29, s[0:1]
	global_load_ushort v15, v[28:29], off
	s_nop 0
	global_load_ushort v28, v[24:25], off
	global_load_ushort v37, v[26:27], off
	;; [unrolled: 1-line block ×4, first 2 shown]
	v_add_u32_e32 v0, s43, v0
	v_ashrrev_i32_e32 v19, 31, v18
	v_cmp_le_i32_e32 vcc, s15, v0
	v_lshlrev_b64 v[18:19], 1, v[18:19]
	v_ashrrev_i32_e32 v21, 31, v20
	s_or_b64 s[38:39], vcc, s[38:39]
	v_add_co_u32_e32 v18, vcc, s16, v18
	v_lshlrev_b64 v[20:21], 1, v[20:21]
	v_addc_co_u32_e32 v19, vcc, v12, v19, vcc
	v_ashrrev_i32_e32 v31, 31, v30
	v_add_co_u32_e32 v20, vcc, s20, v20
	v_addc_co_u32_e32 v21, vcc, v13, v21, vcc
	v_lshlrev_b64 v[22:23], 1, v[30:31]
	v_ashrrev_i32_e32 v33, 31, v32
	v_add_co_u32_e32 v22, vcc, s16, v22
	v_lshlrev_b64 v[24:25], 1, v[32:33]
	v_addc_co_u32_e32 v23, vcc, v12, v23, vcc
	v_ashrrev_i32_e32 v35, 31, v34
	v_add_co_u32_e32 v24, vcc, s16, v24
	v_lshlrev_b64 v[26:27], 1, v[34:35]
	v_addc_co_u32_e32 v25, vcc, v12, v25, vcc
	v_add_co_u32_e32 v26, vcc, s20, v26
	s_waitcnt vmcnt(5)
	v_lshlrev_b32_e32 v34, 16, v40
	v_addc_co_u32_e32 v27, vcc, v13, v27, vcc
	s_waitcnt vmcnt(4)
	v_lshlrev_b32_e32 v15, 16, v15
	s_waitcnt vmcnt(3)
	v_lshlrev_b32_e32 v29, 16, v28
	;; [unrolled: 2-line block ×3, first 2 shown]
	v_mad_u64_u32 v[16:17], s[0:1], v43, s22, v[36:37]
	v_pk_mul_f32 v[32:33], v[28:29], v[28:29]
	v_ashrrev_i32_e32 v17, 31, v16
	s_waitcnt vmcnt(1)
	v_lshlrev_b32_e32 v31, 16, v38
	v_sub_f32_e32 v28, v28, v29
	v_mov_b32_e32 v30, v33
	v_lshlrev_b64 v[16:17], 1, v[16:17]
	v_mul_f32_e32 v36, v34, v31
	v_mul_f32_e32 v33, v28, v34
	v_pk_add_f32 v[28:29], v[30:31], 1.0 op_sel_hi:[1,0] neg_lo:[1,0] neg_hi:[1,0]
	v_add_co_u32_e32 v16, vcc, s20, v16
	v_bfe_u32 v37, v36, 16, 1
	v_mul_f32_e32 v33, v29, v33
	v_mul_f32_e32 v29, v29, v34
	v_addc_co_u32_e32 v17, vcc, v13, v17, vcc
	s_waitcnt vmcnt(0)
	v_lshlrev_b32_e32 v35, 16, v39
	v_add3_u32 v30, v36, v37, s25
	v_mul_f32_e32 v28, v28, v29
	v_sub_f32_e32 v32, 1.0, v35
	v_lshrrev_b32_e32 v30, 16, v30
	v_cmp_o_f32_e32 vcc, v36, v36
	v_mul_f32_e32 v31, v33, v31
	v_mul_f32_e32 v15, v28, v15
	v_cndmask_b32_e32 v29, v11, v30, vcc
	v_mul_f32_e32 v30, v28, v35
	v_bfe_u32 v33, v31, 16, 1
	v_bfe_u32 v34, v28, 16, 1
	v_mul_f32_e32 v15, v32, v15
	v_add3_u32 v32, v31, v33, s25
	v_add3_u32 v33, v28, v34, s25
	v_bfe_u32 v34, v30, 16, 1
	v_mul_f32_e32 v15, v15, v35
	v_lshrrev_b32_e32 v33, 16, v33
	v_cmp_o_f32_e32 vcc, v28, v28
	v_add3_u32 v28, v30, v34, s25
	v_cmp_o_f32_e64 s[0:1], v31, v31
	v_bfe_u32 v31, v15, 16, 1
	v_cndmask_b32_e32 v33, v11, v33, vcc
	v_lshrrev_b32_e32 v28, 16, v28
	v_cmp_o_f32_e32 vcc, v30, v30
	v_add3_u32 v30, v15, v31, s25
	v_cndmask_b32_e32 v28, v11, v28, vcc
	v_lshrrev_b32_e32 v30, 16, v30
	v_cmp_o_f32_e32 vcc, v15, v15
	v_lshrrev_b32_e32 v32, 16, v32
	v_cndmask_b32_e32 v15, v11, v30, vcc
	v_cndmask_b32_e64 v32, v11, v32, s[0:1]
	global_store_short v[18:19], v15, off
	global_store_short v[22:23], v32, off
	;; [unrolled: 1-line block ×7, first 2 shown]
	s_andn2_b64 exec, exec, s[38:39]
	s_cbranch_execnz .LBB61_2
.LBB61_3:
	s_endpgm
	.section	.rodata,"a",@progbits
	.p2align	6, 0x0
	.amdhsa_kernel _ZN2at6native12_GLOBAL__N_16kernel17gru_cell_backwardIN3c108BFloat16EfiLi2EEEvNS_4cuda6detail10TensorInfoIT_T1_EESB_SB_SB_SB_SA_SA_
		.amdhsa_group_segment_fixed_size 0
		.amdhsa_private_segment_fixed_size 0
		.amdhsa_kernarg_size 1344
		.amdhsa_user_sgpr_count 6
		.amdhsa_user_sgpr_private_segment_buffer 1
		.amdhsa_user_sgpr_dispatch_ptr 0
		.amdhsa_user_sgpr_queue_ptr 0
		.amdhsa_user_sgpr_kernarg_segment_ptr 1
		.amdhsa_user_sgpr_dispatch_id 0
		.amdhsa_user_sgpr_flat_scratch_init 0
		.amdhsa_user_sgpr_kernarg_preload_length 0
		.amdhsa_user_sgpr_kernarg_preload_offset 0
		.amdhsa_user_sgpr_private_segment_size 0
		.amdhsa_uses_dynamic_stack 0
		.amdhsa_system_sgpr_private_segment_wavefront_offset 0
		.amdhsa_system_sgpr_workgroup_id_x 1
		.amdhsa_system_sgpr_workgroup_id_y 0
		.amdhsa_system_sgpr_workgroup_id_z 0
		.amdhsa_system_sgpr_workgroup_info 0
		.amdhsa_system_vgpr_workitem_id 0
		.amdhsa_next_free_vgpr 59
		.amdhsa_next_free_sgpr 59
		.amdhsa_accum_offset 60
		.amdhsa_reserve_vcc 1
		.amdhsa_reserve_flat_scratch 0
		.amdhsa_float_round_mode_32 0
		.amdhsa_float_round_mode_16_64 0
		.amdhsa_float_denorm_mode_32 3
		.amdhsa_float_denorm_mode_16_64 3
		.amdhsa_dx10_clamp 1
		.amdhsa_ieee_mode 1
		.amdhsa_fp16_overflow 0
		.amdhsa_tg_split 0
		.amdhsa_exception_fp_ieee_invalid_op 0
		.amdhsa_exception_fp_denorm_src 0
		.amdhsa_exception_fp_ieee_div_zero 0
		.amdhsa_exception_fp_ieee_overflow 0
		.amdhsa_exception_fp_ieee_underflow 0
		.amdhsa_exception_fp_ieee_inexact 0
		.amdhsa_exception_int_div_zero 0
	.end_amdhsa_kernel
	.section	.text._ZN2at6native12_GLOBAL__N_16kernel17gru_cell_backwardIN3c108BFloat16EfiLi2EEEvNS_4cuda6detail10TensorInfoIT_T1_EESB_SB_SB_SB_SA_SA_,"axG",@progbits,_ZN2at6native12_GLOBAL__N_16kernel17gru_cell_backwardIN3c108BFloat16EfiLi2EEEvNS_4cuda6detail10TensorInfoIT_T1_EESB_SB_SB_SB_SA_SA_,comdat
.Lfunc_end61:
	.size	_ZN2at6native12_GLOBAL__N_16kernel17gru_cell_backwardIN3c108BFloat16EfiLi2EEEvNS_4cuda6detail10TensorInfoIT_T1_EESB_SB_SB_SB_SA_SA_, .Lfunc_end61-_ZN2at6native12_GLOBAL__N_16kernel17gru_cell_backwardIN3c108BFloat16EfiLi2EEEvNS_4cuda6detail10TensorInfoIT_T1_EESB_SB_SB_SB_SA_SA_
                                        ; -- End function
	.section	.AMDGPU.csdata,"",@progbits
; Kernel info:
; codeLenInByte = 2988
; NumSgprs: 63
; NumVgprs: 59
; NumAgprs: 0
; TotalNumVgprs: 59
; ScratchSize: 0
; MemoryBound: 0
; FloatMode: 240
; IeeeMode: 1
; LDSByteSize: 0 bytes/workgroup (compile time only)
; SGPRBlocks: 7
; VGPRBlocks: 7
; NumSGPRsForWavesPerEU: 63
; NumVGPRsForWavesPerEU: 59
; AccumOffset: 60
; Occupancy: 8
; WaveLimiterHint : 1
; COMPUTE_PGM_RSRC2:SCRATCH_EN: 0
; COMPUTE_PGM_RSRC2:USER_SGPR: 6
; COMPUTE_PGM_RSRC2:TRAP_HANDLER: 0
; COMPUTE_PGM_RSRC2:TGID_X_EN: 1
; COMPUTE_PGM_RSRC2:TGID_Y_EN: 0
; COMPUTE_PGM_RSRC2:TGID_Z_EN: 0
; COMPUTE_PGM_RSRC2:TIDIG_COMP_CNT: 0
; COMPUTE_PGM_RSRC3_GFX90A:ACCUM_OFFSET: 14
; COMPUTE_PGM_RSRC3_GFX90A:TG_SPLIT: 0
	.section	.text._ZN2at6native12_GLOBAL__N_16kernel17gru_cell_backwardIN3c108BFloat16EflLi1EEEvNS_4cuda6detail10TensorInfoIT_T1_EESB_SB_SB_SB_SA_SA_,"axG",@progbits,_ZN2at6native12_GLOBAL__N_16kernel17gru_cell_backwardIN3c108BFloat16EflLi1EEEvNS_4cuda6detail10TensorInfoIT_T1_EESB_SB_SB_SB_SA_SA_,comdat
	.globl	_ZN2at6native12_GLOBAL__N_16kernel17gru_cell_backwardIN3c108BFloat16EflLi1EEEvNS_4cuda6detail10TensorInfoIT_T1_EESB_SB_SB_SB_SA_SA_ ; -- Begin function _ZN2at6native12_GLOBAL__N_16kernel17gru_cell_backwardIN3c108BFloat16EflLi1EEEvNS_4cuda6detail10TensorInfoIT_T1_EESB_SB_SB_SB_SA_SA_
	.p2align	8
	.type	_ZN2at6native12_GLOBAL__N_16kernel17gru_cell_backwardIN3c108BFloat16EflLi1EEEvNS_4cuda6detail10TensorInfoIT_T1_EESB_SB_SB_SB_SA_SA_,@function
_ZN2at6native12_GLOBAL__N_16kernel17gru_cell_backwardIN3c108BFloat16EflLi1EEEvNS_4cuda6detail10TensorInfoIT_T1_EESB_SB_SB_SB_SA_SA_: ; @_ZN2at6native12_GLOBAL__N_16kernel17gru_cell_backwardIN3c108BFloat16EflLi1EEEvNS_4cuda6detail10TensorInfoIT_T1_EESB_SB_SB_SB_SA_SA_
; %bb.0:
	s_load_dword s2, s[4:5], 0x83c
	s_load_dwordx4 s[8:11], s[4:5], 0x820
	s_add_u32 s0, s4, 0x830
	s_addc_u32 s1, s5, 0
	v_mov_b32_e32 v2, 0
	s_waitcnt lgkmcnt(0)
	s_and_b32 s20, s2, 0xffff
	s_mul_i32 s6, s6, s20
	v_add_u32_e32 v0, s6, v0
	v_mov_b32_e32 v1, v2
	v_cmp_gt_i64_e32 vcc, s[10:11], v[0:1]
	s_and_saveexec_b64 s[2:3], vcc
	s_cbranch_execz .LBB62_7
; %bb.1:
	s_load_dwordx2 s[2:3], s[4:5], 0x0
	s_load_dwordx2 s[6:7], s[4:5], 0xd0
	;; [unrolled: 1-line block ×4, first 2 shown]
	s_load_dword s21, s[0:1], 0x0
	s_load_dwordx2 s[22:23], s[4:5], 0x340
	s_load_dwordx2 s[24:25], s[4:5], 0x410
	;; [unrolled: 1-line block ×6, first 2 shown]
	s_waitcnt lgkmcnt(0)
	v_mul_lo_u32 v3, 0, s24
	v_mul_lo_u32 v6, v0, s25
	v_mad_u64_u32 v[4:5], s[0:1], v0, s24, 0
	s_mul_i32 s33, s21, s20
	v_add3_u32 v5, v5, v6, v3
	v_lshlrev_b64 v[4:5], 1, v[4:5]
	s_mul_i32 s0, s33, s25
	s_mul_hi_u32 s1, s33, s24
	v_mov_b32_e32 v3, s23
	v_add_co_u32_e32 v4, vcc, s22, v4
	s_add_i32 s1, s1, s0
	s_mul_i32 s0, s33, s24
	v_addc_co_u32_e32 v5, vcc, v3, v5, vcc
	s_lshl_b64 s[22:23], s[0:1], 1
	v_mul_lo_u32 v3, 0, s28
	v_mul_lo_u32 v8, v0, s29
	v_mad_u64_u32 v[6:7], s[0:1], v0, s28, 0
	v_add3_u32 v7, v7, v8, v3
	v_lshlrev_b64 v[6:7], 1, v[6:7]
	s_mul_i32 s0, s33, s29
	s_mul_hi_u32 s1, s33, s28
	v_mov_b32_e32 v3, s27
	v_add_co_u32_e32 v6, vcc, s26, v6
	s_add_i32 s1, s1, s0
	s_mul_i32 s0, s33, s28
	s_mov_b32 s36, 0
	s_lshl_b64 s[4:5], s[8:9], 2
	s_lshl_b64 s[20:21], s[8:9], 1
	v_addc_co_u32_e32 v7, vcc, v3, v7, vcc
	s_lshl_b64 s[24:25], s[0:1], 1
	s_mov_b64 s[26:27], 0
	s_ashr_i32 s28, s9, 31
	s_movk_i32 s37, 0x7fff
	v_mov_b32_e32 v10, 0x7fc0
	s_branch .LBB62_3
.LBB62_2:                               ;   in Loop: Header=BB62_3 Depth=1
	s_or_b64 exec, exec, s[0:1]
	v_mad_u64_u32 v[12:13], s[0:1], s4, v8, v[0:1]
	v_mul_lo_u32 v3, s4, v9
	v_mul_lo_u32 v11, s5, v8
	v_lshlrev_b64 v[14:15], 2, v[8:9]
	v_add3_u32 v3, v11, v13, v3
	v_or_b32_e32 v13, 1, v14
	v_mul_lo_u32 v22, s8, v15
	v_mul_lo_u32 v18, s9, v13
	v_mad_u64_u32 v[16:17], s[0:1], s8, v13, v[0:1]
	v_add3_u32 v13, v18, v17, v22
	v_mul_lo_u32 v13, v13, s18
	v_mul_lo_u32 v18, v16, s19
	v_mad_u64_u32 v[16:17], s[0:1], v16, s18, 0
	v_add3_u32 v17, v17, v18, v13
	v_or_b32_e32 v13, 2, v14
	v_mul_lo_u32 v20, s9, v13
	v_mad_u64_u32 v[18:19], s[0:1], s8, v13, v[0:1]
	v_add3_u32 v13, v20, v19, v22
	v_mul_lo_u32 v13, v13, s18
	v_mul_lo_u32 v20, v18, s19
	v_mad_u64_u32 v[18:19], s[0:1], v18, s18, 0
	v_add3_u32 v19, v19, v20, v13
	v_or_b32_e32 v13, 3, v14
	v_mul_lo_u32 v23, s9, v13
	v_mad_u64_u32 v[20:21], s[0:1], s8, v13, v[0:1]
	v_add3_u32 v13, v23, v21, v22
	v_lshlrev_b64 v[18:19], 1, v[18:19]
	v_mul_lo_u32 v13, v13, s18
	v_mul_lo_u32 v22, v20, s19
	v_mad_u64_u32 v[20:21], s[0:1], v20, s18, 0
	v_mov_b32_e32 v11, s17
	v_add_co_u32_e32 v18, vcc, s16, v18
	v_add3_u32 v21, v21, v22, v13
	v_addc_co_u32_e32 v19, vcc, v11, v19, vcc
	v_lshlrev_b64 v[20:21], 1, v[20:21]
	v_add_co_u32_e32 v20, vcc, s16, v20
	v_addc_co_u32_e32 v21, vcc, v11, v21, vcc
	v_add_co_u32_e32 v13, vcc, 4, v14
	v_addc_co_u32_e32 v14, vcc, 0, v15, vcc
	v_mul_lo_u32 v22, s8, v14
	v_mul_lo_u32 v23, s9, v13
	v_mad_u64_u32 v[14:15], s[0:1], s8, v13, v[0:1]
	v_add3_u32 v13, v23, v15, v22
	v_mul_lo_u32 v13, v13, s18
	v_mul_lo_u32 v22, v14, s19
	v_mad_u64_u32 v[14:15], s[0:1], v14, s18, 0
	v_add3_u32 v15, v15, v22, v13
	v_lshlrev_b64 v[14:15], 1, v[14:15]
	v_add_co_u32_e32 v14, vcc, s16, v14
	v_lshlrev_b64 v[16:17], 1, v[16:17]
	v_addc_co_u32_e32 v15, vcc, v11, v15, vcc
	global_load_ushort v22, v[14:15], off
	global_load_ushort v23, v[20:21], off
	;; [unrolled: 1-line block ×3, first 2 shown]
	v_add_co_u32_e32 v14, vcc, s16, v16
	v_addc_co_u32_e32 v15, vcc, v11, v17, vcc
	global_load_ushort v16, v[14:15], off
	global_load_ushort v18, v[4:5], off
	v_mul_lo_u32 v14, v12, s19
	v_mul_lo_u32 v3, v3, s18
	v_mad_u64_u32 v[12:13], s[0:1], v12, s18, 0
	v_add3_u32 v13, v13, v14, v3
	v_lshlrev_b64 v[12:13], 1, v[12:13]
	v_add_co_u32_e32 v12, vcc, s16, v12
	v_addc_co_u32_e32 v13, vcc, v11, v13, vcc
	global_load_ushort v3, v[12:13], off
	v_mad_u64_u32 v[12:13], s[0:1], s20, v8, v[0:1]
	v_mul_lo_u32 v11, s20, v9
	v_mul_lo_u32 v14, s21, v8
	v_add3_u32 v11, v14, v13, v11
	v_lshlrev_b64 v[8:9], 1, v[8:9]
	s_waitcnt vmcnt(4)
	v_lshlrev_b32_e32 v14, 16, v23
	s_waitcnt vmcnt(3)
	v_lshlrev_b32_e32 v15, 16, v24
	;; [unrolled: 2-line block ×4, first 2 shown]
	v_pk_mul_f32 v[18:19], v[14:15], v[14:15]
	v_mov_b32_e32 v16, v19
	v_sub_f32_e32 v14, v14, v15
	v_pk_add_f32 v[18:19], v[16:17], 1.0 op_sel_hi:[1,0] neg_lo:[1,0] neg_hi:[1,0]
	v_mul_f32_e32 v14, v14, v13
	v_mul_f32_e32 v20, v13, v17
	;; [unrolled: 1-line block ×6, first 2 shown]
	s_waitcnt vmcnt(0)
	v_lshlrev_b32_e32 v3, 16, v3
	v_lshlrev_b32_e32 v14, 16, v22
	v_mul_f32_e32 v14, v13, v14
	v_sub_f32_e32 v15, 1.0, v3
	v_mul_f32_e32 v14, v15, v14
	v_mul_f32_e32 v18, v13, v3
	;; [unrolled: 1-line block ×3, first 2 shown]
	v_bfe_u32 v14, v3, 16, 1
	v_add3_u32 v14, v3, v14, s37
	v_lshrrev_b32_e32 v14, 16, v14
	v_cmp_o_f32_e32 vcc, v3, v3
	v_cndmask_b32_e32 v3, v10, v14, vcc
	v_mul_lo_u32 v17, v12, s7
	v_mul_lo_u32 v19, v11, s6
	v_mad_u64_u32 v[14:15], s[0:1], v12, s6, 0
	v_add3_u32 v15, v15, v17, v19
	v_lshlrev_b64 v[14:15], 1, v[14:15]
	v_mov_b32_e32 v19, s3
	v_add_co_u32_e32 v14, vcc, s2, v14
	v_addc_co_u32_e32 v15, vcc, v19, v15, vcc
	global_store_short v[14:15], v3, off
	v_bfe_u32 v14, v16, 16, 1
	v_add3_u32 v14, v16, v14, s37
	v_lshrrev_b32_e32 v14, 16, v14
	v_cmp_o_f32_e32 vcc, v16, v16
	v_cndmask_b32_e32 v21, v10, v14, vcc
	v_or_b32_e32 v14, 1, v8
	v_mul_lo_u32 v16, s8, v9
	v_mul_lo_u32 v17, s9, v14
	v_mad_u64_u32 v[14:15], s[0:1], s8, v14, v[0:1]
	v_add3_u32 v15, v17, v15, v16
	v_mul_lo_u32 v22, v15, s6
	v_mul_lo_u32 v23, v14, s7
	v_mad_u64_u32 v[16:17], s[0:1], v14, s6, 0
	v_add3_u32 v17, v17, v23, v22
	v_lshlrev_b64 v[16:17], 1, v[16:17]
	v_add_co_u32_e32 v16, vcc, s2, v16
	v_addc_co_u32_e32 v17, vcc, v19, v17, vcc
	global_store_short v[16:17], v21, off
	v_bfe_u32 v16, v13, 16, 1
	v_add3_u32 v16, v13, v16, s37
	v_lshrrev_b32_e32 v16, 16, v16
	v_cmp_o_f32_e32 vcc, v13, v13
	v_cndmask_b32_e32 v13, v10, v16, vcc
	v_add_co_u32_e32 v8, vcc, 2, v8
	v_addc_co_u32_e32 v9, vcc, 0, v9, vcc
	v_mul_lo_u32 v16, s8, v9
	v_mul_lo_u32 v17, s9, v8
	v_mad_u64_u32 v[8:9], s[0:1], s8, v8, v[0:1]
	v_add3_u32 v9, v17, v9, v16
	v_mul_lo_u32 v22, v9, s6
	v_mul_lo_u32 v23, v8, s7
	v_mad_u64_u32 v[16:17], s[0:1], v8, s6, 0
	v_add3_u32 v17, v17, v23, v22
	v_lshlrev_b64 v[16:17], 1, v[16:17]
	v_add_co_u32_e32 v16, vcc, s2, v16
	v_addc_co_u32_e32 v17, vcc, v19, v17, vcc
	global_store_short v[16:17], v13, off
	v_mul_lo_u32 v16, v12, s15
	v_mul_lo_u32 v11, v11, s14
	v_mad_u64_u32 v[12:13], s[0:1], v12, s14, 0
	v_add3_u32 v13, v13, v16, v11
	v_lshlrev_b64 v[12:13], 1, v[12:13]
	v_mov_b32_e32 v11, s13
	v_add_co_u32_e32 v12, vcc, s12, v12
	v_addc_co_u32_e32 v13, vcc, v11, v13, vcc
	global_store_short v[12:13], v3, off
	v_mul_lo_u32 v3, v15, s14
	v_mul_lo_u32 v15, v14, s15
	v_mad_u64_u32 v[12:13], s[0:1], v14, s14, 0
	v_add3_u32 v13, v13, v15, v3
	v_lshlrev_b64 v[12:13], 1, v[12:13]
	v_add_co_u32_e32 v12, vcc, s12, v12
	v_addc_co_u32_e32 v13, vcc, v11, v13, vcc
	global_store_short v[12:13], v21, off
	v_bfe_u32 v3, v18, 16, 1
	v_mul_lo_u32 v12, v9, s14
	v_mul_lo_u32 v13, v8, s15
	v_mad_u64_u32 v[8:9], s[0:1], v8, s14, 0
	v_add3_u32 v3, v18, v3, s37
	v_add3_u32 v9, v9, v13, v12
	v_lshrrev_b32_e32 v3, 16, v3
	v_cmp_o_f32_e32 vcc, v18, v18
	v_lshlrev_b64 v[8:9], 1, v[8:9]
	v_cndmask_b32_e32 v3, v10, v3, vcc
	v_add_co_u32_e32 v8, vcc, s12, v8
	v_addc_co_u32_e32 v9, vcc, v11, v9, vcc
	global_store_short v[8:9], v3, off
	v_bfe_u32 v3, v20, 16, 1
	v_add3_u32 v3, v20, v3, s37
	v_lshrrev_b32_e32 v3, 16, v3
	v_cmp_o_f32_e32 vcc, v20, v20
	v_cndmask_b32_e32 v3, v10, v3, vcc
	global_store_short v[6:7], v3, off
	v_mov_b32_e32 v3, s36
	v_add_co_u32_e32 v0, vcc, s33, v0
	v_addc_co_u32_e32 v1, vcc, v1, v3, vcc
	v_mov_b32_e32 v3, s23
	v_add_co_u32_e32 v4, vcc, s22, v4
	v_addc_co_u32_e32 v5, vcc, v5, v3, vcc
	v_cmp_le_i64_e32 vcc, s[10:11], v[0:1]
	v_mov_b32_e32 v3, s25
	s_or_b64 s[26:27], vcc, s[26:27]
	v_add_co_u32_e32 v6, vcc, s24, v6
	v_addc_co_u32_e32 v7, vcc, v7, v3, vcc
	s_andn2_b64 exec, exec, s[26:27]
	s_cbranch_execz .LBB62_7
.LBB62_3:                               ; =>This Inner Loop Header: Depth=1
	v_or_b32_e32 v3, s9, v1
	v_cmp_ne_u64_e32 vcc, 0, v[2:3]
                                        ; implicit-def: $vgpr8_vgpr9
	s_and_saveexec_b64 s[0:1], vcc
	s_xor_b64 s[30:31], exec, s[0:1]
	s_cbranch_execz .LBB62_5
; %bb.4:                                ;   in Loop: Header=BB62_3 Depth=1
	s_add_u32 s0, s8, s28
	s_mov_b32 s29, s28
	s_addc_u32 s1, s9, s28
	s_xor_b64 s[34:35], s[0:1], s[28:29]
	v_cvt_f32_u32_e32 v3, s34
	v_cvt_f32_u32_e32 v8, s35
	s_sub_u32 s0, 0, s34
	s_subb_u32 s1, 0, s35
	v_mac_f32_e32 v3, 0x4f800000, v8
	v_rcp_f32_e32 v3, v3
	v_mul_f32_e32 v3, 0x5f7ffffc, v3
	v_mul_f32_e32 v8, 0x2f800000, v3
	v_trunc_f32_e32 v8, v8
	v_mac_f32_e32 v3, 0xcf800000, v8
	v_cvt_u32_f32_e32 v8, v8
	v_cvt_u32_f32_e32 v3, v3
	v_mul_lo_u32 v9, s0, v8
	v_mul_hi_u32 v12, s0, v3
	v_mul_lo_u32 v11, s1, v3
	v_add_u32_e32 v9, v12, v9
	v_mul_lo_u32 v13, s0, v3
	v_add_u32_e32 v9, v9, v11
	v_mul_lo_u32 v12, v3, v9
	v_mul_hi_u32 v14, v3, v13
	v_mul_hi_u32 v11, v3, v9
	v_add_co_u32_e32 v12, vcc, v14, v12
	v_addc_co_u32_e32 v11, vcc, 0, v11, vcc
	v_mul_hi_u32 v15, v8, v13
	v_mul_lo_u32 v13, v8, v13
	v_add_co_u32_e32 v12, vcc, v12, v13
	v_mul_hi_u32 v14, v8, v9
	v_addc_co_u32_e32 v11, vcc, v11, v15, vcc
	v_addc_co_u32_e32 v12, vcc, 0, v14, vcc
	v_mul_lo_u32 v9, v8, v9
	v_add_co_u32_e32 v9, vcc, v11, v9
	v_addc_co_u32_e32 v11, vcc, 0, v12, vcc
	v_add_co_u32_e32 v3, vcc, v3, v9
	v_addc_co_u32_e32 v8, vcc, v8, v11, vcc
	v_mul_lo_u32 v9, s0, v8
	v_mul_hi_u32 v11, s0, v3
	v_add_u32_e32 v9, v11, v9
	v_mul_lo_u32 v11, s1, v3
	v_add_u32_e32 v9, v9, v11
	v_mul_lo_u32 v12, s0, v3
	v_mul_hi_u32 v13, v8, v12
	v_mul_lo_u32 v14, v8, v12
	v_mul_lo_u32 v16, v3, v9
	v_mul_hi_u32 v12, v3, v12
	v_mul_hi_u32 v15, v3, v9
	v_add_co_u32_e32 v12, vcc, v12, v16
	v_addc_co_u32_e32 v15, vcc, 0, v15, vcc
	v_add_co_u32_e32 v12, vcc, v12, v14
	v_mul_hi_u32 v11, v8, v9
	v_addc_co_u32_e32 v12, vcc, v15, v13, vcc
	v_addc_co_u32_e32 v11, vcc, 0, v11, vcc
	v_mul_lo_u32 v9, v8, v9
	v_add_co_u32_e32 v9, vcc, v12, v9
	v_addc_co_u32_e32 v11, vcc, 0, v11, vcc
	v_add_co_u32_e32 v3, vcc, v3, v9
	v_addc_co_u32_e32 v11, vcc, v8, v11, vcc
	v_ashrrev_i32_e32 v14, 31, v1
	v_add_co_u32_e32 v8, vcc, v0, v14
	v_addc_co_u32_e32 v9, vcc, v1, v14, vcc
	v_xor_b32_e32 v16, v8, v14
	v_xor_b32_e32 v15, v9, v14
	v_mad_u64_u32 v[8:9], s[0:1], v16, v11, 0
	v_mul_hi_u32 v12, v16, v3
	v_add_co_u32_e32 v17, vcc, v12, v8
	v_addc_co_u32_e32 v18, vcc, 0, v9, vcc
	v_mad_u64_u32 v[12:13], s[0:1], v15, v3, 0
	v_add_co_u32_e32 v3, vcc, v17, v12
	v_mad_u64_u32 v[8:9], s[0:1], v15, v11, 0
	v_addc_co_u32_e32 v3, vcc, v18, v13, vcc
	v_addc_co_u32_e32 v9, vcc, 0, v9, vcc
	v_add_co_u32_e32 v3, vcc, v3, v8
	v_addc_co_u32_e32 v11, vcc, 0, v9, vcc
	v_mul_lo_u32 v12, s35, v3
	v_mul_lo_u32 v13, s34, v11
	v_mad_u64_u32 v[8:9], s[0:1], s34, v3, 0
	v_add3_u32 v9, v9, v13, v12
	v_sub_u32_e32 v12, v15, v9
	v_mov_b32_e32 v13, s35
	v_sub_co_u32_e32 v8, vcc, v16, v8
	v_subb_co_u32_e64 v12, s[0:1], v12, v13, vcc
	v_subrev_co_u32_e64 v13, s[0:1], s34, v8
	v_subbrev_co_u32_e64 v12, s[0:1], 0, v12, s[0:1]
	v_cmp_le_u32_e64 s[0:1], s35, v12
	v_cndmask_b32_e64 v16, 0, -1, s[0:1]
	v_cmp_le_u32_e64 s[0:1], s34, v13
	v_cndmask_b32_e64 v13, 0, -1, s[0:1]
	v_cmp_eq_u32_e64 s[0:1], s35, v12
	v_cndmask_b32_e64 v12, v16, v13, s[0:1]
	v_add_co_u32_e64 v13, s[0:1], 2, v3
	v_subb_co_u32_e32 v9, vcc, v15, v9, vcc
	v_addc_co_u32_e64 v16, s[0:1], 0, v11, s[0:1]
	v_cmp_le_u32_e32 vcc, s35, v9
	v_add_co_u32_e64 v17, s[0:1], 1, v3
	v_cndmask_b32_e64 v15, 0, -1, vcc
	v_cmp_le_u32_e32 vcc, s34, v8
	v_addc_co_u32_e64 v18, s[0:1], 0, v11, s[0:1]
	v_cndmask_b32_e64 v8, 0, -1, vcc
	v_cmp_eq_u32_e32 vcc, s35, v9
	v_cmp_ne_u32_e64 s[0:1], 0, v12
	v_cndmask_b32_e32 v8, v15, v8, vcc
	v_cmp_ne_u32_e32 vcc, 0, v8
	v_cndmask_b32_e64 v9, v17, v13, s[0:1]
	v_cndmask_b32_e64 v12, v18, v16, s[0:1]
	v_cndmask_b32_e32 v3, v3, v9, vcc
	v_xor_b32_e32 v9, s28, v14
	v_cndmask_b32_e32 v8, v11, v12, vcc
	v_xor_b32_e32 v3, v3, v9
	v_xor_b32_e32 v11, v8, v9
	v_sub_co_u32_e32 v8, vcc, v3, v9
	v_subb_co_u32_e32 v9, vcc, v11, v9, vcc
.LBB62_5:                               ;   in Loop: Header=BB62_3 Depth=1
	s_andn2_saveexec_b64 s[0:1], s[30:31]
	s_cbranch_execz .LBB62_2
; %bb.6:                                ;   in Loop: Header=BB62_3 Depth=1
	v_cvt_f32_u32_e32 v3, s8
	s_sub_i32 s29, 0, s8
	v_rcp_iflag_f32_e32 v3, v3
	v_mul_f32_e32 v3, 0x4f7ffffe, v3
	v_cvt_u32_f32_e32 v3, v3
	v_mul_lo_u32 v8, s29, v3
	v_mul_hi_u32 v8, v3, v8
	v_add_u32_e32 v3, v3, v8
	v_mul_hi_u32 v3, v0, v3
	v_mul_lo_u32 v8, v3, s8
	v_sub_u32_e32 v8, v0, v8
	v_add_u32_e32 v9, 1, v3
	v_subrev_u32_e32 v11, s8, v8
	v_cmp_le_u32_e32 vcc, s8, v8
	v_cndmask_b32_e32 v8, v8, v11, vcc
	v_cndmask_b32_e32 v3, v3, v9, vcc
	v_add_u32_e32 v9, 1, v3
	v_cmp_le_u32_e32 vcc, s8, v8
	v_cndmask_b32_e32 v8, v3, v9, vcc
	v_mov_b32_e32 v9, v2
	s_branch .LBB62_2
.LBB62_7:
	s_endpgm
	.section	.rodata,"a",@progbits
	.p2align	6, 0x0
	.amdhsa_kernel _ZN2at6native12_GLOBAL__N_16kernel17gru_cell_backwardIN3c108BFloat16EflLi1EEEvNS_4cuda6detail10TensorInfoIT_T1_EESB_SB_SB_SB_SA_SA_
		.amdhsa_group_segment_fixed_size 0
		.amdhsa_private_segment_fixed_size 0
		.amdhsa_kernarg_size 2352
		.amdhsa_user_sgpr_count 6
		.amdhsa_user_sgpr_private_segment_buffer 1
		.amdhsa_user_sgpr_dispatch_ptr 0
		.amdhsa_user_sgpr_queue_ptr 0
		.amdhsa_user_sgpr_kernarg_segment_ptr 1
		.amdhsa_user_sgpr_dispatch_id 0
		.amdhsa_user_sgpr_flat_scratch_init 0
		.amdhsa_user_sgpr_kernarg_preload_length 0
		.amdhsa_user_sgpr_kernarg_preload_offset 0
		.amdhsa_user_sgpr_private_segment_size 0
		.amdhsa_uses_dynamic_stack 0
		.amdhsa_system_sgpr_private_segment_wavefront_offset 0
		.amdhsa_system_sgpr_workgroup_id_x 1
		.amdhsa_system_sgpr_workgroup_id_y 0
		.amdhsa_system_sgpr_workgroup_id_z 0
		.amdhsa_system_sgpr_workgroup_info 0
		.amdhsa_system_vgpr_workitem_id 0
		.amdhsa_next_free_vgpr 25
		.amdhsa_next_free_sgpr 38
		.amdhsa_accum_offset 28
		.amdhsa_reserve_vcc 1
		.amdhsa_reserve_flat_scratch 0
		.amdhsa_float_round_mode_32 0
		.amdhsa_float_round_mode_16_64 0
		.amdhsa_float_denorm_mode_32 3
		.amdhsa_float_denorm_mode_16_64 3
		.amdhsa_dx10_clamp 1
		.amdhsa_ieee_mode 1
		.amdhsa_fp16_overflow 0
		.amdhsa_tg_split 0
		.amdhsa_exception_fp_ieee_invalid_op 0
		.amdhsa_exception_fp_denorm_src 0
		.amdhsa_exception_fp_ieee_div_zero 0
		.amdhsa_exception_fp_ieee_overflow 0
		.amdhsa_exception_fp_ieee_underflow 0
		.amdhsa_exception_fp_ieee_inexact 0
		.amdhsa_exception_int_div_zero 0
	.end_amdhsa_kernel
	.section	.text._ZN2at6native12_GLOBAL__N_16kernel17gru_cell_backwardIN3c108BFloat16EflLi1EEEvNS_4cuda6detail10TensorInfoIT_T1_EESB_SB_SB_SB_SA_SA_,"axG",@progbits,_ZN2at6native12_GLOBAL__N_16kernel17gru_cell_backwardIN3c108BFloat16EflLi1EEEvNS_4cuda6detail10TensorInfoIT_T1_EESB_SB_SB_SB_SA_SA_,comdat
.Lfunc_end62:
	.size	_ZN2at6native12_GLOBAL__N_16kernel17gru_cell_backwardIN3c108BFloat16EflLi1EEEvNS_4cuda6detail10TensorInfoIT_T1_EESB_SB_SB_SB_SA_SA_, .Lfunc_end62-_ZN2at6native12_GLOBAL__N_16kernel17gru_cell_backwardIN3c108BFloat16EflLi1EEEvNS_4cuda6detail10TensorInfoIT_T1_EESB_SB_SB_SB_SA_SA_
                                        ; -- End function
	.section	.AMDGPU.csdata,"",@progbits
; Kernel info:
; codeLenInByte = 2384
; NumSgprs: 42
; NumVgprs: 25
; NumAgprs: 0
; TotalNumVgprs: 25
; ScratchSize: 0
; MemoryBound: 0
; FloatMode: 240
; IeeeMode: 1
; LDSByteSize: 0 bytes/workgroup (compile time only)
; SGPRBlocks: 5
; VGPRBlocks: 3
; NumSGPRsForWavesPerEU: 42
; NumVGPRsForWavesPerEU: 25
; AccumOffset: 28
; Occupancy: 8
; WaveLimiterHint : 1
; COMPUTE_PGM_RSRC2:SCRATCH_EN: 0
; COMPUTE_PGM_RSRC2:USER_SGPR: 6
; COMPUTE_PGM_RSRC2:TRAP_HANDLER: 0
; COMPUTE_PGM_RSRC2:TGID_X_EN: 1
; COMPUTE_PGM_RSRC2:TGID_Y_EN: 0
; COMPUTE_PGM_RSRC2:TGID_Z_EN: 0
; COMPUTE_PGM_RSRC2:TIDIG_COMP_CNT: 0
; COMPUTE_PGM_RSRC3_GFX90A:ACCUM_OFFSET: 6
; COMPUTE_PGM_RSRC3_GFX90A:TG_SPLIT: 0
	.section	.text._ZN2at6native12_GLOBAL__N_16kernel17gru_cell_backwardIN3c108BFloat16EflLi2EEEvNS_4cuda6detail10TensorInfoIT_T1_EESB_SB_SB_SB_SA_SA_,"axG",@progbits,_ZN2at6native12_GLOBAL__N_16kernel17gru_cell_backwardIN3c108BFloat16EflLi2EEEvNS_4cuda6detail10TensorInfoIT_T1_EESB_SB_SB_SB_SA_SA_,comdat
	.globl	_ZN2at6native12_GLOBAL__N_16kernel17gru_cell_backwardIN3c108BFloat16EflLi2EEEvNS_4cuda6detail10TensorInfoIT_T1_EESB_SB_SB_SB_SA_SA_ ; -- Begin function _ZN2at6native12_GLOBAL__N_16kernel17gru_cell_backwardIN3c108BFloat16EflLi2EEEvNS_4cuda6detail10TensorInfoIT_T1_EESB_SB_SB_SB_SA_SA_
	.p2align	8
	.type	_ZN2at6native12_GLOBAL__N_16kernel17gru_cell_backwardIN3c108BFloat16EflLi2EEEvNS_4cuda6detail10TensorInfoIT_T1_EESB_SB_SB_SB_SA_SA_,@function
_ZN2at6native12_GLOBAL__N_16kernel17gru_cell_backwardIN3c108BFloat16EflLi2EEEvNS_4cuda6detail10TensorInfoIT_T1_EESB_SB_SB_SB_SA_SA_: ; @_ZN2at6native12_GLOBAL__N_16kernel17gru_cell_backwardIN3c108BFloat16EflLi2EEEvNS_4cuda6detail10TensorInfoIT_T1_EESB_SB_SB_SB_SA_SA_
; %bb.0:
	s_load_dword s2, s[4:5], 0x83c
	s_load_dwordx4 s[8:11], s[4:5], 0x820
	s_add_u32 s0, s4, 0x830
	s_addc_u32 s1, s5, 0
	v_mov_b32_e32 v2, 0
	s_waitcnt lgkmcnt(0)
	s_and_b32 s33, s2, 0xffff
	s_mul_i32 s6, s6, s33
	v_add_u32_e32 v0, s6, v0
	v_mov_b32_e32 v1, v2
	v_cmp_gt_i64_e32 vcc, s[10:11], v[0:1]
	s_and_saveexec_b64 s[2:3], vcc
	s_cbranch_execz .LBB63_59
; %bb.1:
	v_cvt_f32_u32_e32 v3, s8
	s_load_dwordx2 s[2:3], s[4:5], 0x0
	s_load_dwordx2 s[28:29], s[4:5], 0x10
	s_load_dwordx4 s[12:15], s[4:5], 0xd0
	s_load_dwordx2 s[30:31], s[4:5], 0x1a0
	s_load_dwordx2 s[34:35], s[4:5], 0x1b0
	s_load_dwordx4 s[16:19], s[4:5], 0x270
	;; [unrolled: 3-line block ×3, first 2 shown]
	s_load_dwordx2 s[40:41], s[4:5], 0x4e0
	s_load_dword s48, s[0:1], 0x0
	s_load_dwordx2 s[42:43], s[4:5], 0x4f0
	s_load_dwordx4 s[24:27], s[4:5], 0x5b0
	s_load_dwordx2 s[44:45], s[4:5], 0x680
	s_load_dwordx2 s[46:47], s[4:5], 0x690
                                        ; kill: killed $sgpr0 killed $sgpr1
	s_nop 0
	s_load_dwordx4 s[4:7], s[4:5], 0x750
	s_waitcnt lgkmcnt(0)
	s_mul_i32 s33, s48, s33
	s_lshl_b64 s[48:49], s[8:9], 2
	v_rcp_iflag_f32_e32 v3, v3
	s_lshl_b64 s[50:51], s[8:9], 1
	s_sub_u32 s61, 0, s38
	s_subb_u32 s62, 0, s39
	v_mul_f32_e32 v3, 0x4f7ffffe, v3
	v_cvt_u32_f32_e32 v24, v3
	s_sub_u32 s63, 0, s42
	s_mov_b32 s60, 0
	s_mov_b64 s[52:53], 0
	s_subb_u32 s64, 0, s43
	s_movk_i32 s65, 0x7fff
	v_mov_b32_e32 v25, 0x7fc0
	s_branch .LBB63_3
.LBB63_2:                               ;   in Loop: Header=BB63_3 Depth=1
	s_or_b64 exec, exec, s[0:1]
	v_mov_b32_e32 v8, v7
	v_mul_f32_e32 v3, v8, v6
	v_bfe_u32 v6, v3, 16, 1
	v_add3_u32 v6, v3, v6, s65
	v_lshrrev_b32_e32 v6, 16, v6
	v_cmp_o_f32_e32 vcc, v3, v3
	v_cndmask_b32_e32 v3, v25, v6, vcc
	v_mad_u64_u32 v[6:7], s[0:1], s63, v4, v[0:1]
	v_mul_lo_u32 v8, s63, v5
	v_mul_lo_u32 v9, s64, v4
	v_add3_u32 v7, v9, v7, v8
	v_mul_lo_u32 v8, v6, s27
	v_mul_lo_u32 v9, v7, s26
	v_mad_u64_u32 v[6:7], s[0:1], v6, s26, 0
	v_add3_u32 v7, v7, v8, v9
	v_mul_lo_u32 v8, v5, s24
	v_mul_lo_u32 v9, v4, s25
	v_mad_u64_u32 v[4:5], s[0:1], v4, s24, 0
	v_add3_u32 v5, v5, v9, v8
	v_lshlrev_b64 v[4:5], 1, v[4:5]
	v_mov_b32_e32 v8, s41
	v_add_co_u32_e32 v9, vcc, s40, v4
	v_addc_co_u32_e32 v8, vcc, v8, v5, vcc
	v_lshlrev_b64 v[4:5], 1, v[6:7]
	v_add_co_u32_e32 v4, vcc, v9, v4
	v_addc_co_u32_e32 v5, vcc, v8, v5, vcc
	v_mov_b32_e32 v6, s60
	v_add_co_u32_e32 v0, vcc, s33, v0
	v_addc_co_u32_e32 v1, vcc, v1, v6, vcc
	v_cmp_le_i64_e32 vcc, s[10:11], v[0:1]
	s_or_b64 s[52:53], vcc, s[52:53]
	global_store_short v[4:5], v3, off
	s_andn2_b64 exec, exec, s[52:53]
	s_cbranch_execz .LBB63_59
.LBB63_3:                               ; =>This Inner Loop Header: Depth=1
	v_or_b32_e32 v3, s9, v1
	v_cmp_ne_u64_e32 vcc, 0, v[2:3]
	v_ashrrev_i32_e32 v26, 31, v1
                                        ; implicit-def: $vgpr4_vgpr5
	s_and_saveexec_b64 s[0:1], vcc
	s_xor_b64 s[54:55], exec, s[0:1]
	s_cbranch_execz .LBB63_5
; %bb.4:                                ;   in Loop: Header=BB63_3 Depth=1
	s_ashr_i32 s56, s9, 31
	s_add_u32 s0, s8, s56
	s_mov_b32 s57, s56
	s_addc_u32 s1, s9, s56
	s_xor_b64 s[58:59], s[0:1], s[56:57]
	v_cvt_f32_u32_e32 v3, s58
	v_cvt_f32_u32_e32 v4, s59
	s_sub_u32 s0, 0, s58
	s_subb_u32 s1, 0, s59
	v_mac_f32_e32 v3, 0x4f800000, v4
	v_rcp_f32_e32 v3, v3
	v_mul_f32_e32 v3, 0x5f7ffffc, v3
	v_mul_f32_e32 v4, 0x2f800000, v3
	v_trunc_f32_e32 v4, v4
	v_mac_f32_e32 v3, 0xcf800000, v4
	v_cvt_u32_f32_e32 v4, v4
	v_cvt_u32_f32_e32 v3, v3
	v_mul_lo_u32 v5, s0, v4
	v_mul_hi_u32 v7, s0, v3
	v_mul_lo_u32 v6, s1, v3
	v_add_u32_e32 v5, v7, v5
	v_mul_lo_u32 v8, s0, v3
	v_add_u32_e32 v5, v5, v6
	v_mul_lo_u32 v7, v3, v5
	v_mul_hi_u32 v9, v3, v8
	v_mul_hi_u32 v6, v3, v5
	v_add_co_u32_e32 v7, vcc, v9, v7
	v_addc_co_u32_e32 v6, vcc, 0, v6, vcc
	v_mul_hi_u32 v10, v4, v8
	v_mul_lo_u32 v8, v4, v8
	v_add_co_u32_e32 v7, vcc, v7, v8
	v_mul_hi_u32 v9, v4, v5
	v_addc_co_u32_e32 v6, vcc, v6, v10, vcc
	v_addc_co_u32_e32 v7, vcc, 0, v9, vcc
	v_mul_lo_u32 v5, v4, v5
	v_add_co_u32_e32 v5, vcc, v6, v5
	v_addc_co_u32_e32 v6, vcc, 0, v7, vcc
	v_add_co_u32_e32 v3, vcc, v3, v5
	v_addc_co_u32_e32 v4, vcc, v4, v6, vcc
	v_mul_lo_u32 v5, s0, v4
	v_mul_hi_u32 v6, s0, v3
	v_add_u32_e32 v5, v6, v5
	v_mul_lo_u32 v6, s1, v3
	v_add_u32_e32 v5, v5, v6
	v_mul_lo_u32 v7, s0, v3
	v_mul_hi_u32 v8, v4, v7
	v_mul_lo_u32 v9, v4, v7
	v_mul_lo_u32 v11, v3, v5
	v_mul_hi_u32 v7, v3, v7
	v_mul_hi_u32 v10, v3, v5
	v_add_co_u32_e32 v7, vcc, v7, v11
	v_addc_co_u32_e32 v10, vcc, 0, v10, vcc
	v_add_co_u32_e32 v7, vcc, v7, v9
	v_mul_hi_u32 v6, v4, v5
	v_addc_co_u32_e32 v7, vcc, v10, v8, vcc
	v_addc_co_u32_e32 v6, vcc, 0, v6, vcc
	v_mul_lo_u32 v5, v4, v5
	v_add_co_u32_e32 v5, vcc, v7, v5
	v_addc_co_u32_e32 v6, vcc, 0, v6, vcc
	v_add_co_u32_e32 v3, vcc, v3, v5
	v_addc_co_u32_e32 v6, vcc, v4, v6, vcc
	;; [unrolled: 2-line block ×3, first 2 shown]
	v_xor_b32_e32 v9, v4, v26
	v_xor_b32_e32 v8, v5, v26
	v_mad_u64_u32 v[4:5], s[0:1], v9, v6, 0
	v_mul_hi_u32 v7, v9, v3
	v_add_co_u32_e32 v10, vcc, v7, v4
	v_addc_co_u32_e32 v11, vcc, 0, v5, vcc
	v_mad_u64_u32 v[4:5], s[0:1], v8, v6, 0
	v_mad_u64_u32 v[6:7], s[0:1], v8, v3, 0
	v_add_co_u32_e32 v3, vcc, v10, v6
	v_addc_co_u32_e32 v3, vcc, v11, v7, vcc
	v_addc_co_u32_e32 v5, vcc, 0, v5, vcc
	v_add_co_u32_e32 v3, vcc, v3, v4
	v_addc_co_u32_e32 v6, vcc, 0, v5, vcc
	v_mul_lo_u32 v7, s59, v3
	v_mul_lo_u32 v10, s58, v6
	v_mad_u64_u32 v[4:5], s[0:1], s58, v3, 0
	v_add3_u32 v5, v5, v10, v7
	v_sub_u32_e32 v7, v8, v5
	v_mov_b32_e32 v10, s59
	v_sub_co_u32_e32 v4, vcc, v9, v4
	v_subb_co_u32_e64 v7, s[0:1], v7, v10, vcc
	v_subrev_co_u32_e64 v9, s[0:1], s58, v4
	v_subbrev_co_u32_e64 v7, s[0:1], 0, v7, s[0:1]
	v_cmp_le_u32_e64 s[0:1], s59, v7
	v_cndmask_b32_e64 v10, 0, -1, s[0:1]
	v_cmp_le_u32_e64 s[0:1], s58, v9
	v_cndmask_b32_e64 v9, 0, -1, s[0:1]
	v_cmp_eq_u32_e64 s[0:1], s59, v7
	v_cndmask_b32_e64 v7, v10, v9, s[0:1]
	v_add_co_u32_e64 v9, s[0:1], 2, v3
	v_subb_co_u32_e32 v5, vcc, v8, v5, vcc
	v_addc_co_u32_e64 v10, s[0:1], 0, v6, s[0:1]
	v_cmp_le_u32_e32 vcc, s59, v5
	v_add_co_u32_e64 v11, s[0:1], 1, v3
	v_cndmask_b32_e64 v8, 0, -1, vcc
	v_cmp_le_u32_e32 vcc, s58, v4
	v_addc_co_u32_e64 v12, s[0:1], 0, v6, s[0:1]
	v_cndmask_b32_e64 v4, 0, -1, vcc
	v_cmp_eq_u32_e32 vcc, s59, v5
	v_cmp_ne_u32_e64 s[0:1], 0, v7
	v_cndmask_b32_e32 v4, v8, v4, vcc
	v_cmp_ne_u32_e32 vcc, 0, v4
	v_cndmask_b32_e64 v5, v11, v9, s[0:1]
	v_cndmask_b32_e64 v7, v12, v10, s[0:1]
	v_cndmask_b32_e32 v3, v3, v5, vcc
	v_xor_b32_e32 v5, s56, v26
	v_cndmask_b32_e32 v4, v6, v7, vcc
	v_xor_b32_e32 v3, v3, v5
	v_xor_b32_e32 v6, v4, v5
	v_sub_co_u32_e32 v4, vcc, v3, v5
	v_subb_co_u32_e32 v5, vcc, v6, v5, vcc
.LBB63_5:                               ;   in Loop: Header=BB63_3 Depth=1
	s_andn2_saveexec_b64 s[0:1], s[54:55]
	s_cbranch_execz .LBB63_7
; %bb.6:                                ;   in Loop: Header=BB63_3 Depth=1
	s_sub_i32 s54, 0, s8
	v_mul_lo_u32 v3, s54, v24
	v_mul_hi_u32 v3, v24, v3
	v_add_u32_e32 v3, v24, v3
	v_mul_hi_u32 v3, v0, v3
	v_mul_lo_u32 v4, v3, s8
	v_sub_u32_e32 v4, v0, v4
	v_subrev_u32_e32 v5, s8, v4
	v_cmp_le_u32_e32 vcc, s8, v4
	v_cndmask_b32_e32 v4, v4, v5, vcc
	v_add_u32_e32 v5, 1, v3
	v_cndmask_b32_e32 v3, v3, v5, vcc
	v_add_u32_e32 v5, 1, v3
	v_cmp_le_u32_e32 vcc, s8, v4
	v_cndmask_b32_e32 v4, v3, v5, vcc
	v_mov_b32_e32 v5, v2
.LBB63_7:                               ;   in Loop: Header=BB63_3 Depth=1
	s_or_b64 exec, exec, s[0:1]
	v_mul_lo_u32 v10, s49, v4
	v_mul_lo_u32 v11, s48, v5
	v_mad_u64_u32 v[6:7], s[0:1], s48, v4, v[0:1]
	v_add3_u32 v7, v10, v7, v11
	v_or_b32_e32 v3, s47, v7
	v_cmp_ne_u64_e32 vcc, 0, v[2:3]
                                        ; implicit-def: $vgpr8_vgpr9
	s_and_saveexec_b64 s[0:1], vcc
	s_xor_b64 s[54:55], exec, s[0:1]
	s_cbranch_execz .LBB63_9
; %bb.8:                                ;   in Loop: Header=BB63_3 Depth=1
	s_ashr_i32 s56, s47, 31
	s_add_u32 s0, s46, s56
	s_mov_b32 s57, s56
	s_addc_u32 s1, s47, s56
	s_xor_b64 s[58:59], s[0:1], s[56:57]
	v_cvt_f32_u32_e32 v3, s58
	v_cvt_f32_u32_e32 v8, s59
	s_sub_u32 s0, 0, s58
	s_subb_u32 s1, 0, s59
	v_mac_f32_e32 v3, 0x4f800000, v8
	v_rcp_f32_e32 v3, v3
	v_mul_f32_e32 v3, 0x5f7ffffc, v3
	v_mul_f32_e32 v8, 0x2f800000, v3
	v_trunc_f32_e32 v8, v8
	v_mac_f32_e32 v3, 0xcf800000, v8
	v_cvt_u32_f32_e32 v8, v8
	v_cvt_u32_f32_e32 v3, v3
	v_mul_lo_u32 v9, s0, v8
	v_mul_hi_u32 v13, s0, v3
	v_mul_lo_u32 v12, s1, v3
	v_add_u32_e32 v9, v13, v9
	v_mul_lo_u32 v14, s0, v3
	v_add_u32_e32 v9, v9, v12
	v_mul_lo_u32 v13, v3, v9
	v_mul_hi_u32 v15, v3, v14
	v_mul_hi_u32 v12, v3, v9
	v_add_co_u32_e32 v13, vcc, v15, v13
	v_addc_co_u32_e32 v12, vcc, 0, v12, vcc
	v_mul_hi_u32 v16, v8, v14
	v_mul_lo_u32 v14, v8, v14
	v_add_co_u32_e32 v13, vcc, v13, v14
	v_mul_hi_u32 v15, v8, v9
	v_addc_co_u32_e32 v12, vcc, v12, v16, vcc
	v_addc_co_u32_e32 v13, vcc, 0, v15, vcc
	v_mul_lo_u32 v9, v8, v9
	v_add_co_u32_e32 v9, vcc, v12, v9
	v_addc_co_u32_e32 v12, vcc, 0, v13, vcc
	v_add_co_u32_e32 v3, vcc, v3, v9
	v_addc_co_u32_e32 v8, vcc, v8, v12, vcc
	v_mul_lo_u32 v9, s0, v8
	v_mul_hi_u32 v12, s0, v3
	v_add_u32_e32 v9, v12, v9
	v_mul_lo_u32 v12, s1, v3
	v_add_u32_e32 v9, v9, v12
	v_mul_lo_u32 v13, s0, v3
	v_mul_hi_u32 v14, v8, v13
	v_mul_lo_u32 v15, v8, v13
	v_mul_lo_u32 v17, v3, v9
	v_mul_hi_u32 v13, v3, v13
	v_mul_hi_u32 v16, v3, v9
	v_add_co_u32_e32 v13, vcc, v13, v17
	v_addc_co_u32_e32 v16, vcc, 0, v16, vcc
	v_add_co_u32_e32 v13, vcc, v13, v15
	v_mul_hi_u32 v12, v8, v9
	v_addc_co_u32_e32 v13, vcc, v16, v14, vcc
	v_addc_co_u32_e32 v12, vcc, 0, v12, vcc
	v_mul_lo_u32 v9, v8, v9
	v_add_co_u32_e32 v9, vcc, v13, v9
	v_addc_co_u32_e32 v12, vcc, 0, v12, vcc
	v_add_co_u32_e32 v3, vcc, v3, v9
	v_addc_co_u32_e32 v8, vcc, v8, v12, vcc
	v_ashrrev_i32_e32 v12, 31, v7
	v_add_co_u32_e32 v6, vcc, v6, v12
	v_addc_co_u32_e32 v7, vcc, v7, v12, vcc
	v_xor_b32_e32 v14, v6, v12
	v_xor_b32_e32 v13, v7, v12
	v_mad_u64_u32 v[6:7], s[0:1], v14, v8, 0
	v_mul_hi_u32 v9, v14, v3
	v_add_co_u32_e32 v15, vcc, v9, v6
	v_addc_co_u32_e32 v16, vcc, 0, v7, vcc
	v_mad_u64_u32 v[6:7], s[0:1], v13, v8, 0
	v_mad_u64_u32 v[8:9], s[0:1], v13, v3, 0
	v_add_co_u32_e32 v3, vcc, v15, v8
	v_addc_co_u32_e32 v3, vcc, v16, v9, vcc
	v_addc_co_u32_e32 v7, vcc, 0, v7, vcc
	v_add_co_u32_e32 v3, vcc, v3, v6
	v_addc_co_u32_e32 v8, vcc, 0, v7, vcc
	v_mul_lo_u32 v9, s59, v3
	v_mul_lo_u32 v15, s58, v8
	v_mad_u64_u32 v[6:7], s[0:1], s58, v3, 0
	v_add3_u32 v7, v7, v15, v9
	v_sub_u32_e32 v9, v13, v7
	v_mov_b32_e32 v15, s59
	v_sub_co_u32_e32 v6, vcc, v14, v6
	v_subb_co_u32_e64 v9, s[0:1], v9, v15, vcc
	v_subrev_co_u32_e64 v14, s[0:1], s58, v6
	v_subbrev_co_u32_e64 v9, s[0:1], 0, v9, s[0:1]
	v_cmp_le_u32_e64 s[0:1], s59, v9
	v_cndmask_b32_e64 v15, 0, -1, s[0:1]
	v_cmp_le_u32_e64 s[0:1], s58, v14
	v_cndmask_b32_e64 v14, 0, -1, s[0:1]
	v_cmp_eq_u32_e64 s[0:1], s59, v9
	v_cndmask_b32_e64 v9, v15, v14, s[0:1]
	v_add_co_u32_e64 v14, s[0:1], 2, v3
	v_subb_co_u32_e32 v7, vcc, v13, v7, vcc
	v_addc_co_u32_e64 v15, s[0:1], 0, v8, s[0:1]
	v_cmp_le_u32_e32 vcc, s59, v7
	v_add_co_u32_e64 v16, s[0:1], 1, v3
	v_cndmask_b32_e64 v13, 0, -1, vcc
	v_cmp_le_u32_e32 vcc, s58, v6
	v_addc_co_u32_e64 v17, s[0:1], 0, v8, s[0:1]
	v_cndmask_b32_e64 v6, 0, -1, vcc
	v_cmp_eq_u32_e32 vcc, s59, v7
	v_cmp_ne_u32_e64 s[0:1], 0, v9
	v_cndmask_b32_e32 v6, v13, v6, vcc
	v_cmp_ne_u32_e32 vcc, 0, v6
	v_cndmask_b32_e64 v7, v16, v14, s[0:1]
	v_cndmask_b32_e64 v9, v17, v15, s[0:1]
	v_cndmask_b32_e32 v3, v3, v7, vcc
	v_xor_b32_e32 v7, s56, v12
	v_cndmask_b32_e32 v6, v8, v9, vcc
	v_xor_b32_e32 v3, v3, v7
	v_xor_b32_e32 v6, v6, v7
	v_sub_co_u32_e32 v8, vcc, v3, v7
	v_subb_co_u32_e32 v9, vcc, v6, v7, vcc
                                        ; implicit-def: $vgpr6_vgpr7
.LBB63_9:                               ;   in Loop: Header=BB63_3 Depth=1
	s_or_saveexec_b64 s[0:1], s[54:55]
	v_cvt_f32_u32_e32 v13, s46
	s_xor_b64 exec, exec, s[0:1]
	s_cbranch_execz .LBB63_11
; %bb.10:                               ;   in Loop: Header=BB63_3 Depth=1
	v_rcp_iflag_f32_e32 v3, v13
	s_sub_i32 s54, 0, s46
	v_mov_b32_e32 v9, v2
	v_mul_f32_e32 v3, 0x4f7ffffe, v3
	v_cvt_u32_f32_e32 v3, v3
	v_mul_lo_u32 v7, s54, v3
	v_mul_hi_u32 v7, v3, v7
	v_add_u32_e32 v3, v3, v7
	v_mul_hi_u32 v3, v6, v3
	v_mul_lo_u32 v7, v3, s46
	v_sub_u32_e32 v6, v6, v7
	v_add_u32_e32 v8, 1, v3
	v_subrev_u32_e32 v7, s46, v6
	v_cmp_le_u32_e32 vcc, s46, v6
	v_cndmask_b32_e32 v6, v6, v7, vcc
	v_cndmask_b32_e32 v3, v3, v8, vcc
	v_add_u32_e32 v7, 1, v3
	v_cmp_le_u32_e32 vcc, s46, v6
	v_cndmask_b32_e32 v8, v3, v7, vcc
.LBB63_11:                              ;   in Loop: Header=BB63_3 Depth=1
	s_or_b64 exec, exec, s[0:1]
	v_mad_u64_u32 v[6:7], s[0:1], s48, v4, 0
	v_add3_u32 v3, v7, v11, v10
	v_mul_lo_u32 v7, v9, s46
	v_mul_lo_u32 v12, v8, s47
	v_mad_u64_u32 v[10:11], s[0:1], v8, s46, 0
	v_add3_u32 v7, v11, v12, v7
	v_sub_co_u32_e32 v6, vcc, v6, v10
	v_subb_co_u32_e32 v3, vcc, v3, v7, vcc
	v_add_co_u32_e32 v6, vcc, v0, v6
	v_addc_co_u32_e32 v3, vcc, v1, v3, vcc
	v_mul_lo_u32 v3, v3, s6
	v_mul_lo_u32 v10, v6, s7
	v_mad_u64_u32 v[6:7], s[0:1], v6, s6, 0
	v_add3_u32 v7, v7, v10, v3
	v_mul_lo_u32 v3, v9, s4
	v_mul_lo_u32 v10, v8, s5
	v_mad_u64_u32 v[8:9], s[0:1], v8, s4, 0
	v_add3_u32 v9, v9, v10, v3
	v_lshlrev_b64 v[8:9], 1, v[8:9]
	v_mov_b32_e32 v3, s45
	v_add_co_u32_e32 v8, vcc, s44, v8
	v_addc_co_u32_e32 v3, vcc, v3, v9, vcc
	v_lshlrev_b64 v[6:7], 1, v[6:7]
	v_add_co_u32_e32 v6, vcc, v8, v6
	v_addc_co_u32_e32 v7, vcc, v3, v7, vcc
	global_load_ushort v20, v[6:7], off
	v_lshlrev_b64 v[6:7], 2, v[4:5]
	v_or_b32_e32 v12, 1, v6
	v_mul_lo_u32 v14, s9, v12
	v_mul_lo_u32 v15, s8, v7
	v_mad_u64_u32 v[8:9], s[0:1], s8, v12, v[0:1]
	v_add3_u32 v9, v14, v9, v15
	v_or_b32_e32 v3, s47, v9
	v_cmp_ne_u64_e32 vcc, 0, v[2:3]
                                        ; implicit-def: $vgpr10_vgpr11
	s_and_saveexec_b64 s[0:1], vcc
	s_xor_b64 s[54:55], exec, s[0:1]
	s_cbranch_execz .LBB63_13
; %bb.12:                               ;   in Loop: Header=BB63_3 Depth=1
	s_ashr_i32 s56, s47, 31
	s_add_u32 s0, s46, s56
	s_mov_b32 s57, s56
	s_addc_u32 s1, s47, s56
	s_xor_b64 s[58:59], s[0:1], s[56:57]
	v_cvt_f32_u32_e32 v3, s58
	v_cvt_f32_u32_e32 v10, s59
	s_sub_u32 s0, 0, s58
	s_subb_u32 s1, 0, s59
	v_mac_f32_e32 v3, 0x4f800000, v10
	v_rcp_f32_e32 v3, v3
	v_mul_f32_e32 v3, 0x5f7ffffc, v3
	v_mul_f32_e32 v10, 0x2f800000, v3
	v_trunc_f32_e32 v10, v10
	v_mac_f32_e32 v3, 0xcf800000, v10
	v_cvt_u32_f32_e32 v10, v10
	v_cvt_u32_f32_e32 v3, v3
	v_mul_lo_u32 v11, s0, v10
	v_mul_hi_u32 v17, s0, v3
	v_mul_lo_u32 v16, s1, v3
	v_add_u32_e32 v11, v17, v11
	v_mul_lo_u32 v18, s0, v3
	v_add_u32_e32 v11, v11, v16
	v_mul_lo_u32 v17, v3, v11
	v_mul_hi_u32 v19, v3, v18
	v_mul_hi_u32 v16, v3, v11
	v_add_co_u32_e32 v17, vcc, v19, v17
	v_addc_co_u32_e32 v16, vcc, 0, v16, vcc
	v_mul_hi_u32 v21, v10, v18
	v_mul_lo_u32 v18, v10, v18
	v_add_co_u32_e32 v17, vcc, v17, v18
	v_mul_hi_u32 v19, v10, v11
	v_addc_co_u32_e32 v16, vcc, v16, v21, vcc
	v_addc_co_u32_e32 v17, vcc, 0, v19, vcc
	v_mul_lo_u32 v11, v10, v11
	v_add_co_u32_e32 v11, vcc, v16, v11
	v_addc_co_u32_e32 v16, vcc, 0, v17, vcc
	v_add_co_u32_e32 v3, vcc, v3, v11
	v_addc_co_u32_e32 v10, vcc, v10, v16, vcc
	v_mul_lo_u32 v11, s0, v10
	v_mul_hi_u32 v16, s0, v3
	v_add_u32_e32 v11, v16, v11
	v_mul_lo_u32 v16, s1, v3
	v_add_u32_e32 v11, v11, v16
	v_mul_lo_u32 v17, s0, v3
	v_mul_hi_u32 v18, v10, v17
	v_mul_lo_u32 v19, v10, v17
	v_mul_lo_u32 v22, v3, v11
	v_mul_hi_u32 v17, v3, v17
	v_mul_hi_u32 v21, v3, v11
	v_add_co_u32_e32 v17, vcc, v17, v22
	v_addc_co_u32_e32 v21, vcc, 0, v21, vcc
	v_add_co_u32_e32 v17, vcc, v17, v19
	v_mul_hi_u32 v16, v10, v11
	v_addc_co_u32_e32 v17, vcc, v21, v18, vcc
	v_addc_co_u32_e32 v16, vcc, 0, v16, vcc
	v_mul_lo_u32 v11, v10, v11
	v_add_co_u32_e32 v11, vcc, v17, v11
	v_addc_co_u32_e32 v16, vcc, 0, v16, vcc
	v_add_co_u32_e32 v3, vcc, v3, v11
	v_addc_co_u32_e32 v10, vcc, v10, v16, vcc
	v_ashrrev_i32_e32 v16, 31, v9
	v_add_co_u32_e32 v8, vcc, v8, v16
	v_addc_co_u32_e32 v9, vcc, v9, v16, vcc
	v_xor_b32_e32 v18, v8, v16
	v_xor_b32_e32 v17, v9, v16
	v_mad_u64_u32 v[8:9], s[0:1], v18, v10, 0
	v_mul_hi_u32 v11, v18, v3
	v_add_co_u32_e32 v19, vcc, v11, v8
	v_addc_co_u32_e32 v21, vcc, 0, v9, vcc
	v_mad_u64_u32 v[8:9], s[0:1], v17, v10, 0
	v_mad_u64_u32 v[10:11], s[0:1], v17, v3, 0
	v_add_co_u32_e32 v3, vcc, v19, v10
	v_addc_co_u32_e32 v3, vcc, v21, v11, vcc
	v_addc_co_u32_e32 v9, vcc, 0, v9, vcc
	v_add_co_u32_e32 v3, vcc, v3, v8
	v_addc_co_u32_e32 v10, vcc, 0, v9, vcc
	v_mul_lo_u32 v11, s59, v3
	v_mul_lo_u32 v19, s58, v10
	v_mad_u64_u32 v[8:9], s[0:1], s58, v3, 0
	v_add3_u32 v9, v9, v19, v11
	v_sub_u32_e32 v11, v17, v9
	v_mov_b32_e32 v19, s59
	v_sub_co_u32_e32 v8, vcc, v18, v8
	v_subb_co_u32_e64 v11, s[0:1], v11, v19, vcc
	v_subrev_co_u32_e64 v18, s[0:1], s58, v8
	v_subbrev_co_u32_e64 v11, s[0:1], 0, v11, s[0:1]
	v_cmp_le_u32_e64 s[0:1], s59, v11
	v_cndmask_b32_e64 v19, 0, -1, s[0:1]
	v_cmp_le_u32_e64 s[0:1], s58, v18
	v_cndmask_b32_e64 v18, 0, -1, s[0:1]
	v_cmp_eq_u32_e64 s[0:1], s59, v11
	v_cndmask_b32_e64 v11, v19, v18, s[0:1]
	v_add_co_u32_e64 v18, s[0:1], 2, v3
	v_subb_co_u32_e32 v9, vcc, v17, v9, vcc
	v_addc_co_u32_e64 v19, s[0:1], 0, v10, s[0:1]
	v_cmp_le_u32_e32 vcc, s59, v9
	v_add_co_u32_e64 v21, s[0:1], 1, v3
	v_cndmask_b32_e64 v17, 0, -1, vcc
	v_cmp_le_u32_e32 vcc, s58, v8
	v_addc_co_u32_e64 v22, s[0:1], 0, v10, s[0:1]
	v_cndmask_b32_e64 v8, 0, -1, vcc
	v_cmp_eq_u32_e32 vcc, s59, v9
	v_cmp_ne_u32_e64 s[0:1], 0, v11
	v_cndmask_b32_e32 v8, v17, v8, vcc
	v_cmp_ne_u32_e32 vcc, 0, v8
	v_cndmask_b32_e64 v9, v21, v18, s[0:1]
	v_cndmask_b32_e64 v11, v22, v19, s[0:1]
	v_cndmask_b32_e32 v3, v3, v9, vcc
	v_xor_b32_e32 v9, s56, v16
	v_cndmask_b32_e32 v8, v10, v11, vcc
	v_xor_b32_e32 v3, v3, v9
	v_xor_b32_e32 v8, v8, v9
	v_sub_co_u32_e32 v10, vcc, v3, v9
	v_subb_co_u32_e32 v11, vcc, v8, v9, vcc
                                        ; implicit-def: $vgpr8_vgpr9
.LBB63_13:                              ;   in Loop: Header=BB63_3 Depth=1
	s_andn2_saveexec_b64 s[0:1], s[54:55]
	s_cbranch_execz .LBB63_15
; %bb.14:                               ;   in Loop: Header=BB63_3 Depth=1
	v_rcp_iflag_f32_e32 v3, v13
	s_sub_i32 s54, 0, s46
	v_mov_b32_e32 v11, v2
	v_mul_f32_e32 v3, 0x4f7ffffe, v3
	v_cvt_u32_f32_e32 v3, v3
	v_mul_lo_u32 v9, s54, v3
	v_mul_hi_u32 v9, v3, v9
	v_add_u32_e32 v3, v3, v9
	v_mul_hi_u32 v3, v8, v3
	v_mul_lo_u32 v9, v3, s46
	v_sub_u32_e32 v8, v8, v9
	v_add_u32_e32 v10, 1, v3
	v_subrev_u32_e32 v9, s46, v8
	v_cmp_le_u32_e32 vcc, s46, v8
	v_cndmask_b32_e32 v8, v8, v9, vcc
	v_cndmask_b32_e32 v3, v3, v10, vcc
	v_add_u32_e32 v9, 1, v3
	v_cmp_le_u32_e32 vcc, s46, v8
	v_cndmask_b32_e32 v10, v3, v9, vcc
.LBB63_15:                              ;   in Loop: Header=BB63_3 Depth=1
	s_or_b64 exec, exec, s[0:1]
	v_mad_u64_u32 v[8:9], s[0:1], s8, v12, 0
	v_add3_u32 v3, v9, v15, v14
	v_mul_lo_u32 v9, v11, s46
	v_mul_lo_u32 v12, v10, s47
	v_mad_u64_u32 v[14:15], s[0:1], v10, s46, 0
	v_add3_u32 v9, v15, v12, v9
	v_sub_co_u32_e32 v8, vcc, v8, v14
	v_subb_co_u32_e32 v3, vcc, v3, v9, vcc
	v_add_co_u32_e32 v8, vcc, v0, v8
	v_addc_co_u32_e32 v3, vcc, v1, v3, vcc
	v_mul_lo_u32 v3, v3, s6
	v_mul_lo_u32 v12, v8, s7
	v_mad_u64_u32 v[8:9], s[0:1], v8, s6, 0
	v_add3_u32 v9, v9, v12, v3
	v_mul_lo_u32 v3, v11, s4
	v_mul_lo_u32 v12, v10, s5
	v_mad_u64_u32 v[10:11], s[0:1], v10, s4, 0
	v_add3_u32 v11, v11, v12, v3
	v_lshlrev_b64 v[10:11], 1, v[10:11]
	v_mov_b32_e32 v3, s45
	v_add_co_u32_e32 v10, vcc, s44, v10
	v_addc_co_u32_e32 v3, vcc, v3, v11, vcc
	v_lshlrev_b64 v[8:9], 1, v[8:9]
	v_add_co_u32_e32 v8, vcc, v10, v8
	v_addc_co_u32_e32 v9, vcc, v3, v9, vcc
	global_load_ushort v18, v[8:9], off
	v_add_co_u32_e32 v12, vcc, 2, v6
	v_addc_co_u32_e32 v3, vcc, 0, v7, vcc
	v_mul_lo_u32 v14, s9, v12
	v_mul_lo_u32 v15, s8, v3
	v_mad_u64_u32 v[8:9], s[0:1], s8, v12, v[0:1]
	v_add3_u32 v9, v14, v9, v15
	v_or_b32_e32 v3, s47, v9
	v_cmp_ne_u64_e32 vcc, 0, v[2:3]
                                        ; implicit-def: $vgpr10_vgpr11
	s_and_saveexec_b64 s[0:1], vcc
	s_xor_b64 s[54:55], exec, s[0:1]
	s_cbranch_execz .LBB63_17
; %bb.16:                               ;   in Loop: Header=BB63_3 Depth=1
	s_ashr_i32 s56, s47, 31
	s_add_u32 s0, s46, s56
	s_mov_b32 s57, s56
	s_addc_u32 s1, s47, s56
	s_xor_b64 s[58:59], s[0:1], s[56:57]
	v_cvt_f32_u32_e32 v3, s58
	v_cvt_f32_u32_e32 v10, s59
	s_sub_u32 s0, 0, s58
	s_subb_u32 s1, 0, s59
	v_mac_f32_e32 v3, 0x4f800000, v10
	v_rcp_f32_e32 v3, v3
	v_mul_f32_e32 v3, 0x5f7ffffc, v3
	v_mul_f32_e32 v10, 0x2f800000, v3
	v_trunc_f32_e32 v10, v10
	v_mac_f32_e32 v3, 0xcf800000, v10
	v_cvt_u32_f32_e32 v10, v10
	v_cvt_u32_f32_e32 v3, v3
	v_mul_lo_u32 v11, s0, v10
	v_mul_hi_u32 v17, s0, v3
	v_mul_lo_u32 v16, s1, v3
	v_add_u32_e32 v11, v17, v11
	v_mul_lo_u32 v19, s0, v3
	v_add_u32_e32 v11, v11, v16
	v_mul_lo_u32 v17, v3, v11
	v_mul_hi_u32 v21, v3, v19
	v_mul_hi_u32 v16, v3, v11
	v_add_co_u32_e32 v17, vcc, v21, v17
	v_addc_co_u32_e32 v16, vcc, 0, v16, vcc
	v_mul_hi_u32 v22, v10, v19
	v_mul_lo_u32 v19, v10, v19
	v_add_co_u32_e32 v17, vcc, v17, v19
	v_mul_hi_u32 v21, v10, v11
	v_addc_co_u32_e32 v16, vcc, v16, v22, vcc
	v_addc_co_u32_e32 v17, vcc, 0, v21, vcc
	v_mul_lo_u32 v11, v10, v11
	v_add_co_u32_e32 v11, vcc, v16, v11
	v_addc_co_u32_e32 v16, vcc, 0, v17, vcc
	v_add_co_u32_e32 v3, vcc, v3, v11
	v_addc_co_u32_e32 v10, vcc, v10, v16, vcc
	v_mul_lo_u32 v11, s0, v10
	v_mul_hi_u32 v16, s0, v3
	v_add_u32_e32 v11, v16, v11
	v_mul_lo_u32 v16, s1, v3
	v_add_u32_e32 v11, v11, v16
	v_mul_lo_u32 v17, s0, v3
	v_mul_hi_u32 v19, v10, v17
	v_mul_lo_u32 v21, v10, v17
	v_mul_lo_u32 v23, v3, v11
	v_mul_hi_u32 v17, v3, v17
	v_mul_hi_u32 v22, v3, v11
	v_add_co_u32_e32 v17, vcc, v17, v23
	v_addc_co_u32_e32 v22, vcc, 0, v22, vcc
	v_add_co_u32_e32 v17, vcc, v17, v21
	v_mul_hi_u32 v16, v10, v11
	v_addc_co_u32_e32 v17, vcc, v22, v19, vcc
	v_addc_co_u32_e32 v16, vcc, 0, v16, vcc
	v_mul_lo_u32 v11, v10, v11
	v_add_co_u32_e32 v11, vcc, v17, v11
	v_addc_co_u32_e32 v16, vcc, 0, v16, vcc
	v_add_co_u32_e32 v3, vcc, v3, v11
	v_addc_co_u32_e32 v10, vcc, v10, v16, vcc
	v_ashrrev_i32_e32 v16, 31, v9
	v_add_co_u32_e32 v8, vcc, v8, v16
	v_addc_co_u32_e32 v9, vcc, v9, v16, vcc
	v_xor_b32_e32 v19, v8, v16
	v_xor_b32_e32 v17, v9, v16
	v_mad_u64_u32 v[8:9], s[0:1], v19, v10, 0
	v_mul_hi_u32 v11, v19, v3
	v_add_co_u32_e32 v21, vcc, v11, v8
	v_addc_co_u32_e32 v22, vcc, 0, v9, vcc
	v_mad_u64_u32 v[8:9], s[0:1], v17, v10, 0
	v_mad_u64_u32 v[10:11], s[0:1], v17, v3, 0
	v_add_co_u32_e32 v3, vcc, v21, v10
	v_addc_co_u32_e32 v3, vcc, v22, v11, vcc
	v_addc_co_u32_e32 v9, vcc, 0, v9, vcc
	v_add_co_u32_e32 v3, vcc, v3, v8
	v_addc_co_u32_e32 v10, vcc, 0, v9, vcc
	v_mul_lo_u32 v11, s59, v3
	v_mul_lo_u32 v21, s58, v10
	v_mad_u64_u32 v[8:9], s[0:1], s58, v3, 0
	v_add3_u32 v9, v9, v21, v11
	v_sub_u32_e32 v11, v17, v9
	v_mov_b32_e32 v21, s59
	v_sub_co_u32_e32 v8, vcc, v19, v8
	v_subb_co_u32_e64 v11, s[0:1], v11, v21, vcc
	v_subrev_co_u32_e64 v19, s[0:1], s58, v8
	v_subbrev_co_u32_e64 v11, s[0:1], 0, v11, s[0:1]
	v_cmp_le_u32_e64 s[0:1], s59, v11
	v_cndmask_b32_e64 v21, 0, -1, s[0:1]
	v_cmp_le_u32_e64 s[0:1], s58, v19
	v_cndmask_b32_e64 v19, 0, -1, s[0:1]
	v_cmp_eq_u32_e64 s[0:1], s59, v11
	v_cndmask_b32_e64 v11, v21, v19, s[0:1]
	v_add_co_u32_e64 v19, s[0:1], 2, v3
	v_subb_co_u32_e32 v9, vcc, v17, v9, vcc
	v_addc_co_u32_e64 v21, s[0:1], 0, v10, s[0:1]
	v_cmp_le_u32_e32 vcc, s59, v9
	v_add_co_u32_e64 v22, s[0:1], 1, v3
	v_cndmask_b32_e64 v17, 0, -1, vcc
	v_cmp_le_u32_e32 vcc, s58, v8
	v_addc_co_u32_e64 v23, s[0:1], 0, v10, s[0:1]
	v_cndmask_b32_e64 v8, 0, -1, vcc
	v_cmp_eq_u32_e32 vcc, s59, v9
	v_cmp_ne_u32_e64 s[0:1], 0, v11
	v_cndmask_b32_e32 v8, v17, v8, vcc
	v_cmp_ne_u32_e32 vcc, 0, v8
	v_cndmask_b32_e64 v9, v22, v19, s[0:1]
	v_cndmask_b32_e64 v11, v23, v21, s[0:1]
	v_cndmask_b32_e32 v3, v3, v9, vcc
	v_xor_b32_e32 v9, s56, v16
	v_cndmask_b32_e32 v8, v10, v11, vcc
	v_xor_b32_e32 v3, v3, v9
	v_xor_b32_e32 v8, v8, v9
	v_sub_co_u32_e32 v10, vcc, v3, v9
	v_subb_co_u32_e32 v11, vcc, v8, v9, vcc
                                        ; implicit-def: $vgpr8_vgpr9
.LBB63_17:                              ;   in Loop: Header=BB63_3 Depth=1
	s_andn2_saveexec_b64 s[0:1], s[54:55]
	s_cbranch_execz .LBB63_19
; %bb.18:                               ;   in Loop: Header=BB63_3 Depth=1
	v_rcp_iflag_f32_e32 v3, v13
	s_sub_i32 s54, 0, s46
	v_mov_b32_e32 v11, v2
	v_mul_f32_e32 v3, 0x4f7ffffe, v3
	v_cvt_u32_f32_e32 v3, v3
	v_mul_lo_u32 v9, s54, v3
	v_mul_hi_u32 v9, v3, v9
	v_add_u32_e32 v3, v3, v9
	v_mul_hi_u32 v3, v8, v3
	v_mul_lo_u32 v9, v3, s46
	v_sub_u32_e32 v8, v8, v9
	v_add_u32_e32 v10, 1, v3
	v_subrev_u32_e32 v9, s46, v8
	v_cmp_le_u32_e32 vcc, s46, v8
	v_cndmask_b32_e32 v8, v8, v9, vcc
	v_cndmask_b32_e32 v3, v3, v10, vcc
	v_add_u32_e32 v9, 1, v3
	v_cmp_le_u32_e32 vcc, s46, v8
	v_cndmask_b32_e32 v10, v3, v9, vcc
.LBB63_19:                              ;   in Loop: Header=BB63_3 Depth=1
	s_or_b64 exec, exec, s[0:1]
	v_mad_u64_u32 v[8:9], s[0:1], s8, v12, 0
	v_add3_u32 v3, v9, v15, v14
	v_mul_lo_u32 v9, v11, s46
	v_mul_lo_u32 v12, v10, s47
	v_mad_u64_u32 v[14:15], s[0:1], v10, s46, 0
	v_add3_u32 v9, v15, v12, v9
	v_sub_co_u32_e32 v8, vcc, v8, v14
	v_subb_co_u32_e32 v3, vcc, v3, v9, vcc
	v_add_co_u32_e32 v8, vcc, v0, v8
	v_addc_co_u32_e32 v3, vcc, v1, v3, vcc
	v_mul_lo_u32 v3, v3, s6
	v_mul_lo_u32 v12, v8, s7
	v_mad_u64_u32 v[8:9], s[0:1], v8, s6, 0
	v_add3_u32 v9, v9, v12, v3
	v_mul_lo_u32 v3, v11, s4
	v_mul_lo_u32 v12, v10, s5
	v_mad_u64_u32 v[10:11], s[0:1], v10, s4, 0
	v_add3_u32 v11, v11, v12, v3
	v_lshlrev_b64 v[10:11], 1, v[10:11]
	v_mov_b32_e32 v3, s45
	v_add_co_u32_e32 v10, vcc, s44, v10
	v_addc_co_u32_e32 v3, vcc, v3, v11, vcc
	v_lshlrev_b64 v[8:9], 1, v[8:9]
	v_add_co_u32_e32 v8, vcc, v10, v8
	v_addc_co_u32_e32 v9, vcc, v3, v9, vcc
	global_load_ushort v12, v[8:9], off
	v_add_co_u32_e32 v14, vcc, 3, v6
	v_addc_co_u32_e32 v3, vcc, 0, v7, vcc
	v_mul_lo_u32 v15, s9, v14
	v_mul_lo_u32 v16, s8, v3
	v_mad_u64_u32 v[8:9], s[0:1], s8, v14, v[0:1]
	v_add3_u32 v9, v15, v9, v16
	v_or_b32_e32 v3, s47, v9
	v_cmp_ne_u64_e32 vcc, 0, v[2:3]
                                        ; implicit-def: $vgpr10_vgpr11
	s_and_saveexec_b64 s[0:1], vcc
	s_xor_b64 s[54:55], exec, s[0:1]
	s_cbranch_execz .LBB63_21
; %bb.20:                               ;   in Loop: Header=BB63_3 Depth=1
	s_ashr_i32 s56, s47, 31
	s_add_u32 s0, s46, s56
	s_mov_b32 s57, s56
	s_addc_u32 s1, s47, s56
	s_xor_b64 s[58:59], s[0:1], s[56:57]
	v_cvt_f32_u32_e32 v3, s58
	v_cvt_f32_u32_e32 v10, s59
	s_sub_u32 s0, 0, s58
	s_subb_u32 s1, 0, s59
	v_mac_f32_e32 v3, 0x4f800000, v10
	v_rcp_f32_e32 v3, v3
	v_mul_f32_e32 v3, 0x5f7ffffc, v3
	v_mul_f32_e32 v10, 0x2f800000, v3
	v_trunc_f32_e32 v10, v10
	v_mac_f32_e32 v3, 0xcf800000, v10
	v_cvt_u32_f32_e32 v10, v10
	v_cvt_u32_f32_e32 v3, v3
	v_mul_lo_u32 v11, s0, v10
	v_mul_hi_u32 v19, s0, v3
	v_mul_lo_u32 v17, s1, v3
	v_add_u32_e32 v11, v19, v11
	v_mul_lo_u32 v21, s0, v3
	v_add_u32_e32 v11, v11, v17
	v_mul_lo_u32 v19, v3, v11
	v_mul_hi_u32 v22, v3, v21
	v_mul_hi_u32 v17, v3, v11
	v_add_co_u32_e32 v19, vcc, v22, v19
	v_addc_co_u32_e32 v17, vcc, 0, v17, vcc
	v_mul_hi_u32 v23, v10, v21
	v_mul_lo_u32 v21, v10, v21
	v_add_co_u32_e32 v19, vcc, v19, v21
	v_mul_hi_u32 v22, v10, v11
	v_addc_co_u32_e32 v17, vcc, v17, v23, vcc
	v_addc_co_u32_e32 v19, vcc, 0, v22, vcc
	v_mul_lo_u32 v11, v10, v11
	v_add_co_u32_e32 v11, vcc, v17, v11
	v_addc_co_u32_e32 v17, vcc, 0, v19, vcc
	v_add_co_u32_e32 v3, vcc, v3, v11
	v_addc_co_u32_e32 v10, vcc, v10, v17, vcc
	v_mul_lo_u32 v11, s0, v10
	v_mul_hi_u32 v17, s0, v3
	v_add_u32_e32 v11, v17, v11
	v_mul_lo_u32 v17, s1, v3
	v_add_u32_e32 v11, v11, v17
	v_mul_lo_u32 v19, s0, v3
	v_mul_hi_u32 v21, v10, v19
	v_mul_lo_u32 v22, v10, v19
	v_mul_lo_u32 v27, v3, v11
	v_mul_hi_u32 v19, v3, v19
	v_mul_hi_u32 v23, v3, v11
	v_add_co_u32_e32 v19, vcc, v19, v27
	v_addc_co_u32_e32 v23, vcc, 0, v23, vcc
	v_add_co_u32_e32 v19, vcc, v19, v22
	v_mul_hi_u32 v17, v10, v11
	v_addc_co_u32_e32 v19, vcc, v23, v21, vcc
	v_addc_co_u32_e32 v17, vcc, 0, v17, vcc
	v_mul_lo_u32 v11, v10, v11
	v_add_co_u32_e32 v11, vcc, v19, v11
	v_addc_co_u32_e32 v17, vcc, 0, v17, vcc
	v_add_co_u32_e32 v3, vcc, v3, v11
	v_addc_co_u32_e32 v10, vcc, v10, v17, vcc
	v_ashrrev_i32_e32 v17, 31, v9
	v_add_co_u32_e32 v8, vcc, v8, v17
	v_addc_co_u32_e32 v9, vcc, v9, v17, vcc
	v_xor_b32_e32 v21, v8, v17
	v_xor_b32_e32 v19, v9, v17
	v_mad_u64_u32 v[8:9], s[0:1], v21, v10, 0
	v_mul_hi_u32 v11, v21, v3
	v_add_co_u32_e32 v22, vcc, v11, v8
	v_addc_co_u32_e32 v23, vcc, 0, v9, vcc
	v_mad_u64_u32 v[8:9], s[0:1], v19, v10, 0
	v_mad_u64_u32 v[10:11], s[0:1], v19, v3, 0
	v_add_co_u32_e32 v3, vcc, v22, v10
	v_addc_co_u32_e32 v3, vcc, v23, v11, vcc
	v_addc_co_u32_e32 v9, vcc, 0, v9, vcc
	v_add_co_u32_e32 v3, vcc, v3, v8
	v_addc_co_u32_e32 v10, vcc, 0, v9, vcc
	v_mul_lo_u32 v11, s59, v3
	v_mul_lo_u32 v22, s58, v10
	v_mad_u64_u32 v[8:9], s[0:1], s58, v3, 0
	v_add3_u32 v9, v9, v22, v11
	v_sub_u32_e32 v11, v19, v9
	v_mov_b32_e32 v22, s59
	v_sub_co_u32_e32 v8, vcc, v21, v8
	v_subb_co_u32_e64 v11, s[0:1], v11, v22, vcc
	v_subrev_co_u32_e64 v21, s[0:1], s58, v8
	v_subbrev_co_u32_e64 v11, s[0:1], 0, v11, s[0:1]
	v_cmp_le_u32_e64 s[0:1], s59, v11
	v_cndmask_b32_e64 v22, 0, -1, s[0:1]
	v_cmp_le_u32_e64 s[0:1], s58, v21
	v_cndmask_b32_e64 v21, 0, -1, s[0:1]
	v_cmp_eq_u32_e64 s[0:1], s59, v11
	v_cndmask_b32_e64 v11, v22, v21, s[0:1]
	v_add_co_u32_e64 v21, s[0:1], 2, v3
	v_subb_co_u32_e32 v9, vcc, v19, v9, vcc
	v_addc_co_u32_e64 v22, s[0:1], 0, v10, s[0:1]
	v_cmp_le_u32_e32 vcc, s59, v9
	v_add_co_u32_e64 v23, s[0:1], 1, v3
	v_cndmask_b32_e64 v19, 0, -1, vcc
	v_cmp_le_u32_e32 vcc, s58, v8
	v_addc_co_u32_e64 v27, s[0:1], 0, v10, s[0:1]
	v_cndmask_b32_e64 v8, 0, -1, vcc
	v_cmp_eq_u32_e32 vcc, s59, v9
	v_cmp_ne_u32_e64 s[0:1], 0, v11
	v_cndmask_b32_e32 v8, v19, v8, vcc
	v_cmp_ne_u32_e32 vcc, 0, v8
	v_cndmask_b32_e64 v9, v23, v21, s[0:1]
	v_cndmask_b32_e64 v11, v27, v22, s[0:1]
	v_cndmask_b32_e32 v3, v3, v9, vcc
	v_xor_b32_e32 v9, s56, v17
	v_cndmask_b32_e32 v8, v10, v11, vcc
	v_xor_b32_e32 v3, v3, v9
	v_xor_b32_e32 v8, v8, v9
	v_sub_co_u32_e32 v10, vcc, v3, v9
	v_subb_co_u32_e32 v11, vcc, v8, v9, vcc
                                        ; implicit-def: $vgpr8_vgpr9
.LBB63_21:                              ;   in Loop: Header=BB63_3 Depth=1
	s_andn2_saveexec_b64 s[0:1], s[54:55]
	s_cbranch_execz .LBB63_23
; %bb.22:                               ;   in Loop: Header=BB63_3 Depth=1
	v_rcp_iflag_f32_e32 v3, v13
	s_sub_i32 s54, 0, s46
	v_mov_b32_e32 v11, v2
	v_mul_f32_e32 v3, 0x4f7ffffe, v3
	v_cvt_u32_f32_e32 v3, v3
	v_mul_lo_u32 v9, s54, v3
	v_mul_hi_u32 v9, v3, v9
	v_add_u32_e32 v3, v3, v9
	v_mul_hi_u32 v3, v8, v3
	v_mul_lo_u32 v9, v3, s46
	v_sub_u32_e32 v8, v8, v9
	v_add_u32_e32 v10, 1, v3
	v_subrev_u32_e32 v9, s46, v8
	v_cmp_le_u32_e32 vcc, s46, v8
	v_cndmask_b32_e32 v8, v8, v9, vcc
	v_cndmask_b32_e32 v3, v3, v10, vcc
	v_add_u32_e32 v9, 1, v3
	v_cmp_le_u32_e32 vcc, s46, v8
	v_cndmask_b32_e32 v10, v3, v9, vcc
.LBB63_23:                              ;   in Loop: Header=BB63_3 Depth=1
	s_or_b64 exec, exec, s[0:1]
	v_mad_u64_u32 v[8:9], s[0:1], s8, v14, 0
	v_add3_u32 v3, v9, v16, v15
	v_mul_lo_u32 v9, v11, s46
	v_mul_lo_u32 v16, v10, s47
	v_mad_u64_u32 v[14:15], s[0:1], v10, s46, 0
	v_add3_u32 v9, v15, v16, v9
	v_sub_co_u32_e32 v8, vcc, v8, v14
	v_subb_co_u32_e32 v3, vcc, v3, v9, vcc
	v_add_co_u32_e32 v8, vcc, v0, v8
	v_addc_co_u32_e32 v3, vcc, v1, v3, vcc
	v_mul_lo_u32 v3, v3, s6
	v_mul_lo_u32 v14, v8, s7
	v_mad_u64_u32 v[8:9], s[0:1], v8, s6, 0
	v_add3_u32 v9, v9, v14, v3
	v_mul_lo_u32 v3, v11, s4
	v_mul_lo_u32 v14, v10, s5
	v_mad_u64_u32 v[10:11], s[0:1], v10, s4, 0
	v_add3_u32 v11, v11, v14, v3
	v_lshlrev_b64 v[10:11], 1, v[10:11]
	v_mov_b32_e32 v3, s45
	v_add_co_u32_e32 v10, vcc, s44, v10
	v_addc_co_u32_e32 v3, vcc, v3, v11, vcc
	v_lshlrev_b64 v[8:9], 1, v[8:9]
	v_add_co_u32_e32 v8, vcc, v10, v8
	v_addc_co_u32_e32 v9, vcc, v3, v9, vcc
	global_load_ushort v19, v[8:9], off
	v_add_co_u32_e32 v10, vcc, 4, v6
	v_addc_co_u32_e32 v3, vcc, 0, v7, vcc
	v_mul_lo_u32 v11, s9, v10
	v_mul_lo_u32 v14, s8, v3
	v_mad_u64_u32 v[6:7], s[0:1], s8, v10, v[0:1]
	v_add3_u32 v7, v11, v7, v14
	v_or_b32_e32 v3, s47, v7
	v_cmp_ne_u64_e32 vcc, 0, v[2:3]
                                        ; implicit-def: $vgpr8_vgpr9
	s_and_saveexec_b64 s[0:1], vcc
	s_xor_b64 s[54:55], exec, s[0:1]
	s_cbranch_execz .LBB63_25
; %bb.24:                               ;   in Loop: Header=BB63_3 Depth=1
	s_ashr_i32 s56, s47, 31
	s_add_u32 s0, s46, s56
	s_mov_b32 s57, s56
	s_addc_u32 s1, s47, s56
	s_xor_b64 s[58:59], s[0:1], s[56:57]
	v_cvt_f32_u32_e32 v3, s58
	v_cvt_f32_u32_e32 v8, s59
	s_sub_u32 s0, 0, s58
	s_subb_u32 s1, 0, s59
	v_mac_f32_e32 v3, 0x4f800000, v8
	v_rcp_f32_e32 v3, v3
	v_mul_f32_e32 v3, 0x5f7ffffc, v3
	v_mul_f32_e32 v8, 0x2f800000, v3
	v_trunc_f32_e32 v8, v8
	v_mac_f32_e32 v3, 0xcf800000, v8
	v_cvt_u32_f32_e32 v8, v8
	v_cvt_u32_f32_e32 v3, v3
	v_mul_lo_u32 v9, s0, v8
	v_mul_hi_u32 v15, s0, v3
	v_mul_lo_u32 v13, s1, v3
	v_add_u32_e32 v9, v15, v9
	v_mul_lo_u32 v16, s0, v3
	v_add_u32_e32 v9, v9, v13
	v_mul_lo_u32 v15, v3, v9
	v_mul_hi_u32 v17, v3, v16
	v_mul_hi_u32 v13, v3, v9
	v_add_co_u32_e32 v15, vcc, v17, v15
	v_addc_co_u32_e32 v13, vcc, 0, v13, vcc
	v_mul_hi_u32 v21, v8, v16
	v_mul_lo_u32 v16, v8, v16
	v_add_co_u32_e32 v15, vcc, v15, v16
	v_mul_hi_u32 v17, v8, v9
	v_addc_co_u32_e32 v13, vcc, v13, v21, vcc
	v_addc_co_u32_e32 v15, vcc, 0, v17, vcc
	v_mul_lo_u32 v9, v8, v9
	v_add_co_u32_e32 v9, vcc, v13, v9
	v_addc_co_u32_e32 v13, vcc, 0, v15, vcc
	v_add_co_u32_e32 v3, vcc, v3, v9
	v_addc_co_u32_e32 v8, vcc, v8, v13, vcc
	v_mul_lo_u32 v9, s0, v8
	v_mul_hi_u32 v13, s0, v3
	v_add_u32_e32 v9, v13, v9
	v_mul_lo_u32 v13, s1, v3
	v_add_u32_e32 v9, v9, v13
	v_mul_lo_u32 v15, s0, v3
	v_mul_hi_u32 v16, v8, v15
	v_mul_lo_u32 v17, v8, v15
	v_mul_lo_u32 v22, v3, v9
	v_mul_hi_u32 v15, v3, v15
	v_mul_hi_u32 v21, v3, v9
	v_add_co_u32_e32 v15, vcc, v15, v22
	v_addc_co_u32_e32 v21, vcc, 0, v21, vcc
	v_add_co_u32_e32 v15, vcc, v15, v17
	v_mul_hi_u32 v13, v8, v9
	v_addc_co_u32_e32 v15, vcc, v21, v16, vcc
	v_addc_co_u32_e32 v13, vcc, 0, v13, vcc
	v_mul_lo_u32 v9, v8, v9
	v_add_co_u32_e32 v9, vcc, v15, v9
	v_addc_co_u32_e32 v13, vcc, 0, v13, vcc
	v_add_co_u32_e32 v3, vcc, v3, v9
	v_addc_co_u32_e32 v8, vcc, v8, v13, vcc
	v_ashrrev_i32_e32 v13, 31, v7
	v_add_co_u32_e32 v6, vcc, v6, v13
	v_addc_co_u32_e32 v7, vcc, v7, v13, vcc
	v_xor_b32_e32 v16, v6, v13
	v_xor_b32_e32 v15, v7, v13
	v_mad_u64_u32 v[6:7], s[0:1], v16, v8, 0
	v_mul_hi_u32 v9, v16, v3
	v_add_co_u32_e32 v17, vcc, v9, v6
	v_addc_co_u32_e32 v21, vcc, 0, v7, vcc
	v_mad_u64_u32 v[6:7], s[0:1], v15, v8, 0
	v_mad_u64_u32 v[8:9], s[0:1], v15, v3, 0
	v_add_co_u32_e32 v3, vcc, v17, v8
	v_addc_co_u32_e32 v3, vcc, v21, v9, vcc
	v_addc_co_u32_e32 v7, vcc, 0, v7, vcc
	v_add_co_u32_e32 v3, vcc, v3, v6
	v_addc_co_u32_e32 v8, vcc, 0, v7, vcc
	v_mul_lo_u32 v9, s59, v3
	v_mul_lo_u32 v17, s58, v8
	v_mad_u64_u32 v[6:7], s[0:1], s58, v3, 0
	v_add3_u32 v7, v7, v17, v9
	v_sub_u32_e32 v9, v15, v7
	v_mov_b32_e32 v17, s59
	v_sub_co_u32_e32 v6, vcc, v16, v6
	v_subb_co_u32_e64 v9, s[0:1], v9, v17, vcc
	v_subrev_co_u32_e64 v16, s[0:1], s58, v6
	v_subbrev_co_u32_e64 v9, s[0:1], 0, v9, s[0:1]
	v_cmp_le_u32_e64 s[0:1], s59, v9
	v_cndmask_b32_e64 v17, 0, -1, s[0:1]
	v_cmp_le_u32_e64 s[0:1], s58, v16
	v_cndmask_b32_e64 v16, 0, -1, s[0:1]
	v_cmp_eq_u32_e64 s[0:1], s59, v9
	v_cndmask_b32_e64 v9, v17, v16, s[0:1]
	v_add_co_u32_e64 v16, s[0:1], 2, v3
	v_subb_co_u32_e32 v7, vcc, v15, v7, vcc
	v_addc_co_u32_e64 v17, s[0:1], 0, v8, s[0:1]
	v_cmp_le_u32_e32 vcc, s59, v7
	v_add_co_u32_e64 v21, s[0:1], 1, v3
	v_cndmask_b32_e64 v15, 0, -1, vcc
	v_cmp_le_u32_e32 vcc, s58, v6
	v_addc_co_u32_e64 v22, s[0:1], 0, v8, s[0:1]
	v_cndmask_b32_e64 v6, 0, -1, vcc
	v_cmp_eq_u32_e32 vcc, s59, v7
	v_cmp_ne_u32_e64 s[0:1], 0, v9
	v_cndmask_b32_e32 v6, v15, v6, vcc
	v_cmp_ne_u32_e32 vcc, 0, v6
	v_cndmask_b32_e64 v7, v21, v16, s[0:1]
	v_cndmask_b32_e64 v9, v22, v17, s[0:1]
	v_cndmask_b32_e32 v3, v3, v7, vcc
	v_xor_b32_e32 v7, s56, v13
	v_cndmask_b32_e32 v6, v8, v9, vcc
	v_xor_b32_e32 v3, v3, v7
	v_xor_b32_e32 v6, v6, v7
	v_sub_co_u32_e32 v8, vcc, v3, v7
	v_subb_co_u32_e32 v9, vcc, v6, v7, vcc
                                        ; implicit-def: $vgpr13
                                        ; implicit-def: $vgpr6_vgpr7
.LBB63_25:                              ;   in Loop: Header=BB63_3 Depth=1
	s_andn2_saveexec_b64 s[0:1], s[54:55]
	s_cbranch_execz .LBB63_27
; %bb.26:                               ;   in Loop: Header=BB63_3 Depth=1
	v_rcp_iflag_f32_e32 v3, v13
	s_sub_i32 s54, 0, s46
	v_mov_b32_e32 v9, v2
	v_mul_f32_e32 v3, 0x4f7ffffe, v3
	v_cvt_u32_f32_e32 v3, v3
	v_mul_lo_u32 v7, s54, v3
	v_mul_hi_u32 v7, v3, v7
	v_add_u32_e32 v3, v3, v7
	v_mul_hi_u32 v3, v6, v3
	v_mul_lo_u32 v7, v3, s46
	v_sub_u32_e32 v6, v6, v7
	v_add_u32_e32 v8, 1, v3
	v_subrev_u32_e32 v7, s46, v6
	v_cmp_le_u32_e32 vcc, s46, v6
	v_cndmask_b32_e32 v6, v6, v7, vcc
	v_cndmask_b32_e32 v3, v3, v8, vcc
	v_add_u32_e32 v7, 1, v3
	v_cmp_le_u32_e32 vcc, s46, v6
	v_cndmask_b32_e32 v8, v3, v7, vcc
.LBB63_27:                              ;   in Loop: Header=BB63_3 Depth=1
	s_or_b64 exec, exec, s[0:1]
	v_mad_u64_u32 v[6:7], s[0:1], s8, v10, 0
	v_add3_u32 v3, v7, v14, v11
	v_mul_lo_u32 v7, v9, s46
	v_mul_lo_u32 v13, v8, s47
	v_mad_u64_u32 v[10:11], s[0:1], v8, s46, 0
	v_add3_u32 v7, v11, v13, v7
	v_sub_co_u32_e32 v6, vcc, v6, v10
	v_subb_co_u32_e32 v3, vcc, v3, v7, vcc
	v_add_co_u32_e32 v6, vcc, v0, v6
	v_addc_co_u32_e32 v3, vcc, v1, v3, vcc
	v_mul_lo_u32 v3, v3, s6
	v_mul_lo_u32 v10, v6, s7
	v_mad_u64_u32 v[6:7], s[0:1], v6, s6, 0
	v_add3_u32 v7, v7, v10, v3
	v_mul_lo_u32 v3, v9, s4
	v_mul_lo_u32 v10, v8, s5
	v_mad_u64_u32 v[8:9], s[0:1], v8, s4, 0
	v_add3_u32 v9, v9, v10, v3
	v_lshlrev_b64 v[8:9], 1, v[8:9]
	v_mov_b32_e32 v3, s45
	v_add_co_u32_e32 v8, vcc, s44, v8
	v_addc_co_u32_e32 v3, vcc, v3, v9, vcc
	v_lshlrev_b64 v[6:7], 1, v[6:7]
	v_add_co_u32_e32 v6, vcc, v8, v6
	v_addc_co_u32_e32 v7, vcc, v3, v7, vcc
	global_load_ushort v21, v[6:7], off
	v_or_b32_e32 v3, s39, v1
	v_cmp_ne_u64_e32 vcc, 0, v[2:3]
                                        ; implicit-def: $vgpr6_vgpr7
	s_and_saveexec_b64 s[0:1], vcc
	s_xor_b64 s[54:55], exec, s[0:1]
	s_cbranch_execz .LBB63_29
; %bb.28:                               ;   in Loop: Header=BB63_3 Depth=1
	s_ashr_i32 s56, s39, 31
	s_add_u32 s0, s38, s56
	s_mov_b32 s57, s56
	s_addc_u32 s1, s39, s56
	s_xor_b64 s[58:59], s[0:1], s[56:57]
	v_cvt_f32_u32_e32 v3, s58
	v_cvt_f32_u32_e32 v6, s59
	s_sub_u32 s0, 0, s58
	s_subb_u32 s1, 0, s59
	v_mac_f32_e32 v3, 0x4f800000, v6
	v_rcp_f32_e32 v3, v3
	v_mul_f32_e32 v3, 0x5f7ffffc, v3
	v_mul_f32_e32 v6, 0x2f800000, v3
	v_trunc_f32_e32 v6, v6
	v_mac_f32_e32 v3, 0xcf800000, v6
	v_cvt_u32_f32_e32 v6, v6
	v_cvt_u32_f32_e32 v3, v3
	v_mul_lo_u32 v7, s0, v6
	v_mul_hi_u32 v9, s0, v3
	v_mul_lo_u32 v8, s1, v3
	v_add_u32_e32 v7, v9, v7
	v_mul_lo_u32 v10, s0, v3
	v_add_u32_e32 v7, v7, v8
	v_mul_lo_u32 v9, v3, v7
	v_mul_hi_u32 v11, v3, v10
	v_mul_hi_u32 v8, v3, v7
	v_add_co_u32_e32 v9, vcc, v11, v9
	v_addc_co_u32_e32 v8, vcc, 0, v8, vcc
	v_mul_hi_u32 v13, v6, v10
	v_mul_lo_u32 v10, v6, v10
	v_add_co_u32_e32 v9, vcc, v9, v10
	v_mul_hi_u32 v11, v6, v7
	v_addc_co_u32_e32 v8, vcc, v8, v13, vcc
	v_addc_co_u32_e32 v9, vcc, 0, v11, vcc
	v_mul_lo_u32 v7, v6, v7
	v_add_co_u32_e32 v7, vcc, v8, v7
	v_addc_co_u32_e32 v8, vcc, 0, v9, vcc
	v_add_co_u32_e32 v3, vcc, v3, v7
	v_addc_co_u32_e32 v6, vcc, v6, v8, vcc
	v_mul_lo_u32 v7, s0, v6
	v_mul_hi_u32 v8, s0, v3
	v_add_u32_e32 v7, v8, v7
	v_mul_lo_u32 v8, s1, v3
	v_add_u32_e32 v7, v7, v8
	v_mul_lo_u32 v9, s0, v3
	v_mul_hi_u32 v10, v6, v9
	v_mul_lo_u32 v11, v6, v9
	v_mul_lo_u32 v14, v3, v7
	v_mul_hi_u32 v9, v3, v9
	v_mul_hi_u32 v13, v3, v7
	v_add_co_u32_e32 v9, vcc, v9, v14
	v_addc_co_u32_e32 v13, vcc, 0, v13, vcc
	v_add_co_u32_e32 v9, vcc, v9, v11
	v_mul_hi_u32 v8, v6, v7
	v_addc_co_u32_e32 v9, vcc, v13, v10, vcc
	v_addc_co_u32_e32 v8, vcc, 0, v8, vcc
	v_mul_lo_u32 v7, v6, v7
	v_add_co_u32_e32 v7, vcc, v9, v7
	v_addc_co_u32_e32 v8, vcc, 0, v8, vcc
	v_add_co_u32_e32 v3, vcc, v3, v7
	v_addc_co_u32_e32 v8, vcc, v6, v8, vcc
	;; [unrolled: 2-line block ×3, first 2 shown]
	v_xor_b32_e32 v11, v6, v26
	v_xor_b32_e32 v10, v7, v26
	v_mad_u64_u32 v[6:7], s[0:1], v11, v8, 0
	v_mul_hi_u32 v9, v11, v3
	v_add_co_u32_e32 v13, vcc, v9, v6
	v_addc_co_u32_e32 v14, vcc, 0, v7, vcc
	v_mad_u64_u32 v[6:7], s[0:1], v10, v8, 0
	v_mad_u64_u32 v[8:9], s[0:1], v10, v3, 0
	v_add_co_u32_e32 v3, vcc, v13, v8
	v_addc_co_u32_e32 v3, vcc, v14, v9, vcc
	v_addc_co_u32_e32 v7, vcc, 0, v7, vcc
	v_add_co_u32_e32 v3, vcc, v3, v6
	v_addc_co_u32_e32 v8, vcc, 0, v7, vcc
	v_mul_lo_u32 v9, s59, v3
	v_mul_lo_u32 v13, s58, v8
	v_mad_u64_u32 v[6:7], s[0:1], s58, v3, 0
	v_add3_u32 v7, v7, v13, v9
	v_sub_u32_e32 v9, v10, v7
	v_mov_b32_e32 v13, s59
	v_sub_co_u32_e32 v6, vcc, v11, v6
	v_subb_co_u32_e64 v9, s[0:1], v9, v13, vcc
	v_subrev_co_u32_e64 v11, s[0:1], s58, v6
	v_subbrev_co_u32_e64 v9, s[0:1], 0, v9, s[0:1]
	v_cmp_le_u32_e64 s[0:1], s59, v9
	v_cndmask_b32_e64 v13, 0, -1, s[0:1]
	v_cmp_le_u32_e64 s[0:1], s58, v11
	v_cndmask_b32_e64 v11, 0, -1, s[0:1]
	v_cmp_eq_u32_e64 s[0:1], s59, v9
	v_cndmask_b32_e64 v9, v13, v11, s[0:1]
	v_add_co_u32_e64 v11, s[0:1], 2, v3
	v_subb_co_u32_e32 v7, vcc, v10, v7, vcc
	v_addc_co_u32_e64 v13, s[0:1], 0, v8, s[0:1]
	v_cmp_le_u32_e32 vcc, s59, v7
	v_add_co_u32_e64 v14, s[0:1], 1, v3
	v_cndmask_b32_e64 v10, 0, -1, vcc
	v_cmp_le_u32_e32 vcc, s58, v6
	v_addc_co_u32_e64 v15, s[0:1], 0, v8, s[0:1]
	v_cndmask_b32_e64 v6, 0, -1, vcc
	v_cmp_eq_u32_e32 vcc, s59, v7
	v_cmp_ne_u32_e64 s[0:1], 0, v9
	v_cndmask_b32_e32 v6, v10, v6, vcc
	v_cmp_ne_u32_e32 vcc, 0, v6
	v_cndmask_b32_e64 v7, v14, v11, s[0:1]
	v_cndmask_b32_e64 v9, v15, v13, s[0:1]
	v_cndmask_b32_e32 v3, v3, v7, vcc
	v_xor_b32_e32 v7, s56, v26
	v_cndmask_b32_e32 v6, v8, v9, vcc
	v_xor_b32_e32 v3, v3, v7
	v_xor_b32_e32 v8, v6, v7
	v_sub_co_u32_e32 v6, vcc, v3, v7
	v_subb_co_u32_e32 v7, vcc, v8, v7, vcc
.LBB63_29:                              ;   in Loop: Header=BB63_3 Depth=1
	s_andn2_saveexec_b64 s[0:1], s[54:55]
	s_cbranch_execz .LBB63_31
; %bb.30:                               ;   in Loop: Header=BB63_3 Depth=1
	v_cvt_f32_u32_e32 v3, s38
	s_sub_i32 s54, 0, s38
	v_rcp_iflag_f32_e32 v3, v3
	v_mul_f32_e32 v3, 0x4f7ffffe, v3
	v_cvt_u32_f32_e32 v3, v3
	v_mul_lo_u32 v6, s54, v3
	v_mul_hi_u32 v6, v3, v6
	v_add_u32_e32 v3, v3, v6
	v_mul_hi_u32 v3, v0, v3
	v_mul_lo_u32 v6, v3, s38
	v_sub_u32_e32 v6, v0, v6
	v_add_u32_e32 v7, 1, v3
	v_subrev_u32_e32 v8, s38, v6
	v_cmp_le_u32_e32 vcc, s38, v6
	v_cndmask_b32_e32 v6, v6, v8, vcc
	v_cndmask_b32_e32 v3, v3, v7, vcc
	v_add_u32_e32 v7, 1, v3
	v_cmp_le_u32_e32 vcc, s38, v6
	v_cndmask_b32_e32 v6, v3, v7, vcc
	v_mov_b32_e32 v7, v2
.LBB63_31:                              ;   in Loop: Header=BB63_3 Depth=1
	s_or_b64 exec, exec, s[0:1]
	v_mad_u64_u32 v[8:9], s[0:1], s61, v6, v[0:1]
	v_mul_lo_u32 v3, s61, v7
	v_mul_lo_u32 v10, s62, v6
	v_add3_u32 v3, v10, v9, v3
	v_mul_lo_u32 v10, v8, s23
	v_mul_lo_u32 v3, v3, s22
	v_mad_u64_u32 v[8:9], s[0:1], v8, s22, 0
	v_add3_u32 v9, v9, v10, v3
	v_mul_lo_u32 v3, v7, s20
	v_mul_lo_u32 v10, v6, s21
	v_mad_u64_u32 v[6:7], s[0:1], v6, s20, 0
	v_add3_u32 v7, v7, v10, v3
	v_lshlrev_b64 v[6:7], 1, v[6:7]
	v_mov_b32_e32 v3, s37
	v_add_co_u32_e32 v10, vcc, s36, v6
	v_addc_co_u32_e32 v3, vcc, v3, v7, vcc
	v_lshlrev_b64 v[6:7], 1, v[8:9]
	v_add_co_u32_e32 v6, vcc, v10, v6
	v_addc_co_u32_e32 v7, vcc, v3, v7, vcc
	global_load_ushort v6, v[6:7], off
	v_mul_lo_u32 v7, s51, v4
	v_mul_lo_u32 v8, s50, v5
	v_mad_u64_u32 v[10:11], s[0:1], s50, v4, v[0:1]
	v_add3_u32 v11, v7, v11, v8
	v_or_b32_e32 v3, s29, v11
	v_cmp_ne_u64_e32 vcc, 0, v[2:3]
	v_ashrrev_i32_e32 v27, 31, v11
                                        ; implicit-def: $vgpr16_vgpr17
	s_and_saveexec_b64 s[0:1], vcc
	s_xor_b64 s[54:55], exec, s[0:1]
	s_cbranch_execz .LBB63_33
; %bb.32:                               ;   in Loop: Header=BB63_3 Depth=1
	s_ashr_i32 s56, s29, 31
	s_add_u32 s0, s28, s56
	s_mov_b32 s57, s56
	s_addc_u32 s1, s29, s56
	s_xor_b64 s[58:59], s[0:1], s[56:57]
	v_cvt_f32_u32_e32 v3, s58
	v_cvt_f32_u32_e32 v9, s59
	s_sub_u32 s0, 0, s58
	s_subb_u32 s1, 0, s59
	v_mac_f32_e32 v3, 0x4f800000, v9
	v_rcp_f32_e32 v3, v3
	v_mul_f32_e32 v3, 0x5f7ffffc, v3
	v_mul_f32_e32 v9, 0x2f800000, v3
	v_trunc_f32_e32 v9, v9
	v_mac_f32_e32 v3, 0xcf800000, v9
	v_cvt_u32_f32_e32 v9, v9
	v_cvt_u32_f32_e32 v3, v3
	v_mul_lo_u32 v13, s0, v9
	v_mul_hi_u32 v15, s0, v3
	v_mul_lo_u32 v14, s1, v3
	v_add_u32_e32 v13, v15, v13
	v_mul_lo_u32 v16, s0, v3
	v_add_u32_e32 v13, v13, v14
	v_mul_lo_u32 v15, v3, v13
	v_mul_hi_u32 v17, v3, v16
	v_mul_hi_u32 v14, v3, v13
	v_add_co_u32_e32 v15, vcc, v17, v15
	v_addc_co_u32_e32 v14, vcc, 0, v14, vcc
	v_mul_hi_u32 v22, v9, v16
	v_mul_lo_u32 v16, v9, v16
	v_add_co_u32_e32 v15, vcc, v15, v16
	v_mul_hi_u32 v17, v9, v13
	v_addc_co_u32_e32 v14, vcc, v14, v22, vcc
	v_addc_co_u32_e32 v15, vcc, 0, v17, vcc
	v_mul_lo_u32 v13, v9, v13
	v_add_co_u32_e32 v13, vcc, v14, v13
	v_addc_co_u32_e32 v14, vcc, 0, v15, vcc
	v_add_co_u32_e32 v3, vcc, v3, v13
	v_addc_co_u32_e32 v9, vcc, v9, v14, vcc
	v_mul_lo_u32 v13, s0, v9
	v_mul_hi_u32 v14, s0, v3
	v_add_u32_e32 v13, v14, v13
	v_mul_lo_u32 v14, s1, v3
	v_add_u32_e32 v13, v13, v14
	v_mul_lo_u32 v15, s0, v3
	v_mul_hi_u32 v16, v9, v15
	v_mul_lo_u32 v17, v9, v15
	v_mul_lo_u32 v23, v3, v13
	v_mul_hi_u32 v15, v3, v15
	v_mul_hi_u32 v22, v3, v13
	v_add_co_u32_e32 v15, vcc, v15, v23
	v_addc_co_u32_e32 v22, vcc, 0, v22, vcc
	v_add_co_u32_e32 v15, vcc, v15, v17
	v_mul_hi_u32 v14, v9, v13
	v_addc_co_u32_e32 v15, vcc, v22, v16, vcc
	v_addc_co_u32_e32 v14, vcc, 0, v14, vcc
	v_mul_lo_u32 v13, v9, v13
	v_add_co_u32_e32 v13, vcc, v15, v13
	v_addc_co_u32_e32 v14, vcc, 0, v14, vcc
	v_add_co_u32_e32 v3, vcc, v3, v13
	v_addc_co_u32_e32 v9, vcc, v9, v14, vcc
	;; [unrolled: 2-line block ×3, first 2 shown]
	v_xor_b32_e32 v13, v13, v27
	v_xor_b32_e32 v22, v14, v27
	v_mad_u64_u32 v[14:15], s[0:1], v13, v9, 0
	v_mul_hi_u32 v16, v13, v3
	v_add_co_u32_e32 v23, vcc, v16, v14
	v_addc_co_u32_e32 v28, vcc, 0, v15, vcc
	v_mad_u64_u32 v[16:17], s[0:1], v22, v3, 0
	v_add_co_u32_e32 v3, vcc, v23, v16
	v_mad_u64_u32 v[14:15], s[0:1], v22, v9, 0
	v_addc_co_u32_e32 v3, vcc, v28, v17, vcc
	v_addc_co_u32_e32 v9, vcc, 0, v15, vcc
	v_add_co_u32_e32 v3, vcc, v3, v14
	v_addc_co_u32_e32 v9, vcc, 0, v9, vcc
	v_mul_lo_u32 v16, s59, v3
	v_mul_lo_u32 v17, s58, v9
	v_mad_u64_u32 v[14:15], s[0:1], s58, v3, 0
	v_add3_u32 v15, v15, v17, v16
	v_sub_u32_e32 v16, v22, v15
	v_mov_b32_e32 v17, s59
	v_sub_co_u32_e32 v13, vcc, v13, v14
	v_subb_co_u32_e64 v14, s[0:1], v16, v17, vcc
	v_subrev_co_u32_e64 v16, s[0:1], s58, v13
	v_subbrev_co_u32_e64 v14, s[0:1], 0, v14, s[0:1]
	v_cmp_le_u32_e64 s[0:1], s59, v14
	v_cndmask_b32_e64 v17, 0, -1, s[0:1]
	v_cmp_le_u32_e64 s[0:1], s58, v16
	v_cndmask_b32_e64 v16, 0, -1, s[0:1]
	v_cmp_eq_u32_e64 s[0:1], s59, v14
	v_cndmask_b32_e64 v14, v17, v16, s[0:1]
	v_add_co_u32_e64 v16, s[0:1], 2, v3
	v_addc_co_u32_e64 v17, s[0:1], 0, v9, s[0:1]
	v_add_co_u32_e64 v23, s[0:1], 1, v3
	v_addc_co_u32_e64 v28, s[0:1], 0, v9, s[0:1]
	v_subb_co_u32_e32 v15, vcc, v22, v15, vcc
	v_cmp_ne_u32_e64 s[0:1], 0, v14
	v_cmp_le_u32_e32 vcc, s59, v15
	v_cndmask_b32_e64 v14, v28, v17, s[0:1]
	v_cndmask_b32_e64 v17, 0, -1, vcc
	v_cmp_le_u32_e32 vcc, s58, v13
	v_cndmask_b32_e64 v13, 0, -1, vcc
	v_cmp_eq_u32_e32 vcc, s59, v15
	v_cndmask_b32_e32 v13, v17, v13, vcc
	v_cmp_ne_u32_e32 vcc, 0, v13
	v_cndmask_b32_e64 v13, v23, v16, s[0:1]
	v_cndmask_b32_e32 v3, v3, v13, vcc
	v_xor_b32_e32 v13, s56, v27
	v_cndmask_b32_e32 v9, v9, v14, vcc
	v_xor_b32_e32 v3, v3, v13
	v_xor_b32_e32 v9, v9, v13
	v_sub_co_u32_e32 v16, vcc, v3, v13
	v_subb_co_u32_e32 v17, vcc, v9, v13, vcc
.LBB63_33:                              ;   in Loop: Header=BB63_3 Depth=1
	s_or_saveexec_b64 s[0:1], s[54:55]
	v_cvt_f32_u32_e32 v32, s28
	s_xor_b64 exec, exec, s[0:1]
	s_cbranch_execz .LBB63_35
; %bb.34:                               ;   in Loop: Header=BB63_3 Depth=1
	v_rcp_iflag_f32_e32 v3, v32
	s_sub_i32 s54, 0, s28
	v_mov_b32_e32 v17, v2
	v_mul_f32_e32 v3, 0x4f7ffffe, v3
	v_cvt_u32_f32_e32 v3, v3
	v_mul_lo_u32 v9, s54, v3
	v_mul_hi_u32 v9, v3, v9
	v_add_u32_e32 v3, v3, v9
	v_mul_hi_u32 v3, v10, v3
	v_mul_lo_u32 v9, v3, s28
	v_sub_u32_e32 v9, v10, v9
	v_add_u32_e32 v13, 1, v3
	v_subrev_u32_e32 v14, s28, v9
	v_cmp_le_u32_e32 vcc, s28, v9
	v_cndmask_b32_e32 v9, v9, v14, vcc
	v_cndmask_b32_e32 v3, v3, v13, vcc
	v_add_u32_e32 v13, 1, v3
	v_cmp_le_u32_e32 vcc, s28, v9
	v_cndmask_b32_e32 v16, v3, v13, vcc
.LBB63_35:                              ;   in Loop: Header=BB63_3 Depth=1
	s_or_b64 exec, exec, s[0:1]
	v_mad_u64_u32 v[14:15], s[0:1], s50, v4, 0
	s_waitcnt vmcnt(3)
	v_lshlrev_b32_e32 v13, 16, v12
	s_waitcnt vmcnt(2)
	v_lshlrev_b32_e32 v12, 16, v19
	v_add3_u32 v28, v15, v8, v7
	s_waitcnt vmcnt(0)
	v_lshlrev_b32_e32 v7, 16, v6
	v_lshlrev_b32_e32 v6, 16, v18
	v_pk_mul_f32 v[8:9], v[12:13], v[12:13]
	v_mov_b32_e32 v8, v9
	v_mov_b32_e32 v9, v6
	v_pk_add_f32 v[18:19], v[8:9], 1.0 op_sel_hi:[1,0] neg_lo:[1,0] neg_hi:[1,0]
	v_pk_mul_f32 v[8:9], v[18:19], v[6:7]
	v_mov_b32_e32 v8, v9
	v_pk_mul_f32 v[8:9], v[18:19], v[8:9]
	v_lshlrev_b32_e32 v3, 16, v21
	v_lshlrev_b32_e32 v9, 16, v20
	v_mul_f32_e32 v3, v8, v3
	v_sub_f32_e32 v15, 1.0, v9
	v_mul_f32_e32 v3, v15, v3
	v_mul_f32_e32 v3, v3, v9
	v_bfe_u32 v15, v3, 16, 1
	v_add3_u32 v15, v3, v15, s65
	v_lshrrev_b32_e32 v15, 16, v15
	v_cmp_o_f32_e32 vcc, v3, v3
	v_cndmask_b32_e32 v29, v25, v15, vcc
	v_mul_lo_u32 v3, v17, s28
	v_mul_lo_u32 v15, v16, s29
	v_mad_u64_u32 v[20:21], s[0:1], v16, s28, 0
	v_add3_u32 v3, v21, v15, v3
	v_sub_co_u32_e32 v15, vcc, v14, v20
	v_subb_co_u32_e32 v3, vcc, v28, v3, vcc
	v_add_co_u32_e32 v15, vcc, v0, v15
	v_addc_co_u32_e32 v3, vcc, v1, v3, vcc
	v_mul_lo_u32 v3, v3, s14
	v_mul_lo_u32 v18, v15, s15
	v_mad_u64_u32 v[20:21], s[0:1], v15, s14, 0
	v_add3_u32 v21, v21, v18, v3
	v_mul_lo_u32 v3, v17, s12
	v_mul_lo_u32 v15, v16, s13
	v_mad_u64_u32 v[16:17], s[0:1], v16, s12, 0
	v_add3_u32 v17, v17, v15, v3
	v_lshlrev_b64 v[16:17], 1, v[16:17]
	v_mov_b32_e32 v3, s3
	v_add_co_u32_e32 v15, vcc, s2, v16
	v_addc_co_u32_e32 v3, vcc, v3, v17, vcc
	v_lshlrev_b64 v[16:17], 1, v[20:21]
	v_add_co_u32_e32 v16, vcc, v15, v16
	v_addc_co_u32_e32 v17, vcc, v3, v17, vcc
	v_lshlrev_b64 v[20:21], 1, v[4:5]
	global_store_short v[16:17], v29, off
	v_or_b32_e32 v16, 1, v20
	v_mul_lo_u32 v18, s8, v21
	v_mul_lo_u32 v30, s9, v16
	v_mad_u64_u32 v[4:5], s[0:1], s8, v16, v[0:1]
	v_add3_u32 v5, v30, v5, v18
	v_or_b32_e32 v3, s29, v5
	v_cmp_ne_u64_e32 vcc, 0, v[2:3]
	v_ashrrev_i32_e32 v15, 31, v5
                                        ; implicit-def: $vgpr22_vgpr23
	s_and_saveexec_b64 s[0:1], vcc
	s_xor_b64 s[54:55], exec, s[0:1]
	s_cbranch_execz .LBB63_37
; %bb.36:                               ;   in Loop: Header=BB63_3 Depth=1
	s_ashr_i32 s56, s29, 31
	s_add_u32 s0, s28, s56
	s_mov_b32 s57, s56
	s_addc_u32 s1, s29, s56
	s_xor_b64 s[58:59], s[0:1], s[56:57]
	v_cvt_f32_u32_e32 v3, s58
	v_cvt_f32_u32_e32 v17, s59
	s_sub_u32 s0, 0, s58
	s_subb_u32 s1, 0, s59
	v_mac_f32_e32 v3, 0x4f800000, v17
	v_rcp_f32_e32 v3, v3
	v_mul_f32_e32 v3, 0x5f7ffffc, v3
	v_mul_f32_e32 v17, 0x2f800000, v3
	v_trunc_f32_e32 v17, v17
	v_mac_f32_e32 v3, 0xcf800000, v17
	v_cvt_u32_f32_e32 v17, v17
	v_cvt_u32_f32_e32 v3, v3
	v_mul_lo_u32 v22, s0, v17
	v_mul_hi_u32 v31, s0, v3
	v_mul_lo_u32 v23, s1, v3
	v_add_u32_e32 v22, v31, v22
	v_mul_lo_u32 v33, s0, v3
	v_add_u32_e32 v22, v22, v23
	v_mul_lo_u32 v31, v3, v22
	v_mul_hi_u32 v34, v3, v33
	v_mul_hi_u32 v23, v3, v22
	v_add_co_u32_e32 v31, vcc, v34, v31
	v_addc_co_u32_e32 v23, vcc, 0, v23, vcc
	v_mul_hi_u32 v35, v17, v33
	v_mul_lo_u32 v33, v17, v33
	v_add_co_u32_e32 v31, vcc, v31, v33
	v_mul_hi_u32 v34, v17, v22
	v_addc_co_u32_e32 v23, vcc, v23, v35, vcc
	v_addc_co_u32_e32 v31, vcc, 0, v34, vcc
	v_mul_lo_u32 v22, v17, v22
	v_add_co_u32_e32 v22, vcc, v23, v22
	v_addc_co_u32_e32 v23, vcc, 0, v31, vcc
	v_add_co_u32_e32 v3, vcc, v3, v22
	v_addc_co_u32_e32 v17, vcc, v17, v23, vcc
	v_mul_lo_u32 v22, s0, v17
	v_mul_hi_u32 v23, s0, v3
	v_add_u32_e32 v22, v23, v22
	v_mul_lo_u32 v23, s1, v3
	v_add_u32_e32 v22, v22, v23
	v_mul_lo_u32 v31, s0, v3
	v_mul_hi_u32 v33, v17, v31
	v_mul_lo_u32 v34, v17, v31
	v_mul_lo_u32 v36, v3, v22
	v_mul_hi_u32 v31, v3, v31
	v_mul_hi_u32 v35, v3, v22
	v_add_co_u32_e32 v31, vcc, v31, v36
	v_addc_co_u32_e32 v35, vcc, 0, v35, vcc
	v_add_co_u32_e32 v31, vcc, v31, v34
	v_mul_hi_u32 v23, v17, v22
	v_addc_co_u32_e32 v31, vcc, v35, v33, vcc
	v_addc_co_u32_e32 v23, vcc, 0, v23, vcc
	v_mul_lo_u32 v22, v17, v22
	v_add_co_u32_e32 v22, vcc, v31, v22
	v_addc_co_u32_e32 v23, vcc, 0, v23, vcc
	v_add_co_u32_e32 v3, vcc, v3, v22
	v_addc_co_u32_e32 v17, vcc, v17, v23, vcc
	;; [unrolled: 2-line block ×3, first 2 shown]
	v_xor_b32_e32 v33, v22, v15
	v_xor_b32_e32 v31, v23, v15
	v_mad_u64_u32 v[22:23], s[0:1], v33, v17, 0
	v_mul_hi_u32 v34, v33, v3
	v_add_co_u32_e32 v36, vcc, v34, v22
	v_addc_co_u32_e32 v37, vcc, 0, v23, vcc
	v_mad_u64_u32 v[34:35], s[0:1], v31, v3, 0
	v_add_co_u32_e32 v3, vcc, v36, v34
	v_mad_u64_u32 v[22:23], s[0:1], v31, v17, 0
	v_addc_co_u32_e32 v3, vcc, v37, v35, vcc
	v_addc_co_u32_e32 v17, vcc, 0, v23, vcc
	v_add_co_u32_e32 v3, vcc, v3, v22
	v_addc_co_u32_e32 v17, vcc, 0, v17, vcc
	v_mul_lo_u32 v34, s59, v3
	v_mul_lo_u32 v35, s58, v17
	v_mad_u64_u32 v[22:23], s[0:1], s58, v3, 0
	v_add3_u32 v23, v23, v35, v34
	v_sub_u32_e32 v34, v31, v23
	v_mov_b32_e32 v35, s59
	v_sub_co_u32_e32 v22, vcc, v33, v22
	v_subb_co_u32_e64 v33, s[0:1], v34, v35, vcc
	v_subrev_co_u32_e64 v34, s[0:1], s58, v22
	v_subbrev_co_u32_e64 v33, s[0:1], 0, v33, s[0:1]
	v_cmp_le_u32_e64 s[0:1], s59, v33
	v_cndmask_b32_e64 v35, 0, -1, s[0:1]
	v_cmp_le_u32_e64 s[0:1], s58, v34
	v_cndmask_b32_e64 v34, 0, -1, s[0:1]
	v_cmp_eq_u32_e64 s[0:1], s59, v33
	v_cndmask_b32_e64 v33, v35, v34, s[0:1]
	v_add_co_u32_e64 v34, s[0:1], 2, v3
	v_subb_co_u32_e32 v23, vcc, v31, v23, vcc
	v_addc_co_u32_e64 v35, s[0:1], 0, v17, s[0:1]
	v_cmp_le_u32_e32 vcc, s59, v23
	v_add_co_u32_e64 v36, s[0:1], 1, v3
	v_cndmask_b32_e64 v31, 0, -1, vcc
	v_cmp_le_u32_e32 vcc, s58, v22
	v_addc_co_u32_e64 v37, s[0:1], 0, v17, s[0:1]
	v_cndmask_b32_e64 v22, 0, -1, vcc
	v_cmp_eq_u32_e32 vcc, s59, v23
	v_cmp_ne_u32_e64 s[0:1], 0, v33
	v_cndmask_b32_e32 v22, v31, v22, vcc
	v_cmp_ne_u32_e32 vcc, 0, v22
	v_cndmask_b32_e64 v22, v36, v34, s[0:1]
	v_cndmask_b32_e64 v33, v37, v35, s[0:1]
	v_cndmask_b32_e32 v3, v3, v22, vcc
	v_xor_b32_e32 v23, s56, v15
	v_cndmask_b32_e32 v17, v17, v33, vcc
	v_xor_b32_e32 v3, v3, v23
	v_xor_b32_e32 v17, v17, v23
	v_sub_co_u32_e32 v22, vcc, v3, v23
	v_subb_co_u32_e32 v23, vcc, v17, v23, vcc
.LBB63_37:                              ;   in Loop: Header=BB63_3 Depth=1
	s_andn2_saveexec_b64 s[0:1], s[54:55]
	s_cbranch_execz .LBB63_39
; %bb.38:                               ;   in Loop: Header=BB63_3 Depth=1
	v_rcp_iflag_f32_e32 v3, v32
	s_sub_i32 s54, 0, s28
	v_mul_f32_e32 v3, 0x4f7ffffe, v3
	v_cvt_u32_f32_e32 v3, v3
	v_mul_lo_u32 v17, s54, v3
	v_mul_hi_u32 v17, v3, v17
	v_add_u32_e32 v3, v3, v17
	v_mul_hi_u32 v3, v4, v3
	v_mul_lo_u32 v17, v3, s28
	v_sub_u32_e32 v17, v4, v17
	v_add_u32_e32 v22, 1, v3
	v_subrev_u32_e32 v23, s28, v17
	v_cmp_le_u32_e32 vcc, s28, v17
	v_cndmask_b32_e32 v17, v17, v23, vcc
	v_cndmask_b32_e32 v3, v3, v22, vcc
	v_add_u32_e32 v22, 1, v3
	v_cmp_le_u32_e32 vcc, s28, v17
	v_cndmask_b32_e32 v22, v3, v22, vcc
	v_mov_b32_e32 v23, v2
.LBB63_39:                              ;   in Loop: Header=BB63_3 Depth=1
	s_or_b64 exec, exec, s[0:1]
	v_sub_f32_e32 v3, v12, v13
	v_mul_f32_e32 v3, v3, v7
	v_mul_f32_e32 v3, v19, v3
	;; [unrolled: 1-line block ×3, first 2 shown]
	v_bfe_u32 v12, v3, 16, 1
	v_add3_u32 v12, v3, v12, s65
	v_mad_u64_u32 v[16:17], s[0:1], s8, v16, 0
	v_lshrrev_b32_e32 v12, 16, v12
	v_cmp_o_f32_e32 vcc, v3, v3
	v_add3_u32 v31, v17, v18, v30
	v_cndmask_b32_e32 v30, v25, v12, vcc
	v_mul_lo_u32 v3, v23, s28
	v_mul_lo_u32 v17, v22, s29
	v_mad_u64_u32 v[12:13], s[0:1], v22, s28, 0
	v_add3_u32 v3, v13, v17, v3
	v_sub_co_u32_e32 v12, vcc, v16, v12
	v_subb_co_u32_e32 v3, vcc, v31, v3, vcc
	v_add_co_u32_e32 v12, vcc, v0, v12
	v_addc_co_u32_e32 v3, vcc, v1, v3, vcc
	v_mul_lo_u32 v3, v3, s14
	v_mul_lo_u32 v17, v12, s15
	v_mad_u64_u32 v[12:13], s[0:1], v12, s14, 0
	v_add3_u32 v13, v13, v17, v3
	v_mul_lo_u32 v3, v23, s12
	v_mul_lo_u32 v17, v22, s13
	v_mad_u64_u32 v[18:19], s[0:1], v22, s12, 0
	v_add3_u32 v19, v19, v17, v3
	v_lshlrev_b64 v[18:19], 1, v[18:19]
	v_mov_b32_e32 v3, s3
	v_add_co_u32_e32 v17, vcc, s2, v18
	v_addc_co_u32_e32 v3, vcc, v3, v19, vcc
	v_lshlrev_b64 v[12:13], 1, v[12:13]
	v_add_co_u32_e32 v12, vcc, v17, v12
	v_addc_co_u32_e32 v13, vcc, v3, v13, vcc
	v_add_co_u32_e32 v18, vcc, 2, v20
	v_addc_co_u32_e32 v3, vcc, 0, v21, vcc
	global_store_short v[12:13], v30, off
	v_mul_lo_u32 v22, s9, v18
	v_mul_lo_u32 v23, s8, v3
	v_mad_u64_u32 v[12:13], s[0:1], s8, v18, v[0:1]
	v_add3_u32 v13, v22, v13, v23
	v_or_b32_e32 v3, s29, v13
	v_cmp_ne_u64_e32 vcc, 0, v[2:3]
	v_ashrrev_i32_e32 v17, 31, v13
                                        ; implicit-def: $vgpr20_vgpr21
	s_and_saveexec_b64 s[0:1], vcc
	s_xor_b64 s[54:55], exec, s[0:1]
	s_cbranch_execz .LBB63_41
; %bb.40:                               ;   in Loop: Header=BB63_3 Depth=1
	s_ashr_i32 s56, s29, 31
	s_add_u32 s0, s28, s56
	s_mov_b32 s57, s56
	s_addc_u32 s1, s29, s56
	s_xor_b64 s[58:59], s[0:1], s[56:57]
	v_cvt_f32_u32_e32 v3, s58
	v_cvt_f32_u32_e32 v19, s59
	s_sub_u32 s0, 0, s58
	s_subb_u32 s1, 0, s59
	v_mac_f32_e32 v3, 0x4f800000, v19
	v_rcp_f32_e32 v3, v3
	v_mul_f32_e32 v3, 0x5f7ffffc, v3
	v_mul_f32_e32 v19, 0x2f800000, v3
	v_trunc_f32_e32 v19, v19
	v_mac_f32_e32 v3, 0xcf800000, v19
	v_cvt_u32_f32_e32 v19, v19
	v_cvt_u32_f32_e32 v3, v3
	v_mul_lo_u32 v20, s0, v19
	v_mul_hi_u32 v32, s0, v3
	v_mul_lo_u32 v21, s1, v3
	v_add_u32_e32 v20, v32, v20
	v_mul_lo_u32 v33, s0, v3
	v_add_u32_e32 v20, v20, v21
	v_mul_lo_u32 v32, v3, v20
	v_mul_hi_u32 v34, v3, v33
	v_mul_hi_u32 v21, v3, v20
	v_add_co_u32_e32 v32, vcc, v34, v32
	v_addc_co_u32_e32 v21, vcc, 0, v21, vcc
	v_mul_hi_u32 v35, v19, v33
	v_mul_lo_u32 v33, v19, v33
	v_add_co_u32_e32 v32, vcc, v32, v33
	v_mul_hi_u32 v34, v19, v20
	v_addc_co_u32_e32 v21, vcc, v21, v35, vcc
	v_addc_co_u32_e32 v32, vcc, 0, v34, vcc
	v_mul_lo_u32 v20, v19, v20
	v_add_co_u32_e32 v20, vcc, v21, v20
	v_addc_co_u32_e32 v21, vcc, 0, v32, vcc
	v_add_co_u32_e32 v3, vcc, v3, v20
	v_addc_co_u32_e32 v19, vcc, v19, v21, vcc
	v_mul_lo_u32 v20, s0, v19
	v_mul_hi_u32 v21, s0, v3
	v_add_u32_e32 v20, v21, v20
	v_mul_lo_u32 v21, s1, v3
	v_add_u32_e32 v20, v20, v21
	v_mul_lo_u32 v32, s0, v3
	v_mul_hi_u32 v33, v19, v32
	v_mul_lo_u32 v34, v19, v32
	v_mul_lo_u32 v36, v3, v20
	v_mul_hi_u32 v32, v3, v32
	v_mul_hi_u32 v35, v3, v20
	v_add_co_u32_e32 v32, vcc, v32, v36
	v_addc_co_u32_e32 v35, vcc, 0, v35, vcc
	v_add_co_u32_e32 v32, vcc, v32, v34
	v_mul_hi_u32 v21, v19, v20
	v_addc_co_u32_e32 v32, vcc, v35, v33, vcc
	v_addc_co_u32_e32 v21, vcc, 0, v21, vcc
	v_mul_lo_u32 v20, v19, v20
	v_add_co_u32_e32 v20, vcc, v32, v20
	v_addc_co_u32_e32 v21, vcc, 0, v21, vcc
	v_add_co_u32_e32 v3, vcc, v3, v20
	v_addc_co_u32_e32 v19, vcc, v19, v21, vcc
	;; [unrolled: 2-line block ×3, first 2 shown]
	v_xor_b32_e32 v35, v20, v17
	v_xor_b32_e32 v34, v21, v17
	v_mad_u64_u32 v[20:21], s[0:1], v35, v19, 0
	v_mul_hi_u32 v32, v35, v3
	v_add_co_u32_e32 v36, vcc, v32, v20
	v_addc_co_u32_e32 v37, vcc, 0, v21, vcc
	v_mad_u64_u32 v[32:33], s[0:1], v34, v3, 0
	v_add_co_u32_e32 v3, vcc, v36, v32
	v_mad_u64_u32 v[20:21], s[0:1], v34, v19, 0
	v_addc_co_u32_e32 v3, vcc, v37, v33, vcc
	v_addc_co_u32_e32 v19, vcc, 0, v21, vcc
	v_add_co_u32_e32 v3, vcc, v3, v20
	v_addc_co_u32_e32 v19, vcc, 0, v19, vcc
	v_mul_lo_u32 v32, s59, v3
	v_mul_lo_u32 v33, s58, v19
	v_mad_u64_u32 v[20:21], s[0:1], s58, v3, 0
	v_add3_u32 v21, v21, v33, v32
	v_sub_u32_e32 v32, v34, v21
	v_mov_b32_e32 v33, s59
	v_sub_co_u32_e32 v20, vcc, v35, v20
	v_subb_co_u32_e64 v32, s[0:1], v32, v33, vcc
	v_subrev_co_u32_e64 v33, s[0:1], s58, v20
	v_subbrev_co_u32_e64 v32, s[0:1], 0, v32, s[0:1]
	v_cmp_le_u32_e64 s[0:1], s59, v32
	v_cndmask_b32_e64 v35, 0, -1, s[0:1]
	v_cmp_le_u32_e64 s[0:1], s58, v33
	v_cndmask_b32_e64 v33, 0, -1, s[0:1]
	v_cmp_eq_u32_e64 s[0:1], s59, v32
	v_cndmask_b32_e64 v32, v35, v33, s[0:1]
	v_add_co_u32_e64 v33, s[0:1], 2, v3
	v_subb_co_u32_e32 v21, vcc, v34, v21, vcc
	v_addc_co_u32_e64 v35, s[0:1], 0, v19, s[0:1]
	v_cmp_le_u32_e32 vcc, s59, v21
	v_add_co_u32_e64 v36, s[0:1], 1, v3
	v_cndmask_b32_e64 v34, 0, -1, vcc
	v_cmp_le_u32_e32 vcc, s58, v20
	v_addc_co_u32_e64 v37, s[0:1], 0, v19, s[0:1]
	v_cndmask_b32_e64 v20, 0, -1, vcc
	v_cmp_eq_u32_e32 vcc, s59, v21
	v_cmp_ne_u32_e64 s[0:1], 0, v32
	v_cndmask_b32_e32 v20, v34, v20, vcc
	v_cmp_ne_u32_e32 vcc, 0, v20
	v_cndmask_b32_e64 v20, v36, v33, s[0:1]
	v_cndmask_b32_e64 v32, v37, v35, s[0:1]
	v_cndmask_b32_e32 v3, v3, v20, vcc
	v_xor_b32_e32 v21, s56, v17
	v_cndmask_b32_e32 v19, v19, v32, vcc
	v_xor_b32_e32 v3, v3, v21
	v_xor_b32_e32 v19, v19, v21
	v_sub_co_u32_e32 v20, vcc, v3, v21
	v_subb_co_u32_e32 v21, vcc, v19, v21, vcc
                                        ; implicit-def: $vgpr32
.LBB63_41:                              ;   in Loop: Header=BB63_3 Depth=1
	s_andn2_saveexec_b64 s[0:1], s[54:55]
	s_cbranch_execz .LBB63_43
; %bb.42:                               ;   in Loop: Header=BB63_3 Depth=1
	v_rcp_iflag_f32_e32 v3, v32
	s_sub_i32 s54, 0, s28
	v_mul_f32_e32 v3, 0x4f7ffffe, v3
	v_cvt_u32_f32_e32 v3, v3
	v_mul_lo_u32 v19, s54, v3
	v_mul_hi_u32 v19, v3, v19
	v_add_u32_e32 v3, v3, v19
	v_mul_hi_u32 v3, v12, v3
	v_mul_lo_u32 v19, v3, s28
	v_sub_u32_e32 v19, v12, v19
	v_add_u32_e32 v20, 1, v3
	v_subrev_u32_e32 v21, s28, v19
	v_cmp_le_u32_e32 vcc, s28, v19
	v_cndmask_b32_e32 v19, v19, v21, vcc
	v_cndmask_b32_e32 v3, v3, v20, vcc
	v_add_u32_e32 v20, 1, v3
	v_cmp_le_u32_e32 vcc, s28, v19
	v_cndmask_b32_e32 v20, v3, v20, vcc
	v_mov_b32_e32 v21, v2
.LBB63_43:                              ;   in Loop: Header=BB63_3 Depth=1
	s_or_b64 exec, exec, s[0:1]
	v_bfe_u32 v3, v8, 16, 1
	v_mad_u64_u32 v[18:19], s[0:1], s8, v18, 0
	v_add3_u32 v3, v8, v3, s65
	v_add3_u32 v19, v19, v23, v22
	v_lshrrev_b32_e32 v3, 16, v3
	v_cmp_o_f32_e32 vcc, v8, v8
	v_mul_lo_u32 v32, v21, s28
	v_mul_lo_u32 v33, v20, s29
	v_mad_u64_u32 v[22:23], s[0:1], v20, s28, 0
	v_cndmask_b32_e32 v3, v25, v3, vcc
	v_add3_u32 v23, v23, v33, v32
	v_sub_co_u32_e32 v22, vcc, v18, v22
	v_subb_co_u32_e32 v23, vcc, v19, v23, vcc
	v_add_co_u32_e32 v22, vcc, v0, v22
	v_addc_co_u32_e32 v23, vcc, v1, v23, vcc
	v_mul_lo_u32 v32, v23, s14
	v_mul_lo_u32 v33, v22, s15
	v_mad_u64_u32 v[22:23], s[0:1], v22, s14, 0
	v_add3_u32 v23, v23, v33, v32
	v_mul_lo_u32 v32, v21, s12
	v_mul_lo_u32 v33, v20, s13
	v_mad_u64_u32 v[20:21], s[0:1], v20, s12, 0
	v_add3_u32 v21, v21, v33, v32
	v_lshlrev_b64 v[20:21], 1, v[20:21]
	v_mov_b32_e32 v32, s3
	v_add_co_u32_e32 v33, vcc, s2, v20
	v_addc_co_u32_e32 v32, vcc, v32, v21, vcc
	v_lshlrev_b64 v[20:21], 1, v[22:23]
	v_add_co_u32_e32 v20, vcc, v33, v20
	v_addc_co_u32_e32 v21, vcc, v32, v21, vcc
	global_store_short v[20:21], v3, off
	v_or_b32_e32 v3, s35, v11
	v_cmp_ne_u64_e32 vcc, 0, v[2:3]
                                        ; implicit-def: $vgpr20_vgpr21
	s_and_saveexec_b64 s[0:1], vcc
	s_xor_b64 s[54:55], exec, s[0:1]
	s_cbranch_execz .LBB63_45
; %bb.44:                               ;   in Loop: Header=BB63_3 Depth=1
	s_ashr_i32 s56, s35, 31
	s_add_u32 s0, s34, s56
	s_mov_b32 s57, s56
	s_addc_u32 s1, s35, s56
	s_xor_b64 s[58:59], s[0:1], s[56:57]
	v_cvt_f32_u32_e32 v3, s58
	v_cvt_f32_u32_e32 v20, s59
	s_sub_u32 s0, 0, s58
	s_subb_u32 s1, 0, s59
	v_mac_f32_e32 v3, 0x4f800000, v20
	v_rcp_f32_e32 v3, v3
	v_mul_f32_e32 v3, 0x5f7ffffc, v3
	v_mul_f32_e32 v20, 0x2f800000, v3
	v_trunc_f32_e32 v20, v20
	v_mac_f32_e32 v3, 0xcf800000, v20
	v_cvt_u32_f32_e32 v20, v20
	v_cvt_u32_f32_e32 v3, v3
	v_mul_lo_u32 v21, s0, v20
	v_mul_hi_u32 v23, s0, v3
	v_mul_lo_u32 v22, s1, v3
	v_add_u32_e32 v21, v23, v21
	v_mul_lo_u32 v32, s0, v3
	v_add_u32_e32 v21, v21, v22
	v_mul_lo_u32 v23, v3, v21
	v_mul_hi_u32 v33, v3, v32
	v_mul_hi_u32 v22, v3, v21
	v_add_co_u32_e32 v23, vcc, v33, v23
	v_addc_co_u32_e32 v22, vcc, 0, v22, vcc
	v_mul_hi_u32 v34, v20, v32
	v_mul_lo_u32 v32, v20, v32
	v_add_co_u32_e32 v23, vcc, v23, v32
	v_mul_hi_u32 v33, v20, v21
	v_addc_co_u32_e32 v22, vcc, v22, v34, vcc
	v_addc_co_u32_e32 v23, vcc, 0, v33, vcc
	v_mul_lo_u32 v21, v20, v21
	v_add_co_u32_e32 v21, vcc, v22, v21
	v_addc_co_u32_e32 v22, vcc, 0, v23, vcc
	v_add_co_u32_e32 v3, vcc, v3, v21
	v_addc_co_u32_e32 v20, vcc, v20, v22, vcc
	v_mul_lo_u32 v21, s0, v20
	v_mul_hi_u32 v22, s0, v3
	v_add_u32_e32 v21, v22, v21
	v_mul_lo_u32 v22, s1, v3
	v_add_u32_e32 v21, v21, v22
	v_mul_lo_u32 v23, s0, v3
	v_mul_hi_u32 v32, v20, v23
	v_mul_lo_u32 v33, v20, v23
	v_mul_lo_u32 v35, v3, v21
	v_mul_hi_u32 v23, v3, v23
	v_mul_hi_u32 v34, v3, v21
	v_add_co_u32_e32 v23, vcc, v23, v35
	v_addc_co_u32_e32 v34, vcc, 0, v34, vcc
	v_add_co_u32_e32 v23, vcc, v23, v33
	v_mul_hi_u32 v22, v20, v21
	v_addc_co_u32_e32 v23, vcc, v34, v32, vcc
	v_addc_co_u32_e32 v22, vcc, 0, v22, vcc
	v_mul_lo_u32 v21, v20, v21
	v_add_co_u32_e32 v21, vcc, v23, v21
	v_addc_co_u32_e32 v22, vcc, 0, v22, vcc
	v_add_co_u32_e32 v3, vcc, v3, v21
	v_addc_co_u32_e32 v20, vcc, v20, v22, vcc
	;; [unrolled: 2-line block ×3, first 2 shown]
	v_xor_b32_e32 v23, v10, v27
	v_xor_b32_e32 v22, v11, v27
	v_mad_u64_u32 v[10:11], s[0:1], v23, v20, 0
	v_mul_hi_u32 v21, v23, v3
	v_add_co_u32_e32 v32, vcc, v21, v10
	v_addc_co_u32_e32 v33, vcc, 0, v11, vcc
	v_mad_u64_u32 v[10:11], s[0:1], v22, v20, 0
	v_mad_u64_u32 v[20:21], s[0:1], v22, v3, 0
	v_add_co_u32_e32 v3, vcc, v32, v20
	v_addc_co_u32_e32 v3, vcc, v33, v21, vcc
	v_addc_co_u32_e32 v11, vcc, 0, v11, vcc
	v_add_co_u32_e32 v3, vcc, v3, v10
	v_addc_co_u32_e32 v20, vcc, 0, v11, vcc
	v_mul_lo_u32 v21, s59, v3
	v_mul_lo_u32 v32, s58, v20
	v_mad_u64_u32 v[10:11], s[0:1], s58, v3, 0
	v_add3_u32 v11, v11, v32, v21
	v_sub_u32_e32 v21, v22, v11
	v_mov_b32_e32 v32, s59
	v_sub_co_u32_e32 v10, vcc, v23, v10
	v_subb_co_u32_e64 v21, s[0:1], v21, v32, vcc
	v_subrev_co_u32_e64 v23, s[0:1], s58, v10
	v_subbrev_co_u32_e64 v21, s[0:1], 0, v21, s[0:1]
	v_cmp_le_u32_e64 s[0:1], s59, v21
	v_cndmask_b32_e64 v32, 0, -1, s[0:1]
	v_cmp_le_u32_e64 s[0:1], s58, v23
	v_cndmask_b32_e64 v23, 0, -1, s[0:1]
	v_cmp_eq_u32_e64 s[0:1], s59, v21
	v_cndmask_b32_e64 v21, v32, v23, s[0:1]
	v_add_co_u32_e64 v23, s[0:1], 2, v3
	v_subb_co_u32_e32 v11, vcc, v22, v11, vcc
	v_addc_co_u32_e64 v32, s[0:1], 0, v20, s[0:1]
	v_cmp_le_u32_e32 vcc, s59, v11
	v_add_co_u32_e64 v33, s[0:1], 1, v3
	v_cndmask_b32_e64 v22, 0, -1, vcc
	v_cmp_le_u32_e32 vcc, s58, v10
	v_addc_co_u32_e64 v34, s[0:1], 0, v20, s[0:1]
	v_cndmask_b32_e64 v10, 0, -1, vcc
	v_cmp_eq_u32_e32 vcc, s59, v11
	v_cmp_ne_u32_e64 s[0:1], 0, v21
	v_cndmask_b32_e32 v10, v22, v10, vcc
	v_cmp_ne_u32_e32 vcc, 0, v10
	v_cndmask_b32_e64 v11, v33, v23, s[0:1]
	v_cndmask_b32_e64 v21, v34, v32, s[0:1]
	v_cndmask_b32_e32 v3, v3, v11, vcc
	v_xor_b32_e32 v11, s56, v27
	v_cndmask_b32_e32 v10, v20, v21, vcc
	v_xor_b32_e32 v3, v3, v11
	v_xor_b32_e32 v10, v10, v11
	v_sub_co_u32_e32 v20, vcc, v3, v11
	v_subb_co_u32_e32 v21, vcc, v10, v11, vcc
                                        ; implicit-def: $vgpr10_vgpr11
.LBB63_45:                              ;   in Loop: Header=BB63_3 Depth=1
	s_or_saveexec_b64 s[0:1], s[54:55]
	v_cvt_f32_u32_e32 v22, s34
	s_xor_b64 exec, exec, s[0:1]
	s_cbranch_execz .LBB63_47
; %bb.46:                               ;   in Loop: Header=BB63_3 Depth=1
	v_rcp_iflag_f32_e32 v3, v22
	s_sub_i32 s54, 0, s34
	v_mov_b32_e32 v21, v2
	v_mul_f32_e32 v3, 0x4f7ffffe, v3
	v_cvt_u32_f32_e32 v3, v3
	v_mul_lo_u32 v11, s54, v3
	v_mul_hi_u32 v11, v3, v11
	v_add_u32_e32 v3, v3, v11
	v_mul_hi_u32 v3, v10, v3
	v_mul_lo_u32 v11, v3, s34
	v_sub_u32_e32 v10, v10, v11
	v_add_u32_e32 v20, 1, v3
	v_subrev_u32_e32 v11, s34, v10
	v_cmp_le_u32_e32 vcc, s34, v10
	v_cndmask_b32_e32 v10, v10, v11, vcc
	v_cndmask_b32_e32 v3, v3, v20, vcc
	v_add_u32_e32 v11, 1, v3
	v_cmp_le_u32_e32 vcc, s34, v10
	v_cndmask_b32_e32 v20, v3, v11, vcc
.LBB63_47:                              ;   in Loop: Header=BB63_3 Depth=1
	s_or_b64 exec, exec, s[0:1]
	v_mul_lo_u32 v3, v21, s34
	v_mul_lo_u32 v23, v20, s35
	v_mad_u64_u32 v[10:11], s[0:1], v20, s34, 0
	v_add3_u32 v3, v11, v23, v3
	v_sub_co_u32_e32 v10, vcc, v14, v10
	v_subb_co_u32_e32 v3, vcc, v28, v3, vcc
	v_add_co_u32_e32 v10, vcc, v0, v10
	v_addc_co_u32_e32 v3, vcc, v1, v3, vcc
	v_mul_lo_u32 v3, v3, s18
	v_mul_lo_u32 v14, v10, s19
	v_mad_u64_u32 v[10:11], s[0:1], v10, s18, 0
	v_add3_u32 v11, v11, v14, v3
	v_mul_lo_u32 v3, v21, s16
	v_mul_lo_u32 v14, v20, s17
	v_mad_u64_u32 v[20:21], s[0:1], v20, s16, 0
	v_add3_u32 v21, v21, v14, v3
	v_lshlrev_b64 v[20:21], 1, v[20:21]
	v_mov_b32_e32 v3, s31
	v_add_co_u32_e32 v14, vcc, s30, v20
	v_addc_co_u32_e32 v3, vcc, v3, v21, vcc
	v_lshlrev_b64 v[10:11], 1, v[10:11]
	v_add_co_u32_e32 v10, vcc, v14, v10
	v_addc_co_u32_e32 v11, vcc, v3, v11, vcc
	v_or_b32_e32 v3, s35, v5
	v_cmp_ne_u64_e32 vcc, 0, v[2:3]
	global_store_short v[10:11], v29, off
                                        ; implicit-def: $vgpr10_vgpr11
	s_and_saveexec_b64 s[0:1], vcc
	s_xor_b64 s[54:55], exec, s[0:1]
	s_cbranch_execz .LBB63_49
; %bb.48:                               ;   in Loop: Header=BB63_3 Depth=1
	s_ashr_i32 s56, s35, 31
	s_add_u32 s0, s34, s56
	s_mov_b32 s57, s56
	s_addc_u32 s1, s35, s56
	s_xor_b64 s[58:59], s[0:1], s[56:57]
	v_cvt_f32_u32_e32 v3, s58
	v_cvt_f32_u32_e32 v10, s59
	s_sub_u32 s0, 0, s58
	s_subb_u32 s1, 0, s59
	v_mac_f32_e32 v3, 0x4f800000, v10
	v_rcp_f32_e32 v3, v3
	v_mul_f32_e32 v3, 0x5f7ffffc, v3
	v_mul_f32_e32 v10, 0x2f800000, v3
	v_trunc_f32_e32 v10, v10
	v_mac_f32_e32 v3, 0xcf800000, v10
	v_cvt_u32_f32_e32 v10, v10
	v_cvt_u32_f32_e32 v3, v3
	v_mul_lo_u32 v11, s0, v10
	v_mul_hi_u32 v20, s0, v3
	v_mul_lo_u32 v14, s1, v3
	v_add_u32_e32 v11, v20, v11
	v_mul_lo_u32 v21, s0, v3
	v_add_u32_e32 v11, v11, v14
	v_mul_lo_u32 v20, v3, v11
	v_mul_hi_u32 v23, v3, v21
	v_mul_hi_u32 v14, v3, v11
	v_add_co_u32_e32 v20, vcc, v23, v20
	v_addc_co_u32_e32 v14, vcc, 0, v14, vcc
	v_mul_hi_u32 v27, v10, v21
	v_mul_lo_u32 v21, v10, v21
	v_add_co_u32_e32 v20, vcc, v20, v21
	v_mul_hi_u32 v23, v10, v11
	v_addc_co_u32_e32 v14, vcc, v14, v27, vcc
	v_addc_co_u32_e32 v20, vcc, 0, v23, vcc
	v_mul_lo_u32 v11, v10, v11
	v_add_co_u32_e32 v11, vcc, v14, v11
	v_addc_co_u32_e32 v14, vcc, 0, v20, vcc
	v_add_co_u32_e32 v3, vcc, v3, v11
	v_addc_co_u32_e32 v10, vcc, v10, v14, vcc
	v_mul_lo_u32 v11, s0, v10
	v_mul_hi_u32 v14, s0, v3
	v_add_u32_e32 v11, v14, v11
	v_mul_lo_u32 v14, s1, v3
	v_add_u32_e32 v11, v11, v14
	v_mul_lo_u32 v20, s0, v3
	v_mul_hi_u32 v21, v10, v20
	v_mul_lo_u32 v23, v10, v20
	v_mul_lo_u32 v28, v3, v11
	v_mul_hi_u32 v20, v3, v20
	v_mul_hi_u32 v27, v3, v11
	v_add_co_u32_e32 v20, vcc, v20, v28
	v_addc_co_u32_e32 v27, vcc, 0, v27, vcc
	v_add_co_u32_e32 v20, vcc, v20, v23
	v_mul_hi_u32 v14, v10, v11
	v_addc_co_u32_e32 v20, vcc, v27, v21, vcc
	v_addc_co_u32_e32 v14, vcc, 0, v14, vcc
	v_mul_lo_u32 v11, v10, v11
	v_add_co_u32_e32 v11, vcc, v20, v11
	v_addc_co_u32_e32 v14, vcc, 0, v14, vcc
	v_add_co_u32_e32 v3, vcc, v3, v11
	v_addc_co_u32_e32 v10, vcc, v10, v14, vcc
	;; [unrolled: 2-line block ×3, first 2 shown]
	v_xor_b32_e32 v20, v4, v15
	v_xor_b32_e32 v14, v5, v15
	v_mad_u64_u32 v[4:5], s[0:1], v20, v10, 0
	v_mul_hi_u32 v11, v20, v3
	v_add_co_u32_e32 v21, vcc, v11, v4
	v_addc_co_u32_e32 v23, vcc, 0, v5, vcc
	v_mad_u64_u32 v[4:5], s[0:1], v14, v10, 0
	v_mad_u64_u32 v[10:11], s[0:1], v14, v3, 0
	v_add_co_u32_e32 v3, vcc, v21, v10
	v_addc_co_u32_e32 v3, vcc, v23, v11, vcc
	v_addc_co_u32_e32 v5, vcc, 0, v5, vcc
	v_add_co_u32_e32 v3, vcc, v3, v4
	v_addc_co_u32_e32 v10, vcc, 0, v5, vcc
	v_mul_lo_u32 v11, s59, v3
	v_mul_lo_u32 v21, s58, v10
	v_mad_u64_u32 v[4:5], s[0:1], s58, v3, 0
	v_add3_u32 v5, v5, v21, v11
	v_sub_u32_e32 v11, v14, v5
	v_mov_b32_e32 v21, s59
	v_sub_co_u32_e32 v4, vcc, v20, v4
	v_subb_co_u32_e64 v11, s[0:1], v11, v21, vcc
	v_subrev_co_u32_e64 v20, s[0:1], s58, v4
	v_subbrev_co_u32_e64 v11, s[0:1], 0, v11, s[0:1]
	v_cmp_le_u32_e64 s[0:1], s59, v11
	v_cndmask_b32_e64 v21, 0, -1, s[0:1]
	v_cmp_le_u32_e64 s[0:1], s58, v20
	v_cndmask_b32_e64 v20, 0, -1, s[0:1]
	v_cmp_eq_u32_e64 s[0:1], s59, v11
	v_cndmask_b32_e64 v11, v21, v20, s[0:1]
	v_add_co_u32_e64 v20, s[0:1], 2, v3
	v_subb_co_u32_e32 v5, vcc, v14, v5, vcc
	v_addc_co_u32_e64 v21, s[0:1], 0, v10, s[0:1]
	v_cmp_le_u32_e32 vcc, s59, v5
	v_add_co_u32_e64 v23, s[0:1], 1, v3
	v_cndmask_b32_e64 v14, 0, -1, vcc
	v_cmp_le_u32_e32 vcc, s58, v4
	v_addc_co_u32_e64 v27, s[0:1], 0, v10, s[0:1]
	v_cndmask_b32_e64 v4, 0, -1, vcc
	v_cmp_eq_u32_e32 vcc, s59, v5
	v_cmp_ne_u32_e64 s[0:1], 0, v11
	v_cndmask_b32_e32 v4, v14, v4, vcc
	v_cmp_ne_u32_e32 vcc, 0, v4
	v_cndmask_b32_e64 v5, v23, v20, s[0:1]
	v_cndmask_b32_e64 v11, v27, v21, s[0:1]
	v_cndmask_b32_e32 v3, v3, v5, vcc
	v_xor_b32_e32 v5, s56, v15
	v_cndmask_b32_e32 v4, v10, v11, vcc
	v_xor_b32_e32 v3, v3, v5
	v_xor_b32_e32 v4, v4, v5
	v_sub_co_u32_e32 v10, vcc, v3, v5
	v_subb_co_u32_e32 v11, vcc, v4, v5, vcc
                                        ; implicit-def: $vgpr4_vgpr5
.LBB63_49:                              ;   in Loop: Header=BB63_3 Depth=1
	s_andn2_saveexec_b64 s[0:1], s[54:55]
	s_cbranch_execz .LBB63_51
; %bb.50:                               ;   in Loop: Header=BB63_3 Depth=1
	v_rcp_iflag_f32_e32 v3, v22
	s_sub_i32 s54, 0, s34
	v_mov_b32_e32 v11, v2
	v_mul_f32_e32 v3, 0x4f7ffffe, v3
	v_cvt_u32_f32_e32 v3, v3
	v_mul_lo_u32 v5, s54, v3
	v_mul_hi_u32 v5, v3, v5
	v_add_u32_e32 v3, v3, v5
	v_mul_hi_u32 v3, v4, v3
	v_mul_lo_u32 v5, v3, s34
	v_sub_u32_e32 v4, v4, v5
	v_add_u32_e32 v10, 1, v3
	v_subrev_u32_e32 v5, s34, v4
	v_cmp_le_u32_e32 vcc, s34, v4
	v_cndmask_b32_e32 v4, v4, v5, vcc
	v_cndmask_b32_e32 v3, v3, v10, vcc
	v_add_u32_e32 v5, 1, v3
	v_cmp_le_u32_e32 vcc, s34, v4
	v_cndmask_b32_e32 v10, v3, v5, vcc
.LBB63_51:                              ;   in Loop: Header=BB63_3 Depth=1
	s_or_b64 exec, exec, s[0:1]
	v_mul_lo_u32 v3, v11, s34
	v_mul_lo_u32 v14, v10, s35
	v_mad_u64_u32 v[4:5], s[0:1], v10, s34, 0
	v_add3_u32 v3, v5, v14, v3
	v_sub_co_u32_e32 v4, vcc, v16, v4
	v_subb_co_u32_e32 v3, vcc, v31, v3, vcc
	v_add_co_u32_e32 v4, vcc, v0, v4
	v_addc_co_u32_e32 v3, vcc, v1, v3, vcc
	v_mul_lo_u32 v3, v3, s18
	v_mul_lo_u32 v14, v4, s19
	v_mad_u64_u32 v[4:5], s[0:1], v4, s18, 0
	v_add3_u32 v5, v5, v14, v3
	v_mul_lo_u32 v3, v11, s16
	v_mul_lo_u32 v14, v10, s17
	v_mad_u64_u32 v[10:11], s[0:1], v10, s16, 0
	v_add3_u32 v11, v11, v14, v3
	v_lshlrev_b64 v[10:11], 1, v[10:11]
	v_mov_b32_e32 v3, s31
	v_add_co_u32_e32 v10, vcc, s30, v10
	v_addc_co_u32_e32 v3, vcc, v3, v11, vcc
	v_lshlrev_b64 v[4:5], 1, v[4:5]
	v_add_co_u32_e32 v4, vcc, v10, v4
	v_addc_co_u32_e32 v5, vcc, v3, v5, vcc
	v_or_b32_e32 v3, s35, v13
	v_cmp_ne_u64_e32 vcc, 0, v[2:3]
	global_store_short v[4:5], v30, off
                                        ; implicit-def: $vgpr4_vgpr5
	s_and_saveexec_b64 s[0:1], vcc
	s_xor_b64 s[54:55], exec, s[0:1]
	s_cbranch_execz .LBB63_53
; %bb.52:                               ;   in Loop: Header=BB63_3 Depth=1
	s_ashr_i32 s56, s35, 31
	s_add_u32 s0, s34, s56
	s_mov_b32 s57, s56
	s_addc_u32 s1, s35, s56
	s_xor_b64 s[58:59], s[0:1], s[56:57]
	v_cvt_f32_u32_e32 v3, s58
	v_cvt_f32_u32_e32 v4, s59
	s_sub_u32 s0, 0, s58
	s_subb_u32 s1, 0, s59
                                        ; implicit-def: $vgpr22
	v_mac_f32_e32 v3, 0x4f800000, v4
	v_rcp_f32_e32 v3, v3
	v_mul_f32_e32 v3, 0x5f7ffffc, v3
	v_mul_f32_e32 v4, 0x2f800000, v3
	v_trunc_f32_e32 v4, v4
	v_mac_f32_e32 v3, 0xcf800000, v4
	v_cvt_u32_f32_e32 v4, v4
	v_cvt_u32_f32_e32 v3, v3
	v_mul_lo_u32 v5, s0, v4
	v_mul_hi_u32 v11, s0, v3
	v_mul_lo_u32 v10, s1, v3
	v_add_u32_e32 v5, v11, v5
	v_mul_lo_u32 v14, s0, v3
	v_add_u32_e32 v5, v5, v10
	v_mul_lo_u32 v11, v3, v5
	v_mul_hi_u32 v15, v3, v14
	v_mul_hi_u32 v10, v3, v5
	v_add_co_u32_e32 v11, vcc, v15, v11
	v_addc_co_u32_e32 v10, vcc, 0, v10, vcc
	v_mul_hi_u32 v16, v4, v14
	v_mul_lo_u32 v14, v4, v14
	v_add_co_u32_e32 v11, vcc, v11, v14
	v_mul_hi_u32 v15, v4, v5
	v_addc_co_u32_e32 v10, vcc, v10, v16, vcc
	v_addc_co_u32_e32 v11, vcc, 0, v15, vcc
	v_mul_lo_u32 v5, v4, v5
	v_add_co_u32_e32 v5, vcc, v10, v5
	v_addc_co_u32_e32 v10, vcc, 0, v11, vcc
	v_add_co_u32_e32 v3, vcc, v3, v5
	v_addc_co_u32_e32 v4, vcc, v4, v10, vcc
	v_mul_lo_u32 v5, s0, v4
	v_mul_hi_u32 v10, s0, v3
	v_add_u32_e32 v5, v10, v5
	v_mul_lo_u32 v10, s1, v3
	v_add_u32_e32 v5, v5, v10
	v_mul_lo_u32 v11, s0, v3
	v_mul_hi_u32 v14, v4, v11
	v_mul_lo_u32 v15, v4, v11
	v_mul_lo_u32 v20, v3, v5
	v_mul_hi_u32 v11, v3, v11
	v_mul_hi_u32 v16, v3, v5
	v_add_co_u32_e32 v11, vcc, v11, v20
	v_addc_co_u32_e32 v16, vcc, 0, v16, vcc
	v_add_co_u32_e32 v11, vcc, v11, v15
	v_mul_hi_u32 v10, v4, v5
	v_addc_co_u32_e32 v11, vcc, v16, v14, vcc
	v_addc_co_u32_e32 v10, vcc, 0, v10, vcc
	v_mul_lo_u32 v5, v4, v5
	v_add_co_u32_e32 v5, vcc, v11, v5
	v_addc_co_u32_e32 v10, vcc, 0, v10, vcc
	v_add_co_u32_e32 v3, vcc, v3, v5
	v_addc_co_u32_e32 v10, vcc, v4, v10, vcc
	v_add_co_u32_e32 v4, vcc, v12, v17
	v_addc_co_u32_e32 v5, vcc, v13, v17, vcc
	v_xor_b32_e32 v13, v4, v17
	v_xor_b32_e32 v12, v5, v17
	v_mad_u64_u32 v[4:5], s[0:1], v13, v10, 0
	v_mul_hi_u32 v11, v13, v3
	v_add_co_u32_e32 v14, vcc, v11, v4
	v_addc_co_u32_e32 v15, vcc, 0, v5, vcc
	v_mad_u64_u32 v[4:5], s[0:1], v12, v10, 0
	v_mad_u64_u32 v[10:11], s[0:1], v12, v3, 0
	v_add_co_u32_e32 v3, vcc, v14, v10
	v_addc_co_u32_e32 v3, vcc, v15, v11, vcc
	v_addc_co_u32_e32 v5, vcc, 0, v5, vcc
	v_add_co_u32_e32 v3, vcc, v3, v4
	v_addc_co_u32_e32 v10, vcc, 0, v5, vcc
	v_mul_lo_u32 v11, s59, v3
	v_mul_lo_u32 v14, s58, v10
	v_mad_u64_u32 v[4:5], s[0:1], s58, v3, 0
	v_add3_u32 v5, v5, v14, v11
	v_sub_u32_e32 v11, v12, v5
	v_mov_b32_e32 v14, s59
	v_sub_co_u32_e32 v4, vcc, v13, v4
	v_subb_co_u32_e64 v11, s[0:1], v11, v14, vcc
	v_subrev_co_u32_e64 v13, s[0:1], s58, v4
	v_subbrev_co_u32_e64 v11, s[0:1], 0, v11, s[0:1]
	v_cmp_le_u32_e64 s[0:1], s59, v11
	v_cndmask_b32_e64 v14, 0, -1, s[0:1]
	v_cmp_le_u32_e64 s[0:1], s58, v13
	v_cndmask_b32_e64 v13, 0, -1, s[0:1]
	v_cmp_eq_u32_e64 s[0:1], s59, v11
	v_cndmask_b32_e64 v11, v14, v13, s[0:1]
	v_add_co_u32_e64 v13, s[0:1], 2, v3
	v_subb_co_u32_e32 v5, vcc, v12, v5, vcc
	v_addc_co_u32_e64 v14, s[0:1], 0, v10, s[0:1]
	v_cmp_le_u32_e32 vcc, s59, v5
	v_add_co_u32_e64 v15, s[0:1], 1, v3
	v_cndmask_b32_e64 v12, 0, -1, vcc
	v_cmp_le_u32_e32 vcc, s58, v4
	v_addc_co_u32_e64 v16, s[0:1], 0, v10, s[0:1]
	v_cndmask_b32_e64 v4, 0, -1, vcc
	v_cmp_eq_u32_e32 vcc, s59, v5
	v_cmp_ne_u32_e64 s[0:1], 0, v11
	v_cndmask_b32_e32 v4, v12, v4, vcc
	v_cmp_ne_u32_e32 vcc, 0, v4
	v_cndmask_b32_e64 v5, v15, v13, s[0:1]
	v_cndmask_b32_e64 v11, v16, v14, s[0:1]
	v_cndmask_b32_e32 v3, v3, v5, vcc
	v_xor_b32_e32 v5, s56, v17
	v_cndmask_b32_e32 v4, v10, v11, vcc
	v_xor_b32_e32 v3, v3, v5
	v_xor_b32_e32 v10, v4, v5
	v_sub_co_u32_e32 v4, vcc, v3, v5
	v_subb_co_u32_e32 v5, vcc, v10, v5, vcc
                                        ; implicit-def: $vgpr12_vgpr13
.LBB63_53:                              ;   in Loop: Header=BB63_3 Depth=1
	s_andn2_saveexec_b64 s[0:1], s[54:55]
	s_cbranch_execz .LBB63_55
; %bb.54:                               ;   in Loop: Header=BB63_3 Depth=1
	v_rcp_iflag_f32_e32 v3, v22
	s_sub_i32 s54, 0, s34
	v_mul_f32_e32 v3, 0x4f7ffffe, v3
	v_cvt_u32_f32_e32 v3, v3
	v_mul_lo_u32 v4, s54, v3
	v_mul_hi_u32 v4, v3, v4
	v_add_u32_e32 v3, v3, v4
	v_mul_hi_u32 v3, v12, v3
	v_mul_lo_u32 v4, v3, s34
	v_sub_u32_e32 v4, v12, v4
	v_add_u32_e32 v5, 1, v3
	v_subrev_u32_e32 v10, s34, v4
	v_cmp_le_u32_e32 vcc, s34, v4
	v_cndmask_b32_e32 v4, v4, v10, vcc
	v_cndmask_b32_e32 v3, v3, v5, vcc
	v_add_u32_e32 v5, 1, v3
	v_cmp_le_u32_e32 vcc, s34, v4
	v_cndmask_b32_e32 v4, v3, v5, vcc
	v_mov_b32_e32 v5, v2
.LBB63_55:                              ;   in Loop: Header=BB63_3 Depth=1
	s_or_b64 exec, exec, s[0:1]
	v_mul_f32_e32 v3, v8, v9
	v_bfe_u32 v8, v3, 16, 1
	v_add3_u32 v8, v3, v8, s65
	v_lshrrev_b32_e32 v8, 16, v8
	v_cmp_o_f32_e32 vcc, v3, v3
	v_cndmask_b32_e32 v3, v25, v8, vcc
	v_mul_lo_u32 v10, v5, s34
	v_mul_lo_u32 v11, v4, s35
	v_mad_u64_u32 v[8:9], s[0:1], v4, s34, 0
	v_add3_u32 v9, v9, v11, v10
	v_sub_co_u32_e32 v8, vcc, v18, v8
	v_subb_co_u32_e32 v9, vcc, v19, v9, vcc
	v_add_co_u32_e32 v8, vcc, v0, v8
	v_addc_co_u32_e32 v9, vcc, v1, v9, vcc
	v_mul_lo_u32 v10, v9, s18
	v_mul_lo_u32 v11, v8, s19
	v_mad_u64_u32 v[8:9], s[0:1], v8, s18, 0
	v_add3_u32 v9, v9, v11, v10
	v_mul_lo_u32 v10, v5, s16
	v_mul_lo_u32 v11, v4, s17
	v_mad_u64_u32 v[4:5], s[0:1], v4, s16, 0
	v_add3_u32 v5, v5, v11, v10
	v_lshlrev_b64 v[4:5], 1, v[4:5]
	v_mov_b32_e32 v10, s31
	v_add_co_u32_e32 v11, vcc, s30, v4
	v_addc_co_u32_e32 v10, vcc, v10, v5, vcc
	v_lshlrev_b64 v[4:5], 1, v[8:9]
	v_add_co_u32_e32 v4, vcc, v11, v4
	v_addc_co_u32_e32 v5, vcc, v10, v5, vcc
	global_store_short v[4:5], v3, off
	v_or_b32_e32 v3, s43, v1
	v_cmp_ne_u64_e32 vcc, 0, v[2:3]
                                        ; implicit-def: $vgpr4_vgpr5
	s_and_saveexec_b64 s[0:1], vcc
	s_xor_b64 s[54:55], exec, s[0:1]
	s_cbranch_execz .LBB63_57
; %bb.56:                               ;   in Loop: Header=BB63_3 Depth=1
	s_ashr_i32 s56, s43, 31
	s_add_u32 s0, s42, s56
	s_mov_b32 s57, s56
	s_addc_u32 s1, s43, s56
	s_xor_b64 s[58:59], s[0:1], s[56:57]
	v_cvt_f32_u32_e32 v3, s58
	v_cvt_f32_u32_e32 v4, s59
	s_sub_u32 s0, 0, s58
	s_subb_u32 s1, 0, s59
	v_mac_f32_e32 v3, 0x4f800000, v4
	v_rcp_f32_e32 v3, v3
	v_mul_f32_e32 v3, 0x5f7ffffc, v3
	v_mul_f32_e32 v4, 0x2f800000, v3
	v_trunc_f32_e32 v4, v4
	v_mac_f32_e32 v3, 0xcf800000, v4
	v_cvt_u32_f32_e32 v4, v4
	v_cvt_u32_f32_e32 v3, v3
	v_mul_lo_u32 v5, s0, v4
	v_mul_hi_u32 v9, s0, v3
	v_mul_lo_u32 v8, s1, v3
	v_add_u32_e32 v5, v9, v5
	v_mul_lo_u32 v10, s0, v3
	v_add_u32_e32 v5, v5, v8
	v_mul_lo_u32 v9, v3, v5
	v_mul_hi_u32 v11, v3, v10
	v_mul_hi_u32 v8, v3, v5
	v_add_co_u32_e32 v9, vcc, v11, v9
	v_addc_co_u32_e32 v8, vcc, 0, v8, vcc
	v_mul_hi_u32 v12, v4, v10
	v_mul_lo_u32 v10, v4, v10
	v_add_co_u32_e32 v9, vcc, v9, v10
	v_mul_hi_u32 v11, v4, v5
	v_addc_co_u32_e32 v8, vcc, v8, v12, vcc
	v_addc_co_u32_e32 v9, vcc, 0, v11, vcc
	v_mul_lo_u32 v5, v4, v5
	v_add_co_u32_e32 v5, vcc, v8, v5
	v_addc_co_u32_e32 v8, vcc, 0, v9, vcc
	v_add_co_u32_e32 v3, vcc, v3, v5
	v_addc_co_u32_e32 v4, vcc, v4, v8, vcc
	v_mul_lo_u32 v5, s0, v4
	v_mul_hi_u32 v8, s0, v3
	v_add_u32_e32 v5, v8, v5
	v_mul_lo_u32 v8, s1, v3
	v_add_u32_e32 v5, v5, v8
	v_mul_lo_u32 v9, s0, v3
	v_mul_hi_u32 v10, v4, v9
	v_mul_lo_u32 v11, v4, v9
	v_mul_lo_u32 v13, v3, v5
	v_mul_hi_u32 v9, v3, v9
	v_mul_hi_u32 v12, v3, v5
	v_add_co_u32_e32 v9, vcc, v9, v13
	v_addc_co_u32_e32 v12, vcc, 0, v12, vcc
	v_add_co_u32_e32 v9, vcc, v9, v11
	v_mul_hi_u32 v8, v4, v5
	v_addc_co_u32_e32 v9, vcc, v12, v10, vcc
	v_addc_co_u32_e32 v8, vcc, 0, v8, vcc
	v_mul_lo_u32 v5, v4, v5
	v_add_co_u32_e32 v5, vcc, v9, v5
	v_addc_co_u32_e32 v8, vcc, 0, v8, vcc
	v_add_co_u32_e32 v3, vcc, v3, v5
	v_addc_co_u32_e32 v8, vcc, v4, v8, vcc
	;; [unrolled: 2-line block ×3, first 2 shown]
	v_xor_b32_e32 v11, v4, v26
	v_xor_b32_e32 v10, v5, v26
	v_mad_u64_u32 v[4:5], s[0:1], v11, v8, 0
	v_mul_hi_u32 v9, v11, v3
	v_add_co_u32_e32 v12, vcc, v9, v4
	v_addc_co_u32_e32 v13, vcc, 0, v5, vcc
	v_mad_u64_u32 v[4:5], s[0:1], v10, v8, 0
	v_mad_u64_u32 v[8:9], s[0:1], v10, v3, 0
	v_add_co_u32_e32 v3, vcc, v12, v8
	v_addc_co_u32_e32 v3, vcc, v13, v9, vcc
	v_addc_co_u32_e32 v5, vcc, 0, v5, vcc
	v_add_co_u32_e32 v3, vcc, v3, v4
	v_addc_co_u32_e32 v8, vcc, 0, v5, vcc
	v_mul_lo_u32 v9, s59, v3
	v_mul_lo_u32 v12, s58, v8
	v_mad_u64_u32 v[4:5], s[0:1], s58, v3, 0
	v_add3_u32 v5, v5, v12, v9
	v_sub_u32_e32 v9, v10, v5
	v_mov_b32_e32 v12, s59
	v_sub_co_u32_e32 v4, vcc, v11, v4
	v_subb_co_u32_e64 v9, s[0:1], v9, v12, vcc
	v_subrev_co_u32_e64 v11, s[0:1], s58, v4
	v_subbrev_co_u32_e64 v9, s[0:1], 0, v9, s[0:1]
	v_cmp_le_u32_e64 s[0:1], s59, v9
	v_cndmask_b32_e64 v12, 0, -1, s[0:1]
	v_cmp_le_u32_e64 s[0:1], s58, v11
	v_cndmask_b32_e64 v11, 0, -1, s[0:1]
	v_cmp_eq_u32_e64 s[0:1], s59, v9
	v_cndmask_b32_e64 v9, v12, v11, s[0:1]
	v_add_co_u32_e64 v11, s[0:1], 2, v3
	v_subb_co_u32_e32 v5, vcc, v10, v5, vcc
	v_addc_co_u32_e64 v12, s[0:1], 0, v8, s[0:1]
	v_cmp_le_u32_e32 vcc, s59, v5
	v_add_co_u32_e64 v13, s[0:1], 1, v3
	v_cndmask_b32_e64 v10, 0, -1, vcc
	v_cmp_le_u32_e32 vcc, s58, v4
	v_addc_co_u32_e64 v14, s[0:1], 0, v8, s[0:1]
	v_cndmask_b32_e64 v4, 0, -1, vcc
	v_cmp_eq_u32_e32 vcc, s59, v5
	v_cmp_ne_u32_e64 s[0:1], 0, v9
	v_cndmask_b32_e32 v4, v10, v4, vcc
	v_cmp_ne_u32_e32 vcc, 0, v4
	v_cndmask_b32_e64 v5, v13, v11, s[0:1]
	v_cndmask_b32_e64 v9, v14, v12, s[0:1]
	v_cndmask_b32_e32 v3, v3, v5, vcc
	v_xor_b32_e32 v5, s56, v26
	v_cndmask_b32_e32 v4, v8, v9, vcc
	v_xor_b32_e32 v3, v3, v5
	v_xor_b32_e32 v8, v4, v5
	v_sub_co_u32_e32 v4, vcc, v3, v5
	v_subb_co_u32_e32 v5, vcc, v8, v5, vcc
.LBB63_57:                              ;   in Loop: Header=BB63_3 Depth=1
	s_andn2_saveexec_b64 s[0:1], s[54:55]
	s_cbranch_execz .LBB63_2
; %bb.58:                               ;   in Loop: Header=BB63_3 Depth=1
	v_cvt_f32_u32_e32 v3, s42
	s_sub_i32 s54, 0, s42
	v_rcp_iflag_f32_e32 v3, v3
	v_mul_f32_e32 v3, 0x4f7ffffe, v3
	v_cvt_u32_f32_e32 v3, v3
	v_mul_lo_u32 v4, s54, v3
	v_mul_hi_u32 v4, v3, v4
	v_add_u32_e32 v3, v3, v4
	v_mul_hi_u32 v3, v0, v3
	v_mul_lo_u32 v4, v3, s42
	v_sub_u32_e32 v4, v0, v4
	v_add_u32_e32 v5, 1, v3
	v_subrev_u32_e32 v8, s42, v4
	v_cmp_le_u32_e32 vcc, s42, v4
	v_cndmask_b32_e32 v4, v4, v8, vcc
	v_cndmask_b32_e32 v3, v3, v5, vcc
	v_add_u32_e32 v5, 1, v3
	v_cmp_le_u32_e32 vcc, s42, v4
	v_cndmask_b32_e32 v4, v3, v5, vcc
	v_mov_b32_e32 v5, v2
	s_branch .LBB63_2
.LBB63_59:
	s_endpgm
	.section	.rodata,"a",@progbits
	.p2align	6, 0x0
	.amdhsa_kernel _ZN2at6native12_GLOBAL__N_16kernel17gru_cell_backwardIN3c108BFloat16EflLi2EEEvNS_4cuda6detail10TensorInfoIT_T1_EESB_SB_SB_SB_SA_SA_
		.amdhsa_group_segment_fixed_size 0
		.amdhsa_private_segment_fixed_size 0
		.amdhsa_kernarg_size 2352
		.amdhsa_user_sgpr_count 6
		.amdhsa_user_sgpr_private_segment_buffer 1
		.amdhsa_user_sgpr_dispatch_ptr 0
		.amdhsa_user_sgpr_queue_ptr 0
		.amdhsa_user_sgpr_kernarg_segment_ptr 1
		.amdhsa_user_sgpr_dispatch_id 0
		.amdhsa_user_sgpr_flat_scratch_init 0
		.amdhsa_user_sgpr_kernarg_preload_length 0
		.amdhsa_user_sgpr_kernarg_preload_offset 0
		.amdhsa_user_sgpr_private_segment_size 0
		.amdhsa_uses_dynamic_stack 0
		.amdhsa_system_sgpr_private_segment_wavefront_offset 0
		.amdhsa_system_sgpr_workgroup_id_x 1
		.amdhsa_system_sgpr_workgroup_id_y 0
		.amdhsa_system_sgpr_workgroup_id_z 0
		.amdhsa_system_sgpr_workgroup_info 0
		.amdhsa_system_vgpr_workitem_id 0
		.amdhsa_next_free_vgpr 38
		.amdhsa_next_free_sgpr 66
		.amdhsa_accum_offset 40
		.amdhsa_reserve_vcc 1
		.amdhsa_reserve_flat_scratch 0
		.amdhsa_float_round_mode_32 0
		.amdhsa_float_round_mode_16_64 0
		.amdhsa_float_denorm_mode_32 3
		.amdhsa_float_denorm_mode_16_64 3
		.amdhsa_dx10_clamp 1
		.amdhsa_ieee_mode 1
		.amdhsa_fp16_overflow 0
		.amdhsa_tg_split 0
		.amdhsa_exception_fp_ieee_invalid_op 0
		.amdhsa_exception_fp_denorm_src 0
		.amdhsa_exception_fp_ieee_div_zero 0
		.amdhsa_exception_fp_ieee_overflow 0
		.amdhsa_exception_fp_ieee_underflow 0
		.amdhsa_exception_fp_ieee_inexact 0
		.amdhsa_exception_int_div_zero 0
	.end_amdhsa_kernel
	.section	.text._ZN2at6native12_GLOBAL__N_16kernel17gru_cell_backwardIN3c108BFloat16EflLi2EEEvNS_4cuda6detail10TensorInfoIT_T1_EESB_SB_SB_SB_SA_SA_,"axG",@progbits,_ZN2at6native12_GLOBAL__N_16kernel17gru_cell_backwardIN3c108BFloat16EflLi2EEEvNS_4cuda6detail10TensorInfoIT_T1_EESB_SB_SB_SB_SA_SA_,comdat
.Lfunc_end63:
	.size	_ZN2at6native12_GLOBAL__N_16kernel17gru_cell_backwardIN3c108BFloat16EflLi2EEEvNS_4cuda6detail10TensorInfoIT_T1_EESB_SB_SB_SB_SA_SA_, .Lfunc_end63-_ZN2at6native12_GLOBAL__N_16kernel17gru_cell_backwardIN3c108BFloat16EflLi2EEEvNS_4cuda6detail10TensorInfoIT_T1_EESB_SB_SB_SB_SA_SA_
                                        ; -- End function
	.section	.AMDGPU.csdata,"",@progbits
; Kernel info:
; codeLenInByte = 14152
; NumSgprs: 70
; NumVgprs: 38
; NumAgprs: 0
; TotalNumVgprs: 38
; ScratchSize: 0
; MemoryBound: 0
; FloatMode: 240
; IeeeMode: 1
; LDSByteSize: 0 bytes/workgroup (compile time only)
; SGPRBlocks: 8
; VGPRBlocks: 4
; NumSGPRsForWavesPerEU: 70
; NumVGPRsForWavesPerEU: 38
; AccumOffset: 40
; Occupancy: 8
; WaveLimiterHint : 1
; COMPUTE_PGM_RSRC2:SCRATCH_EN: 0
; COMPUTE_PGM_RSRC2:USER_SGPR: 6
; COMPUTE_PGM_RSRC2:TRAP_HANDLER: 0
; COMPUTE_PGM_RSRC2:TGID_X_EN: 1
; COMPUTE_PGM_RSRC2:TGID_Y_EN: 0
; COMPUTE_PGM_RSRC2:TGID_Z_EN: 0
; COMPUTE_PGM_RSRC2:TIDIG_COMP_CNT: 0
; COMPUTE_PGM_RSRC3_GFX90A:ACCUM_OFFSET: 9
; COMPUTE_PGM_RSRC3_GFX90A:TG_SPLIT: 0
	.text
	.p2alignl 6, 3212836864
	.fill 256, 4, 3212836864
	.type	__hip_cuid_8352113d27a28b3,@object ; @__hip_cuid_8352113d27a28b3
	.section	.bss,"aw",@nobits
	.globl	__hip_cuid_8352113d27a28b3
__hip_cuid_8352113d27a28b3:
	.byte	0                               ; 0x0
	.size	__hip_cuid_8352113d27a28b3, 1

	.ident	"AMD clang version 19.0.0git (https://github.com/RadeonOpenCompute/llvm-project roc-6.4.0 25133 c7fe45cf4b819c5991fe208aaa96edf142730f1d)"
	.section	".note.GNU-stack","",@progbits
	.addrsig
	.addrsig_sym __hip_cuid_8352113d27a28b3
	.amdgpu_metadata
---
amdhsa.kernels:
  - .agpr_count:     0
    .args:
      - .offset:         0
        .size:           216
        .value_kind:     by_value
      - .offset:         216
        .size:           216
        .value_kind:     by_value
      - .offset:         432
        .size:           216
        .value_kind:     by_value
      - .offset:         648
        .size:           216
        .value_kind:     by_value
      - .offset:         864
        .size:           216
        .value_kind:     by_value
      - .offset:         1080
        .size:           216
        .value_kind:     by_value
      - .offset:         1296
        .size:           216
        .value_kind:     by_value
      - .offset:         1512
        .size:           216
        .value_kind:     by_value
      - .offset:         1728
        .size:           4
        .value_kind:     by_value
      - .offset:         1732
        .size:           4
        .value_kind:     by_value
      - .offset:         1736
        .size:           4
        .value_kind:     hidden_block_count_x
      - .offset:         1740
        .size:           4
        .value_kind:     hidden_block_count_y
      - .offset:         1744
        .size:           4
        .value_kind:     hidden_block_count_z
      - .offset:         1748
        .size:           2
        .value_kind:     hidden_group_size_x
      - .offset:         1750
        .size:           2
        .value_kind:     hidden_group_size_y
      - .offset:         1752
        .size:           2
        .value_kind:     hidden_group_size_z
      - .offset:         1754
        .size:           2
        .value_kind:     hidden_remainder_x
      - .offset:         1756
        .size:           2
        .value_kind:     hidden_remainder_y
      - .offset:         1758
        .size:           2
        .value_kind:     hidden_remainder_z
      - .offset:         1776
        .size:           8
        .value_kind:     hidden_global_offset_x
      - .offset:         1784
        .size:           8
        .value_kind:     hidden_global_offset_y
      - .offset:         1792
        .size:           8
        .value_kind:     hidden_global_offset_z
      - .offset:         1800
        .size:           2
        .value_kind:     hidden_grid_dims
    .group_segment_fixed_size: 0
    .kernarg_segment_align: 8
    .kernarg_segment_size: 1992
    .language:       OpenCL C
    .language_version:
      - 2
      - 0
    .max_flat_workgroup_size: 512
    .name:           _ZN2at6native12_GLOBAL__N_16kernel17lstm_cell_forwardIddiLi1EEEvNS_4cuda6detail10TensorInfoIT_T1_EES9_S9_S9_S9_S9_S9_S9_S8_S8_
    .private_segment_fixed_size: 0
    .sgpr_count:     84
    .sgpr_spill_count: 0
    .symbol:         _ZN2at6native12_GLOBAL__N_16kernel17lstm_cell_forwardIddiLi1EEEvNS_4cuda6detail10TensorInfoIT_T1_EES9_S9_S9_S9_S9_S9_S9_S8_S8_.kd
    .uniform_work_group_size: 1
    .uses_dynamic_stack: false
    .vgpr_count:     64
    .vgpr_spill_count: 0
    .wavefront_size: 64
  - .agpr_count:     0
    .args:
      - .offset:         0
        .size:           216
        .value_kind:     by_value
      - .offset:         216
        .size:           216
        .value_kind:     by_value
      - .offset:         432
        .size:           216
        .value_kind:     by_value
      - .offset:         648
        .size:           216
        .value_kind:     by_value
      - .offset:         864
        .size:           216
        .value_kind:     by_value
      - .offset:         1080
        .size:           216
        .value_kind:     by_value
      - .offset:         1296
        .size:           216
        .value_kind:     by_value
      - .offset:         1512
        .size:           216
        .value_kind:     by_value
      - .offset:         1728
        .size:           4
        .value_kind:     by_value
      - .offset:         1732
        .size:           4
        .value_kind:     by_value
      - .offset:         1736
        .size:           4
        .value_kind:     hidden_block_count_x
      - .offset:         1740
        .size:           4
        .value_kind:     hidden_block_count_y
      - .offset:         1744
        .size:           4
        .value_kind:     hidden_block_count_z
      - .offset:         1748
        .size:           2
        .value_kind:     hidden_group_size_x
      - .offset:         1750
        .size:           2
        .value_kind:     hidden_group_size_y
      - .offset:         1752
        .size:           2
        .value_kind:     hidden_group_size_z
      - .offset:         1754
        .size:           2
        .value_kind:     hidden_remainder_x
      - .offset:         1756
        .size:           2
        .value_kind:     hidden_remainder_y
      - .offset:         1758
        .size:           2
        .value_kind:     hidden_remainder_z
      - .offset:         1776
        .size:           8
        .value_kind:     hidden_global_offset_x
      - .offset:         1784
        .size:           8
        .value_kind:     hidden_global_offset_y
      - .offset:         1792
        .size:           8
        .value_kind:     hidden_global_offset_z
      - .offset:         1800
        .size:           2
        .value_kind:     hidden_grid_dims
    .group_segment_fixed_size: 0
    .kernarg_segment_align: 8
    .kernarg_segment_size: 1992
    .language:       OpenCL C
    .language_version:
      - 2
      - 0
    .max_flat_workgroup_size: 512
    .name:           _ZN2at6native12_GLOBAL__N_16kernel17lstm_cell_forwardIddiLi2EEEvNS_4cuda6detail10TensorInfoIT_T1_EES9_S9_S9_S9_S9_S9_S9_S8_S8_
    .private_segment_fixed_size: 0
    .sgpr_count:     100
    .sgpr_spill_count: 5
    .symbol:         _ZN2at6native12_GLOBAL__N_16kernel17lstm_cell_forwardIddiLi2EEEvNS_4cuda6detail10TensorInfoIT_T1_EES9_S9_S9_S9_S9_S9_S9_S8_S8_.kd
    .uniform_work_group_size: 1
    .uses_dynamic_stack: false
    .vgpr_count:     65
    .vgpr_spill_count: 0
    .wavefront_size: 64
  - .agpr_count:     0
    .args:
      - .offset:         0
        .size:           416
        .value_kind:     by_value
      - .offset:         416
        .size:           416
        .value_kind:     by_value
      - .offset:         832
        .size:           416
        .value_kind:     by_value
      - .offset:         1248
        .size:           416
        .value_kind:     by_value
      - .offset:         1664
        .size:           416
        .value_kind:     by_value
      - .offset:         2080
        .size:           416
        .value_kind:     by_value
      - .offset:         2496
        .size:           416
        .value_kind:     by_value
      - .offset:         2912
        .size:           416
        .value_kind:     by_value
      - .offset:         3328
        .size:           8
        .value_kind:     by_value
      - .offset:         3336
        .size:           8
        .value_kind:     by_value
      - .offset:         3344
        .size:           4
        .value_kind:     hidden_block_count_x
      - .offset:         3348
        .size:           4
        .value_kind:     hidden_block_count_y
      - .offset:         3352
        .size:           4
        .value_kind:     hidden_block_count_z
      - .offset:         3356
        .size:           2
        .value_kind:     hidden_group_size_x
      - .offset:         3358
        .size:           2
        .value_kind:     hidden_group_size_y
      - .offset:         3360
        .size:           2
        .value_kind:     hidden_group_size_z
      - .offset:         3362
        .size:           2
        .value_kind:     hidden_remainder_x
      - .offset:         3364
        .size:           2
        .value_kind:     hidden_remainder_y
      - .offset:         3366
        .size:           2
        .value_kind:     hidden_remainder_z
      - .offset:         3384
        .size:           8
        .value_kind:     hidden_global_offset_x
      - .offset:         3392
        .size:           8
        .value_kind:     hidden_global_offset_y
      - .offset:         3400
        .size:           8
        .value_kind:     hidden_global_offset_z
      - .offset:         3408
        .size:           2
        .value_kind:     hidden_grid_dims
    .group_segment_fixed_size: 0
    .kernarg_segment_align: 8
    .kernarg_segment_size: 3600
    .language:       OpenCL C
    .language_version:
      - 2
      - 0
    .max_flat_workgroup_size: 512
    .name:           _ZN2at6native12_GLOBAL__N_16kernel17lstm_cell_forwardIddlLi1EEEvNS_4cuda6detail10TensorInfoIT_T1_EES9_S9_S9_S9_S9_S9_S9_S8_S8_
    .private_segment_fixed_size: 0
    .sgpr_count:     96
    .sgpr_spill_count: 0
    .symbol:         _ZN2at6native12_GLOBAL__N_16kernel17lstm_cell_forwardIddlLi1EEEvNS_4cuda6detail10TensorInfoIT_T1_EES9_S9_S9_S9_S9_S9_S9_S8_S8_.kd
    .uniform_work_group_size: 1
    .uses_dynamic_stack: false
    .vgpr_count:     60
    .vgpr_spill_count: 0
    .wavefront_size: 64
  - .agpr_count:     0
    .args:
      - .offset:         0
        .size:           416
        .value_kind:     by_value
      - .offset:         416
        .size:           416
        .value_kind:     by_value
      - .offset:         832
        .size:           416
        .value_kind:     by_value
      - .offset:         1248
        .size:           416
        .value_kind:     by_value
      - .offset:         1664
        .size:           416
        .value_kind:     by_value
      - .offset:         2080
        .size:           416
        .value_kind:     by_value
      - .offset:         2496
        .size:           416
        .value_kind:     by_value
      - .offset:         2912
        .size:           416
        .value_kind:     by_value
      - .offset:         3328
        .size:           8
        .value_kind:     by_value
      - .offset:         3336
        .size:           8
        .value_kind:     by_value
      - .offset:         3344
        .size:           4
        .value_kind:     hidden_block_count_x
      - .offset:         3348
        .size:           4
        .value_kind:     hidden_block_count_y
      - .offset:         3352
        .size:           4
        .value_kind:     hidden_block_count_z
      - .offset:         3356
        .size:           2
        .value_kind:     hidden_group_size_x
      - .offset:         3358
        .size:           2
        .value_kind:     hidden_group_size_y
      - .offset:         3360
        .size:           2
        .value_kind:     hidden_group_size_z
      - .offset:         3362
        .size:           2
        .value_kind:     hidden_remainder_x
      - .offset:         3364
        .size:           2
        .value_kind:     hidden_remainder_y
      - .offset:         3366
        .size:           2
        .value_kind:     hidden_remainder_z
      - .offset:         3384
        .size:           8
        .value_kind:     hidden_global_offset_x
      - .offset:         3392
        .size:           8
        .value_kind:     hidden_global_offset_y
      - .offset:         3400
        .size:           8
        .value_kind:     hidden_global_offset_z
      - .offset:         3408
        .size:           2
        .value_kind:     hidden_grid_dims
    .group_segment_fixed_size: 0
    .kernarg_segment_align: 8
    .kernarg_segment_size: 3600
    .language:       OpenCL C
    .language_version:
      - 2
      - 0
    .max_flat_workgroup_size: 512
    .name:           _ZN2at6native12_GLOBAL__N_16kernel17lstm_cell_forwardIddlLi2EEEvNS_4cuda6detail10TensorInfoIT_T1_EES9_S9_S9_S9_S9_S9_S9_S8_S8_
    .private_segment_fixed_size: 0
    .sgpr_count:     100
    .sgpr_spill_count: 21
    .symbol:         _ZN2at6native12_GLOBAL__N_16kernel17lstm_cell_forwardIddlLi2EEEvNS_4cuda6detail10TensorInfoIT_T1_EES9_S9_S9_S9_S9_S9_S9_S8_S8_.kd
    .uniform_work_group_size: 1
    .uses_dynamic_stack: false
    .vgpr_count:     65
    .vgpr_spill_count: 0
    .wavefront_size: 64
  - .agpr_count:     0
    .args:
      - .offset:         0
        .size:           216
        .value_kind:     by_value
      - .offset:         216
        .size:           216
        .value_kind:     by_value
      - .offset:         432
        .size:           216
        .value_kind:     by_value
      - .offset:         648
        .size:           216
        .value_kind:     by_value
      - .offset:         864
        .size:           216
        .value_kind:     by_value
      - .offset:         1080
        .size:           216
        .value_kind:     by_value
      - .offset:         1296
        .size:           216
        .value_kind:     by_value
      - .offset:         1512
        .size:           216
        .value_kind:     by_value
      - .offset:         1728
        .size:           4
        .value_kind:     by_value
      - .offset:         1732
        .size:           4
        .value_kind:     by_value
      - .offset:         1736
        .size:           4
        .value_kind:     hidden_block_count_x
      - .offset:         1740
        .size:           4
        .value_kind:     hidden_block_count_y
      - .offset:         1744
        .size:           4
        .value_kind:     hidden_block_count_z
      - .offset:         1748
        .size:           2
        .value_kind:     hidden_group_size_x
      - .offset:         1750
        .size:           2
        .value_kind:     hidden_group_size_y
      - .offset:         1752
        .size:           2
        .value_kind:     hidden_group_size_z
      - .offset:         1754
        .size:           2
        .value_kind:     hidden_remainder_x
      - .offset:         1756
        .size:           2
        .value_kind:     hidden_remainder_y
      - .offset:         1758
        .size:           2
        .value_kind:     hidden_remainder_z
      - .offset:         1776
        .size:           8
        .value_kind:     hidden_global_offset_x
      - .offset:         1784
        .size:           8
        .value_kind:     hidden_global_offset_y
      - .offset:         1792
        .size:           8
        .value_kind:     hidden_global_offset_z
      - .offset:         1800
        .size:           2
        .value_kind:     hidden_grid_dims
    .group_segment_fixed_size: 0
    .kernarg_segment_align: 8
    .kernarg_segment_size: 1992
    .language:       OpenCL C
    .language_version:
      - 2
      - 0
    .max_flat_workgroup_size: 512
    .name:           _ZN2at6native12_GLOBAL__N_16kernel17lstm_cell_forwardIffiLi1EEEvNS_4cuda6detail10TensorInfoIT_T1_EES9_S9_S9_S9_S9_S9_S9_S8_S8_
    .private_segment_fixed_size: 0
    .sgpr_count:     50
    .sgpr_spill_count: 0
    .symbol:         _ZN2at6native12_GLOBAL__N_16kernel17lstm_cell_forwardIffiLi1EEEvNS_4cuda6detail10TensorInfoIT_T1_EES9_S9_S9_S9_S9_S9_S9_S8_S8_.kd
    .uniform_work_group_size: 1
    .uses_dynamic_stack: false
    .vgpr_count:     46
    .vgpr_spill_count: 0
    .wavefront_size: 64
  - .agpr_count:     0
    .args:
      - .offset:         0
        .size:           216
        .value_kind:     by_value
      - .offset:         216
        .size:           216
        .value_kind:     by_value
      - .offset:         432
        .size:           216
        .value_kind:     by_value
      - .offset:         648
        .size:           216
        .value_kind:     by_value
      - .offset:         864
        .size:           216
        .value_kind:     by_value
      - .offset:         1080
        .size:           216
        .value_kind:     by_value
      - .offset:         1296
        .size:           216
        .value_kind:     by_value
      - .offset:         1512
        .size:           216
        .value_kind:     by_value
      - .offset:         1728
        .size:           4
        .value_kind:     by_value
      - .offset:         1732
        .size:           4
        .value_kind:     by_value
      - .offset:         1736
        .size:           4
        .value_kind:     hidden_block_count_x
      - .offset:         1740
        .size:           4
        .value_kind:     hidden_block_count_y
      - .offset:         1744
        .size:           4
        .value_kind:     hidden_block_count_z
      - .offset:         1748
        .size:           2
        .value_kind:     hidden_group_size_x
      - .offset:         1750
        .size:           2
        .value_kind:     hidden_group_size_y
      - .offset:         1752
        .size:           2
        .value_kind:     hidden_group_size_z
      - .offset:         1754
        .size:           2
        .value_kind:     hidden_remainder_x
      - .offset:         1756
        .size:           2
        .value_kind:     hidden_remainder_y
      - .offset:         1758
        .size:           2
        .value_kind:     hidden_remainder_z
      - .offset:         1776
        .size:           8
        .value_kind:     hidden_global_offset_x
      - .offset:         1784
        .size:           8
        .value_kind:     hidden_global_offset_y
      - .offset:         1792
        .size:           8
        .value_kind:     hidden_global_offset_z
      - .offset:         1800
        .size:           2
        .value_kind:     hidden_grid_dims
    .group_segment_fixed_size: 0
    .kernarg_segment_align: 8
    .kernarg_segment_size: 1992
    .language:       OpenCL C
    .language_version:
      - 2
      - 0
    .max_flat_workgroup_size: 512
    .name:           _ZN2at6native12_GLOBAL__N_16kernel17lstm_cell_forwardIffiLi2EEEvNS_4cuda6detail10TensorInfoIT_T1_EES9_S9_S9_S9_S9_S9_S9_S8_S8_
    .private_segment_fixed_size: 0
    .sgpr_count:     74
    .sgpr_spill_count: 0
    .symbol:         _ZN2at6native12_GLOBAL__N_16kernel17lstm_cell_forwardIffiLi2EEEvNS_4cuda6detail10TensorInfoIT_T1_EES9_S9_S9_S9_S9_S9_S9_S8_S8_.kd
    .uniform_work_group_size: 1
    .uses_dynamic_stack: false
    .vgpr_count:     56
    .vgpr_spill_count: 0
    .wavefront_size: 64
  - .agpr_count:     0
    .args:
      - .offset:         0
        .size:           416
        .value_kind:     by_value
      - .offset:         416
        .size:           416
        .value_kind:     by_value
      - .offset:         832
        .size:           416
        .value_kind:     by_value
      - .offset:         1248
        .size:           416
        .value_kind:     by_value
      - .offset:         1664
        .size:           416
        .value_kind:     by_value
      - .offset:         2080
        .size:           416
        .value_kind:     by_value
      - .offset:         2496
        .size:           416
        .value_kind:     by_value
      - .offset:         2912
        .size:           416
        .value_kind:     by_value
      - .offset:         3328
        .size:           8
        .value_kind:     by_value
      - .offset:         3336
        .size:           8
        .value_kind:     by_value
      - .offset:         3344
        .size:           4
        .value_kind:     hidden_block_count_x
      - .offset:         3348
        .size:           4
        .value_kind:     hidden_block_count_y
      - .offset:         3352
        .size:           4
        .value_kind:     hidden_block_count_z
      - .offset:         3356
        .size:           2
        .value_kind:     hidden_group_size_x
      - .offset:         3358
        .size:           2
        .value_kind:     hidden_group_size_y
      - .offset:         3360
        .size:           2
        .value_kind:     hidden_group_size_z
      - .offset:         3362
        .size:           2
        .value_kind:     hidden_remainder_x
      - .offset:         3364
        .size:           2
        .value_kind:     hidden_remainder_y
      - .offset:         3366
        .size:           2
        .value_kind:     hidden_remainder_z
      - .offset:         3384
        .size:           8
        .value_kind:     hidden_global_offset_x
      - .offset:         3392
        .size:           8
        .value_kind:     hidden_global_offset_y
      - .offset:         3400
        .size:           8
        .value_kind:     hidden_global_offset_z
      - .offset:         3408
        .size:           2
        .value_kind:     hidden_grid_dims
    .group_segment_fixed_size: 0
    .kernarg_segment_align: 8
    .kernarg_segment_size: 3600
    .language:       OpenCL C
    .language_version:
      - 2
      - 0
    .max_flat_workgroup_size: 512
    .name:           _ZN2at6native12_GLOBAL__N_16kernel17lstm_cell_forwardIfflLi1EEEvNS_4cuda6detail10TensorInfoIT_T1_EES9_S9_S9_S9_S9_S9_S9_S8_S8_
    .private_segment_fixed_size: 0
    .sgpr_count:     61
    .sgpr_spill_count: 0
    .symbol:         _ZN2at6native12_GLOBAL__N_16kernel17lstm_cell_forwardIfflLi1EEEvNS_4cuda6detail10TensorInfoIT_T1_EES9_S9_S9_S9_S9_S9_S9_S8_S8_.kd
    .uniform_work_group_size: 1
    .uses_dynamic_stack: false
    .vgpr_count:     49
    .vgpr_spill_count: 0
    .wavefront_size: 64
  - .agpr_count:     0
    .args:
      - .offset:         0
        .size:           416
        .value_kind:     by_value
      - .offset:         416
        .size:           416
        .value_kind:     by_value
      - .offset:         832
        .size:           416
        .value_kind:     by_value
      - .offset:         1248
        .size:           416
        .value_kind:     by_value
      - .offset:         1664
        .size:           416
        .value_kind:     by_value
      - .offset:         2080
        .size:           416
        .value_kind:     by_value
      - .offset:         2496
        .size:           416
        .value_kind:     by_value
      - .offset:         2912
        .size:           416
        .value_kind:     by_value
      - .offset:         3328
        .size:           8
        .value_kind:     by_value
      - .offset:         3336
        .size:           8
        .value_kind:     by_value
      - .offset:         3344
        .size:           4
        .value_kind:     hidden_block_count_x
      - .offset:         3348
        .size:           4
        .value_kind:     hidden_block_count_y
      - .offset:         3352
        .size:           4
        .value_kind:     hidden_block_count_z
      - .offset:         3356
        .size:           2
        .value_kind:     hidden_group_size_x
      - .offset:         3358
        .size:           2
        .value_kind:     hidden_group_size_y
      - .offset:         3360
        .size:           2
        .value_kind:     hidden_group_size_z
      - .offset:         3362
        .size:           2
        .value_kind:     hidden_remainder_x
      - .offset:         3364
        .size:           2
        .value_kind:     hidden_remainder_y
      - .offset:         3366
        .size:           2
        .value_kind:     hidden_remainder_z
      - .offset:         3384
        .size:           8
        .value_kind:     hidden_global_offset_x
      - .offset:         3392
        .size:           8
        .value_kind:     hidden_global_offset_y
      - .offset:         3400
        .size:           8
        .value_kind:     hidden_global_offset_z
      - .offset:         3408
        .size:           2
        .value_kind:     hidden_grid_dims
    .group_segment_fixed_size: 0
    .kernarg_segment_align: 8
    .kernarg_segment_size: 3600
    .language:       OpenCL C
    .language_version:
      - 2
      - 0
    .max_flat_workgroup_size: 512
    .name:           _ZN2at6native12_GLOBAL__N_16kernel17lstm_cell_forwardIfflLi2EEEvNS_4cuda6detail10TensorInfoIT_T1_EES9_S9_S9_S9_S9_S9_S9_S8_S8_
    .private_segment_fixed_size: 0
    .sgpr_count:     97
    .sgpr_spill_count: 0
    .symbol:         _ZN2at6native12_GLOBAL__N_16kernel17lstm_cell_forwardIfflLi2EEEvNS_4cuda6detail10TensorInfoIT_T1_EES9_S9_S9_S9_S9_S9_S9_S8_S8_.kd
    .uniform_work_group_size: 1
    .uses_dynamic_stack: false
    .vgpr_count:     56
    .vgpr_spill_count: 0
    .wavefront_size: 64
  - .agpr_count:     0
    .args:
      - .offset:         0
        .size:           216
        .value_kind:     by_value
      - .offset:         216
        .size:           216
        .value_kind:     by_value
      - .offset:         432
        .size:           216
        .value_kind:     by_value
      - .offset:         648
        .size:           216
        .value_kind:     by_value
      - .offset:         864
        .size:           216
        .value_kind:     by_value
      - .offset:         1080
        .size:           216
        .value_kind:     by_value
      - .offset:         1296
        .size:           216
        .value_kind:     by_value
      - .offset:         1512
        .size:           216
        .value_kind:     by_value
      - .offset:         1728
        .size:           4
        .value_kind:     by_value
      - .offset:         1732
        .size:           4
        .value_kind:     by_value
      - .offset:         1736
        .size:           4
        .value_kind:     hidden_block_count_x
      - .offset:         1740
        .size:           4
        .value_kind:     hidden_block_count_y
      - .offset:         1744
        .size:           4
        .value_kind:     hidden_block_count_z
      - .offset:         1748
        .size:           2
        .value_kind:     hidden_group_size_x
      - .offset:         1750
        .size:           2
        .value_kind:     hidden_group_size_y
      - .offset:         1752
        .size:           2
        .value_kind:     hidden_group_size_z
      - .offset:         1754
        .size:           2
        .value_kind:     hidden_remainder_x
      - .offset:         1756
        .size:           2
        .value_kind:     hidden_remainder_y
      - .offset:         1758
        .size:           2
        .value_kind:     hidden_remainder_z
      - .offset:         1776
        .size:           8
        .value_kind:     hidden_global_offset_x
      - .offset:         1784
        .size:           8
        .value_kind:     hidden_global_offset_y
      - .offset:         1792
        .size:           8
        .value_kind:     hidden_global_offset_z
      - .offset:         1800
        .size:           2
        .value_kind:     hidden_grid_dims
    .group_segment_fixed_size: 0
    .kernarg_segment_align: 8
    .kernarg_segment_size: 1992
    .language:       OpenCL C
    .language_version:
      - 2
      - 0
    .max_flat_workgroup_size: 512
    .name:           _ZN2at6native12_GLOBAL__N_16kernel17lstm_cell_forwardIN3c104HalfEfiLi1EEEvNS_4cuda6detail10TensorInfoIT_T1_EESB_SB_SB_SB_SB_SB_SB_SA_SA_
    .private_segment_fixed_size: 0
    .sgpr_count:     50
    .sgpr_spill_count: 0
    .symbol:         _ZN2at6native12_GLOBAL__N_16kernel17lstm_cell_forwardIN3c104HalfEfiLi1EEEvNS_4cuda6detail10TensorInfoIT_T1_EESB_SB_SB_SB_SB_SB_SB_SA_SA_.kd
    .uniform_work_group_size: 1
    .uses_dynamic_stack: false
    .vgpr_count:     48
    .vgpr_spill_count: 0
    .wavefront_size: 64
  - .agpr_count:     0
    .args:
      - .offset:         0
        .size:           216
        .value_kind:     by_value
      - .offset:         216
        .size:           216
        .value_kind:     by_value
      - .offset:         432
        .size:           216
        .value_kind:     by_value
      - .offset:         648
        .size:           216
        .value_kind:     by_value
      - .offset:         864
        .size:           216
        .value_kind:     by_value
      - .offset:         1080
        .size:           216
        .value_kind:     by_value
      - .offset:         1296
        .size:           216
        .value_kind:     by_value
      - .offset:         1512
        .size:           216
        .value_kind:     by_value
      - .offset:         1728
        .size:           4
        .value_kind:     by_value
      - .offset:         1732
        .size:           4
        .value_kind:     by_value
      - .offset:         1736
        .size:           4
        .value_kind:     hidden_block_count_x
      - .offset:         1740
        .size:           4
        .value_kind:     hidden_block_count_y
      - .offset:         1744
        .size:           4
        .value_kind:     hidden_block_count_z
      - .offset:         1748
        .size:           2
        .value_kind:     hidden_group_size_x
      - .offset:         1750
        .size:           2
        .value_kind:     hidden_group_size_y
      - .offset:         1752
        .size:           2
        .value_kind:     hidden_group_size_z
      - .offset:         1754
        .size:           2
        .value_kind:     hidden_remainder_x
      - .offset:         1756
        .size:           2
        .value_kind:     hidden_remainder_y
      - .offset:         1758
        .size:           2
        .value_kind:     hidden_remainder_z
      - .offset:         1776
        .size:           8
        .value_kind:     hidden_global_offset_x
      - .offset:         1784
        .size:           8
        .value_kind:     hidden_global_offset_y
      - .offset:         1792
        .size:           8
        .value_kind:     hidden_global_offset_z
      - .offset:         1800
        .size:           2
        .value_kind:     hidden_grid_dims
    .group_segment_fixed_size: 0
    .kernarg_segment_align: 8
    .kernarg_segment_size: 1992
    .language:       OpenCL C
    .language_version:
      - 2
      - 0
    .max_flat_workgroup_size: 512
    .name:           _ZN2at6native12_GLOBAL__N_16kernel17lstm_cell_forwardIN3c104HalfEfiLi2EEEvNS_4cuda6detail10TensorInfoIT_T1_EESB_SB_SB_SB_SB_SB_SB_SA_SA_
    .private_segment_fixed_size: 0
    .sgpr_count:     74
    .sgpr_spill_count: 0
    .symbol:         _ZN2at6native12_GLOBAL__N_16kernel17lstm_cell_forwardIN3c104HalfEfiLi2EEEvNS_4cuda6detail10TensorInfoIT_T1_EESB_SB_SB_SB_SB_SB_SB_SA_SA_.kd
    .uniform_work_group_size: 1
    .uses_dynamic_stack: false
    .vgpr_count:     56
    .vgpr_spill_count: 0
    .wavefront_size: 64
  - .agpr_count:     0
    .args:
      - .offset:         0
        .size:           416
        .value_kind:     by_value
      - .offset:         416
        .size:           416
        .value_kind:     by_value
      - .offset:         832
        .size:           416
        .value_kind:     by_value
      - .offset:         1248
        .size:           416
        .value_kind:     by_value
      - .offset:         1664
        .size:           416
        .value_kind:     by_value
      - .offset:         2080
        .size:           416
        .value_kind:     by_value
      - .offset:         2496
        .size:           416
        .value_kind:     by_value
      - .offset:         2912
        .size:           416
        .value_kind:     by_value
      - .offset:         3328
        .size:           8
        .value_kind:     by_value
      - .offset:         3336
        .size:           8
        .value_kind:     by_value
      - .offset:         3344
        .size:           4
        .value_kind:     hidden_block_count_x
      - .offset:         3348
        .size:           4
        .value_kind:     hidden_block_count_y
      - .offset:         3352
        .size:           4
        .value_kind:     hidden_block_count_z
      - .offset:         3356
        .size:           2
        .value_kind:     hidden_group_size_x
      - .offset:         3358
        .size:           2
        .value_kind:     hidden_group_size_y
      - .offset:         3360
        .size:           2
        .value_kind:     hidden_group_size_z
      - .offset:         3362
        .size:           2
        .value_kind:     hidden_remainder_x
      - .offset:         3364
        .size:           2
        .value_kind:     hidden_remainder_y
      - .offset:         3366
        .size:           2
        .value_kind:     hidden_remainder_z
      - .offset:         3384
        .size:           8
        .value_kind:     hidden_global_offset_x
      - .offset:         3392
        .size:           8
        .value_kind:     hidden_global_offset_y
      - .offset:         3400
        .size:           8
        .value_kind:     hidden_global_offset_z
      - .offset:         3408
        .size:           2
        .value_kind:     hidden_grid_dims
    .group_segment_fixed_size: 0
    .kernarg_segment_align: 8
    .kernarg_segment_size: 3600
    .language:       OpenCL C
    .language_version:
      - 2
      - 0
    .max_flat_workgroup_size: 512
    .name:           _ZN2at6native12_GLOBAL__N_16kernel17lstm_cell_forwardIN3c104HalfEflLi1EEEvNS_4cuda6detail10TensorInfoIT_T1_EESB_SB_SB_SB_SB_SB_SB_SA_SA_
    .private_segment_fixed_size: 0
    .sgpr_count:     61
    .sgpr_spill_count: 0
    .symbol:         _ZN2at6native12_GLOBAL__N_16kernel17lstm_cell_forwardIN3c104HalfEflLi1EEEvNS_4cuda6detail10TensorInfoIT_T1_EESB_SB_SB_SB_SB_SB_SB_SA_SA_.kd
    .uniform_work_group_size: 1
    .uses_dynamic_stack: false
    .vgpr_count:     50
    .vgpr_spill_count: 0
    .wavefront_size: 64
  - .agpr_count:     0
    .args:
      - .offset:         0
        .size:           416
        .value_kind:     by_value
      - .offset:         416
        .size:           416
        .value_kind:     by_value
      - .offset:         832
        .size:           416
        .value_kind:     by_value
      - .offset:         1248
        .size:           416
        .value_kind:     by_value
      - .offset:         1664
        .size:           416
        .value_kind:     by_value
      - .offset:         2080
        .size:           416
        .value_kind:     by_value
      - .offset:         2496
        .size:           416
        .value_kind:     by_value
      - .offset:         2912
        .size:           416
        .value_kind:     by_value
      - .offset:         3328
        .size:           8
        .value_kind:     by_value
      - .offset:         3336
        .size:           8
        .value_kind:     by_value
      - .offset:         3344
        .size:           4
        .value_kind:     hidden_block_count_x
      - .offset:         3348
        .size:           4
        .value_kind:     hidden_block_count_y
      - .offset:         3352
        .size:           4
        .value_kind:     hidden_block_count_z
      - .offset:         3356
        .size:           2
        .value_kind:     hidden_group_size_x
      - .offset:         3358
        .size:           2
        .value_kind:     hidden_group_size_y
      - .offset:         3360
        .size:           2
        .value_kind:     hidden_group_size_z
      - .offset:         3362
        .size:           2
        .value_kind:     hidden_remainder_x
      - .offset:         3364
        .size:           2
        .value_kind:     hidden_remainder_y
      - .offset:         3366
        .size:           2
        .value_kind:     hidden_remainder_z
      - .offset:         3384
        .size:           8
        .value_kind:     hidden_global_offset_x
      - .offset:         3392
        .size:           8
        .value_kind:     hidden_global_offset_y
      - .offset:         3400
        .size:           8
        .value_kind:     hidden_global_offset_z
      - .offset:         3408
        .size:           2
        .value_kind:     hidden_grid_dims
    .group_segment_fixed_size: 0
    .kernarg_segment_align: 8
    .kernarg_segment_size: 3600
    .language:       OpenCL C
    .language_version:
      - 2
      - 0
    .max_flat_workgroup_size: 512
    .name:           _ZN2at6native12_GLOBAL__N_16kernel17lstm_cell_forwardIN3c104HalfEflLi2EEEvNS_4cuda6detail10TensorInfoIT_T1_EESB_SB_SB_SB_SB_SB_SB_SA_SA_
    .private_segment_fixed_size: 0
    .sgpr_count:     97
    .sgpr_spill_count: 0
    .symbol:         _ZN2at6native12_GLOBAL__N_16kernel17lstm_cell_forwardIN3c104HalfEflLi2EEEvNS_4cuda6detail10TensorInfoIT_T1_EESB_SB_SB_SB_SB_SB_SB_SA_SA_.kd
    .uniform_work_group_size: 1
    .uses_dynamic_stack: false
    .vgpr_count:     56
    .vgpr_spill_count: 0
    .wavefront_size: 64
  - .agpr_count:     0
    .args:
      - .offset:         0
        .size:           216
        .value_kind:     by_value
      - .offset:         216
        .size:           216
        .value_kind:     by_value
      - .offset:         432
        .size:           216
        .value_kind:     by_value
      - .offset:         648
        .size:           216
        .value_kind:     by_value
      - .offset:         864
        .size:           216
        .value_kind:     by_value
      - .offset:         1080
        .size:           216
        .value_kind:     by_value
      - .offset:         1296
        .size:           216
        .value_kind:     by_value
      - .offset:         1512
        .size:           216
        .value_kind:     by_value
      - .offset:         1728
        .size:           4
        .value_kind:     by_value
      - .offset:         1732
        .size:           4
        .value_kind:     by_value
      - .offset:         1736
        .size:           4
        .value_kind:     hidden_block_count_x
      - .offset:         1740
        .size:           4
        .value_kind:     hidden_block_count_y
      - .offset:         1744
        .size:           4
        .value_kind:     hidden_block_count_z
      - .offset:         1748
        .size:           2
        .value_kind:     hidden_group_size_x
      - .offset:         1750
        .size:           2
        .value_kind:     hidden_group_size_y
      - .offset:         1752
        .size:           2
        .value_kind:     hidden_group_size_z
      - .offset:         1754
        .size:           2
        .value_kind:     hidden_remainder_x
      - .offset:         1756
        .size:           2
        .value_kind:     hidden_remainder_y
      - .offset:         1758
        .size:           2
        .value_kind:     hidden_remainder_z
      - .offset:         1776
        .size:           8
        .value_kind:     hidden_global_offset_x
      - .offset:         1784
        .size:           8
        .value_kind:     hidden_global_offset_y
      - .offset:         1792
        .size:           8
        .value_kind:     hidden_global_offset_z
      - .offset:         1800
        .size:           2
        .value_kind:     hidden_grid_dims
    .group_segment_fixed_size: 0
    .kernarg_segment_align: 8
    .kernarg_segment_size: 1992
    .language:       OpenCL C
    .language_version:
      - 2
      - 0
    .max_flat_workgroup_size: 512
    .name:           _ZN2at6native12_GLOBAL__N_16kernel17lstm_cell_forwardIN3c108BFloat16EfiLi1EEEvNS_4cuda6detail10TensorInfoIT_T1_EESB_SB_SB_SB_SB_SB_SB_SA_SA_
    .private_segment_fixed_size: 0
    .sgpr_count:     52
    .sgpr_spill_count: 0
    .symbol:         _ZN2at6native12_GLOBAL__N_16kernel17lstm_cell_forwardIN3c108BFloat16EfiLi1EEEvNS_4cuda6detail10TensorInfoIT_T1_EESB_SB_SB_SB_SB_SB_SB_SA_SA_.kd
    .uniform_work_group_size: 1
    .uses_dynamic_stack: false
    .vgpr_count:     44
    .vgpr_spill_count: 0
    .wavefront_size: 64
  - .agpr_count:     0
    .args:
      - .offset:         0
        .size:           216
        .value_kind:     by_value
      - .offset:         216
        .size:           216
        .value_kind:     by_value
      - .offset:         432
        .size:           216
        .value_kind:     by_value
      - .offset:         648
        .size:           216
        .value_kind:     by_value
      - .offset:         864
        .size:           216
        .value_kind:     by_value
      - .offset:         1080
        .size:           216
        .value_kind:     by_value
      - .offset:         1296
        .size:           216
        .value_kind:     by_value
      - .offset:         1512
        .size:           216
        .value_kind:     by_value
      - .offset:         1728
        .size:           4
        .value_kind:     by_value
      - .offset:         1732
        .size:           4
        .value_kind:     by_value
      - .offset:         1736
        .size:           4
        .value_kind:     hidden_block_count_x
      - .offset:         1740
        .size:           4
        .value_kind:     hidden_block_count_y
      - .offset:         1744
        .size:           4
        .value_kind:     hidden_block_count_z
      - .offset:         1748
        .size:           2
        .value_kind:     hidden_group_size_x
      - .offset:         1750
        .size:           2
        .value_kind:     hidden_group_size_y
      - .offset:         1752
        .size:           2
        .value_kind:     hidden_group_size_z
      - .offset:         1754
        .size:           2
        .value_kind:     hidden_remainder_x
      - .offset:         1756
        .size:           2
        .value_kind:     hidden_remainder_y
      - .offset:         1758
        .size:           2
        .value_kind:     hidden_remainder_z
      - .offset:         1776
        .size:           8
        .value_kind:     hidden_global_offset_x
      - .offset:         1784
        .size:           8
        .value_kind:     hidden_global_offset_y
      - .offset:         1792
        .size:           8
        .value_kind:     hidden_global_offset_z
      - .offset:         1800
        .size:           2
        .value_kind:     hidden_grid_dims
    .group_segment_fixed_size: 0
    .kernarg_segment_align: 8
    .kernarg_segment_size: 1992
    .language:       OpenCL C
    .language_version:
      - 2
      - 0
    .max_flat_workgroup_size: 512
    .name:           _ZN2at6native12_GLOBAL__N_16kernel17lstm_cell_forwardIN3c108BFloat16EfiLi2EEEvNS_4cuda6detail10TensorInfoIT_T1_EESB_SB_SB_SB_SB_SB_SB_SA_SA_
    .private_segment_fixed_size: 0
    .sgpr_count:     76
    .sgpr_spill_count: 0
    .symbol:         _ZN2at6native12_GLOBAL__N_16kernel17lstm_cell_forwardIN3c108BFloat16EfiLi2EEEvNS_4cuda6detail10TensorInfoIT_T1_EESB_SB_SB_SB_SB_SB_SB_SA_SA_.kd
    .uniform_work_group_size: 1
    .uses_dynamic_stack: false
    .vgpr_count:     58
    .vgpr_spill_count: 0
    .wavefront_size: 64
  - .agpr_count:     0
    .args:
      - .offset:         0
        .size:           416
        .value_kind:     by_value
      - .offset:         416
        .size:           416
        .value_kind:     by_value
      - .offset:         832
        .size:           416
        .value_kind:     by_value
      - .offset:         1248
        .size:           416
        .value_kind:     by_value
      - .offset:         1664
        .size:           416
        .value_kind:     by_value
      - .offset:         2080
        .size:           416
        .value_kind:     by_value
      - .offset:         2496
        .size:           416
        .value_kind:     by_value
      - .offset:         2912
        .size:           416
        .value_kind:     by_value
      - .offset:         3328
        .size:           8
        .value_kind:     by_value
      - .offset:         3336
        .size:           8
        .value_kind:     by_value
      - .offset:         3344
        .size:           4
        .value_kind:     hidden_block_count_x
      - .offset:         3348
        .size:           4
        .value_kind:     hidden_block_count_y
      - .offset:         3352
        .size:           4
        .value_kind:     hidden_block_count_z
      - .offset:         3356
        .size:           2
        .value_kind:     hidden_group_size_x
      - .offset:         3358
        .size:           2
        .value_kind:     hidden_group_size_y
      - .offset:         3360
        .size:           2
        .value_kind:     hidden_group_size_z
      - .offset:         3362
        .size:           2
        .value_kind:     hidden_remainder_x
      - .offset:         3364
        .size:           2
        .value_kind:     hidden_remainder_y
      - .offset:         3366
        .size:           2
        .value_kind:     hidden_remainder_z
      - .offset:         3384
        .size:           8
        .value_kind:     hidden_global_offset_x
      - .offset:         3392
        .size:           8
        .value_kind:     hidden_global_offset_y
      - .offset:         3400
        .size:           8
        .value_kind:     hidden_global_offset_z
      - .offset:         3408
        .size:           2
        .value_kind:     hidden_grid_dims
    .group_segment_fixed_size: 0
    .kernarg_segment_align: 8
    .kernarg_segment_size: 3600
    .language:       OpenCL C
    .language_version:
      - 2
      - 0
    .max_flat_workgroup_size: 512
    .name:           _ZN2at6native12_GLOBAL__N_16kernel17lstm_cell_forwardIN3c108BFloat16EflLi1EEEvNS_4cuda6detail10TensorInfoIT_T1_EESB_SB_SB_SB_SB_SB_SB_SA_SA_
    .private_segment_fixed_size: 0
    .sgpr_count:     63
    .sgpr_spill_count: 0
    .symbol:         _ZN2at6native12_GLOBAL__N_16kernel17lstm_cell_forwardIN3c108BFloat16EflLi1EEEvNS_4cuda6detail10TensorInfoIT_T1_EESB_SB_SB_SB_SB_SB_SB_SA_SA_.kd
    .uniform_work_group_size: 1
    .uses_dynamic_stack: false
    .vgpr_count:     50
    .vgpr_spill_count: 0
    .wavefront_size: 64
  - .agpr_count:     0
    .args:
      - .offset:         0
        .size:           416
        .value_kind:     by_value
      - .offset:         416
        .size:           416
        .value_kind:     by_value
      - .offset:         832
        .size:           416
        .value_kind:     by_value
      - .offset:         1248
        .size:           416
        .value_kind:     by_value
      - .offset:         1664
        .size:           416
        .value_kind:     by_value
      - .offset:         2080
        .size:           416
        .value_kind:     by_value
      - .offset:         2496
        .size:           416
        .value_kind:     by_value
      - .offset:         2912
        .size:           416
        .value_kind:     by_value
      - .offset:         3328
        .size:           8
        .value_kind:     by_value
      - .offset:         3336
        .size:           8
        .value_kind:     by_value
      - .offset:         3344
        .size:           4
        .value_kind:     hidden_block_count_x
      - .offset:         3348
        .size:           4
        .value_kind:     hidden_block_count_y
      - .offset:         3352
        .size:           4
        .value_kind:     hidden_block_count_z
      - .offset:         3356
        .size:           2
        .value_kind:     hidden_group_size_x
      - .offset:         3358
        .size:           2
        .value_kind:     hidden_group_size_y
      - .offset:         3360
        .size:           2
        .value_kind:     hidden_group_size_z
      - .offset:         3362
        .size:           2
        .value_kind:     hidden_remainder_x
      - .offset:         3364
        .size:           2
        .value_kind:     hidden_remainder_y
      - .offset:         3366
        .size:           2
        .value_kind:     hidden_remainder_z
      - .offset:         3384
        .size:           8
        .value_kind:     hidden_global_offset_x
      - .offset:         3392
        .size:           8
        .value_kind:     hidden_global_offset_y
      - .offset:         3400
        .size:           8
        .value_kind:     hidden_global_offset_z
      - .offset:         3408
        .size:           2
        .value_kind:     hidden_grid_dims
    .group_segment_fixed_size: 0
    .kernarg_segment_align: 8
    .kernarg_segment_size: 3600
    .language:       OpenCL C
    .language_version:
      - 2
      - 0
    .max_flat_workgroup_size: 512
    .name:           _ZN2at6native12_GLOBAL__N_16kernel17lstm_cell_forwardIN3c108BFloat16EflLi2EEEvNS_4cuda6detail10TensorInfoIT_T1_EESB_SB_SB_SB_SB_SB_SB_SA_SA_
    .private_segment_fixed_size: 0
    .sgpr_count:     99
    .sgpr_spill_count: 0
    .symbol:         _ZN2at6native12_GLOBAL__N_16kernel17lstm_cell_forwardIN3c108BFloat16EflLi2EEEvNS_4cuda6detail10TensorInfoIT_T1_EESB_SB_SB_SB_SB_SB_SB_SA_SA_.kd
    .uniform_work_group_size: 1
    .uses_dynamic_stack: false
    .vgpr_count:     58
    .vgpr_spill_count: 0
    .wavefront_size: 64
  - .agpr_count:     0
    .args:
      - .offset:         0
        .size:           216
        .value_kind:     by_value
      - .offset:         216
        .size:           216
        .value_kind:     by_value
      - .offset:         432
        .size:           216
        .value_kind:     by_value
      - .offset:         648
        .size:           216
        .value_kind:     by_value
      - .offset:         864
        .size:           216
        .value_kind:     by_value
      - .offset:         1080
        .size:           216
        .value_kind:     by_value
      - .offset:         1296
        .size:           216
        .value_kind:     by_value
      - .offset:         1512
        .size:           4
        .value_kind:     by_value
      - .offset:         1516
        .size:           4
        .value_kind:     by_value
      - .offset:         1520
        .size:           4
        .value_kind:     hidden_block_count_x
      - .offset:         1524
        .size:           4
        .value_kind:     hidden_block_count_y
      - .offset:         1528
        .size:           4
        .value_kind:     hidden_block_count_z
      - .offset:         1532
        .size:           2
        .value_kind:     hidden_group_size_x
      - .offset:         1534
        .size:           2
        .value_kind:     hidden_group_size_y
      - .offset:         1536
        .size:           2
        .value_kind:     hidden_group_size_z
      - .offset:         1538
        .size:           2
        .value_kind:     hidden_remainder_x
      - .offset:         1540
        .size:           2
        .value_kind:     hidden_remainder_y
      - .offset:         1542
        .size:           2
        .value_kind:     hidden_remainder_z
      - .offset:         1560
        .size:           8
        .value_kind:     hidden_global_offset_x
      - .offset:         1568
        .size:           8
        .value_kind:     hidden_global_offset_y
      - .offset:         1576
        .size:           8
        .value_kind:     hidden_global_offset_z
      - .offset:         1584
        .size:           2
        .value_kind:     hidden_grid_dims
    .group_segment_fixed_size: 0
    .kernarg_segment_align: 8
    .kernarg_segment_size: 1776
    .language:       OpenCL C
    .language_version:
      - 2
      - 0
    .max_flat_workgroup_size: 512
    .name:           _ZN2at6native12_GLOBAL__N_16kernel18lstm_cell_backwardIddiLi1EEEvNS_4cuda6detail10TensorInfoIT_T1_EES9_S9_S9_S9_S9_S9_S8_S8_
    .private_segment_fixed_size: 0
    .sgpr_count:     54
    .sgpr_spill_count: 0
    .symbol:         _ZN2at6native12_GLOBAL__N_16kernel18lstm_cell_backwardIddiLi1EEEvNS_4cuda6detail10TensorInfoIT_T1_EES9_S9_S9_S9_S9_S9_S8_S8_.kd
    .uniform_work_group_size: 1
    .uses_dynamic_stack: false
    .vgpr_count:     80
    .vgpr_spill_count: 0
    .wavefront_size: 64
  - .agpr_count:     0
    .args:
      - .offset:         0
        .size:           216
        .value_kind:     by_value
      - .offset:         216
        .size:           216
        .value_kind:     by_value
      - .offset:         432
        .size:           216
        .value_kind:     by_value
      - .offset:         648
        .size:           216
        .value_kind:     by_value
      - .offset:         864
        .size:           216
        .value_kind:     by_value
      - .offset:         1080
        .size:           216
        .value_kind:     by_value
      - .offset:         1296
        .size:           216
        .value_kind:     by_value
      - .offset:         1512
        .size:           4
        .value_kind:     by_value
      - .offset:         1516
        .size:           4
        .value_kind:     by_value
      - .offset:         1520
        .size:           4
        .value_kind:     hidden_block_count_x
      - .offset:         1524
        .size:           4
        .value_kind:     hidden_block_count_y
      - .offset:         1528
        .size:           4
        .value_kind:     hidden_block_count_z
      - .offset:         1532
        .size:           2
        .value_kind:     hidden_group_size_x
      - .offset:         1534
        .size:           2
        .value_kind:     hidden_group_size_y
      - .offset:         1536
        .size:           2
        .value_kind:     hidden_group_size_z
      - .offset:         1538
        .size:           2
        .value_kind:     hidden_remainder_x
      - .offset:         1540
        .size:           2
        .value_kind:     hidden_remainder_y
      - .offset:         1542
        .size:           2
        .value_kind:     hidden_remainder_z
      - .offset:         1560
        .size:           8
        .value_kind:     hidden_global_offset_x
      - .offset:         1568
        .size:           8
        .value_kind:     hidden_global_offset_y
      - .offset:         1576
        .size:           8
        .value_kind:     hidden_global_offset_z
      - .offset:         1584
        .size:           2
        .value_kind:     hidden_grid_dims
    .group_segment_fixed_size: 0
    .kernarg_segment_align: 8
    .kernarg_segment_size: 1776
    .language:       OpenCL C
    .language_version:
      - 2
      - 0
    .max_flat_workgroup_size: 512
    .name:           _ZN2at6native12_GLOBAL__N_16kernel18lstm_cell_backwardIddiLi2EEEvNS_4cuda6detail10TensorInfoIT_T1_EES9_S9_S9_S9_S9_S9_S8_S8_
    .private_segment_fixed_size: 0
    .sgpr_count:     82
    .sgpr_spill_count: 0
    .symbol:         _ZN2at6native12_GLOBAL__N_16kernel18lstm_cell_backwardIddiLi2EEEvNS_4cuda6detail10TensorInfoIT_T1_EES9_S9_S9_S9_S9_S9_S8_S8_.kd
    .uniform_work_group_size: 1
    .uses_dynamic_stack: false
    .vgpr_count:     78
    .vgpr_spill_count: 0
    .wavefront_size: 64
  - .agpr_count:     0
    .args:
      - .offset:         0
        .size:           416
        .value_kind:     by_value
      - .offset:         416
        .size:           416
        .value_kind:     by_value
      - .offset:         832
        .size:           416
        .value_kind:     by_value
      - .offset:         1248
        .size:           416
        .value_kind:     by_value
      - .offset:         1664
        .size:           416
        .value_kind:     by_value
      - .offset:         2080
        .size:           416
        .value_kind:     by_value
      - .offset:         2496
        .size:           416
        .value_kind:     by_value
      - .offset:         2912
        .size:           8
        .value_kind:     by_value
      - .offset:         2920
        .size:           8
        .value_kind:     by_value
      - .offset:         2928
        .size:           4
        .value_kind:     hidden_block_count_x
      - .offset:         2932
        .size:           4
        .value_kind:     hidden_block_count_y
      - .offset:         2936
        .size:           4
        .value_kind:     hidden_block_count_z
      - .offset:         2940
        .size:           2
        .value_kind:     hidden_group_size_x
      - .offset:         2942
        .size:           2
        .value_kind:     hidden_group_size_y
      - .offset:         2944
        .size:           2
        .value_kind:     hidden_group_size_z
      - .offset:         2946
        .size:           2
        .value_kind:     hidden_remainder_x
      - .offset:         2948
        .size:           2
        .value_kind:     hidden_remainder_y
      - .offset:         2950
        .size:           2
        .value_kind:     hidden_remainder_z
      - .offset:         2968
        .size:           8
        .value_kind:     hidden_global_offset_x
      - .offset:         2976
        .size:           8
        .value_kind:     hidden_global_offset_y
      - .offset:         2984
        .size:           8
        .value_kind:     hidden_global_offset_z
      - .offset:         2992
        .size:           2
        .value_kind:     hidden_grid_dims
    .group_segment_fixed_size: 0
    .kernarg_segment_align: 8
    .kernarg_segment_size: 3184
    .language:       OpenCL C
    .language_version:
      - 2
      - 0
    .max_flat_workgroup_size: 512
    .name:           _ZN2at6native12_GLOBAL__N_16kernel18lstm_cell_backwardIddlLi1EEEvNS_4cuda6detail10TensorInfoIT_T1_EES9_S9_S9_S9_S9_S9_S8_S8_
    .private_segment_fixed_size: 0
    .sgpr_count:     60
    .sgpr_spill_count: 0
    .symbol:         _ZN2at6native12_GLOBAL__N_16kernel18lstm_cell_backwardIddlLi1EEEvNS_4cuda6detail10TensorInfoIT_T1_EES9_S9_S9_S9_S9_S9_S8_S8_.kd
    .uniform_work_group_size: 1
    .uses_dynamic_stack: false
    .vgpr_count:     78
    .vgpr_spill_count: 0
    .wavefront_size: 64
  - .agpr_count:     0
    .args:
      - .offset:         0
        .size:           416
        .value_kind:     by_value
      - .offset:         416
        .size:           416
        .value_kind:     by_value
      - .offset:         832
        .size:           416
        .value_kind:     by_value
      - .offset:         1248
        .size:           416
        .value_kind:     by_value
      - .offset:         1664
        .size:           416
        .value_kind:     by_value
      - .offset:         2080
        .size:           416
        .value_kind:     by_value
      - .offset:         2496
        .size:           416
        .value_kind:     by_value
      - .offset:         2912
        .size:           8
        .value_kind:     by_value
      - .offset:         2920
        .size:           8
        .value_kind:     by_value
      - .offset:         2928
        .size:           4
        .value_kind:     hidden_block_count_x
      - .offset:         2932
        .size:           4
        .value_kind:     hidden_block_count_y
      - .offset:         2936
        .size:           4
        .value_kind:     hidden_block_count_z
      - .offset:         2940
        .size:           2
        .value_kind:     hidden_group_size_x
      - .offset:         2942
        .size:           2
        .value_kind:     hidden_group_size_y
      - .offset:         2944
        .size:           2
        .value_kind:     hidden_group_size_z
      - .offset:         2946
        .size:           2
        .value_kind:     hidden_remainder_x
      - .offset:         2948
        .size:           2
        .value_kind:     hidden_remainder_y
      - .offset:         2950
        .size:           2
        .value_kind:     hidden_remainder_z
      - .offset:         2968
        .size:           8
        .value_kind:     hidden_global_offset_x
      - .offset:         2976
        .size:           8
        .value_kind:     hidden_global_offset_y
      - .offset:         2984
        .size:           8
        .value_kind:     hidden_global_offset_z
      - .offset:         2992
        .size:           2
        .value_kind:     hidden_grid_dims
    .group_segment_fixed_size: 0
    .kernarg_segment_align: 8
    .kernarg_segment_size: 3184
    .language:       OpenCL C
    .language_version:
      - 2
      - 0
    .max_flat_workgroup_size: 512
    .name:           _ZN2at6native12_GLOBAL__N_16kernel18lstm_cell_backwardIddlLi2EEEvNS_4cuda6detail10TensorInfoIT_T1_EES9_S9_S9_S9_S9_S9_S8_S8_
    .private_segment_fixed_size: 0
    .sgpr_count:     100
    .sgpr_spill_count: 1
    .symbol:         _ZN2at6native12_GLOBAL__N_16kernel18lstm_cell_backwardIddlLi2EEEvNS_4cuda6detail10TensorInfoIT_T1_EES9_S9_S9_S9_S9_S9_S8_S8_.kd
    .uniform_work_group_size: 1
    .uses_dynamic_stack: false
    .vgpr_count:     71
    .vgpr_spill_count: 0
    .wavefront_size: 64
  - .agpr_count:     0
    .args:
      - .offset:         0
        .size:           216
        .value_kind:     by_value
      - .offset:         216
        .size:           216
        .value_kind:     by_value
      - .offset:         432
        .size:           216
        .value_kind:     by_value
      - .offset:         648
        .size:           216
        .value_kind:     by_value
      - .offset:         864
        .size:           216
        .value_kind:     by_value
      - .offset:         1080
        .size:           216
        .value_kind:     by_value
      - .offset:         1296
        .size:           216
        .value_kind:     by_value
      - .offset:         1512
        .size:           4
        .value_kind:     by_value
      - .offset:         1516
        .size:           4
        .value_kind:     by_value
      - .offset:         1520
        .size:           4
        .value_kind:     hidden_block_count_x
      - .offset:         1524
        .size:           4
        .value_kind:     hidden_block_count_y
      - .offset:         1528
        .size:           4
        .value_kind:     hidden_block_count_z
      - .offset:         1532
        .size:           2
        .value_kind:     hidden_group_size_x
      - .offset:         1534
        .size:           2
        .value_kind:     hidden_group_size_y
      - .offset:         1536
        .size:           2
        .value_kind:     hidden_group_size_z
      - .offset:         1538
        .size:           2
        .value_kind:     hidden_remainder_x
      - .offset:         1540
        .size:           2
        .value_kind:     hidden_remainder_y
      - .offset:         1542
        .size:           2
        .value_kind:     hidden_remainder_z
      - .offset:         1560
        .size:           8
        .value_kind:     hidden_global_offset_x
      - .offset:         1568
        .size:           8
        .value_kind:     hidden_global_offset_y
      - .offset:         1576
        .size:           8
        .value_kind:     hidden_global_offset_z
      - .offset:         1584
        .size:           2
        .value_kind:     hidden_grid_dims
    .group_segment_fixed_size: 0
    .kernarg_segment_align: 8
    .kernarg_segment_size: 1776
    .language:       OpenCL C
    .language_version:
      - 2
      - 0
    .max_flat_workgroup_size: 512
    .name:           _ZN2at6native12_GLOBAL__N_16kernel18lstm_cell_backwardIffiLi1EEEvNS_4cuda6detail10TensorInfoIT_T1_EES9_S9_S9_S9_S9_S9_S8_S8_
    .private_segment_fixed_size: 0
    .sgpr_count:     44
    .sgpr_spill_count: 0
    .symbol:         _ZN2at6native12_GLOBAL__N_16kernel18lstm_cell_backwardIffiLi1EEEvNS_4cuda6detail10TensorInfoIT_T1_EES9_S9_S9_S9_S9_S9_S8_S8_.kd
    .uniform_work_group_size: 1
    .uses_dynamic_stack: false
    .vgpr_count:     38
    .vgpr_spill_count: 0
    .wavefront_size: 64
  - .agpr_count:     0
    .args:
      - .offset:         0
        .size:           216
        .value_kind:     by_value
      - .offset:         216
        .size:           216
        .value_kind:     by_value
      - .offset:         432
        .size:           216
        .value_kind:     by_value
      - .offset:         648
        .size:           216
        .value_kind:     by_value
      - .offset:         864
        .size:           216
        .value_kind:     by_value
      - .offset:         1080
        .size:           216
        .value_kind:     by_value
      - .offset:         1296
        .size:           216
        .value_kind:     by_value
      - .offset:         1512
        .size:           4
        .value_kind:     by_value
      - .offset:         1516
        .size:           4
        .value_kind:     by_value
      - .offset:         1520
        .size:           4
        .value_kind:     hidden_block_count_x
      - .offset:         1524
        .size:           4
        .value_kind:     hidden_block_count_y
      - .offset:         1528
        .size:           4
        .value_kind:     hidden_block_count_z
      - .offset:         1532
        .size:           2
        .value_kind:     hidden_group_size_x
      - .offset:         1534
        .size:           2
        .value_kind:     hidden_group_size_y
      - .offset:         1536
        .size:           2
        .value_kind:     hidden_group_size_z
      - .offset:         1538
        .size:           2
        .value_kind:     hidden_remainder_x
      - .offset:         1540
        .size:           2
        .value_kind:     hidden_remainder_y
      - .offset:         1542
        .size:           2
        .value_kind:     hidden_remainder_z
      - .offset:         1560
        .size:           8
        .value_kind:     hidden_global_offset_x
      - .offset:         1568
        .size:           8
        .value_kind:     hidden_global_offset_y
      - .offset:         1576
        .size:           8
        .value_kind:     hidden_global_offset_z
      - .offset:         1584
        .size:           2
        .value_kind:     hidden_grid_dims
    .group_segment_fixed_size: 0
    .kernarg_segment_align: 8
    .kernarg_segment_size: 1776
    .language:       OpenCL C
    .language_version:
      - 2
      - 0
    .max_flat_workgroup_size: 512
    .name:           _ZN2at6native12_GLOBAL__N_16kernel18lstm_cell_backwardIffiLi2EEEvNS_4cuda6detail10TensorInfoIT_T1_EES9_S9_S9_S9_S9_S9_S8_S8_
    .private_segment_fixed_size: 0
    .sgpr_count:     72
    .sgpr_spill_count: 0
    .symbol:         _ZN2at6native12_GLOBAL__N_16kernel18lstm_cell_backwardIffiLi2EEEvNS_4cuda6detail10TensorInfoIT_T1_EES9_S9_S9_S9_S9_S9_S8_S8_.kd
    .uniform_work_group_size: 1
    .uses_dynamic_stack: false
    .vgpr_count:     42
    .vgpr_spill_count: 0
    .wavefront_size: 64
  - .agpr_count:     0
    .args:
      - .offset:         0
        .size:           416
        .value_kind:     by_value
      - .offset:         416
        .size:           416
        .value_kind:     by_value
      - .offset:         832
        .size:           416
        .value_kind:     by_value
      - .offset:         1248
        .size:           416
        .value_kind:     by_value
      - .offset:         1664
        .size:           416
        .value_kind:     by_value
      - .offset:         2080
        .size:           416
        .value_kind:     by_value
      - .offset:         2496
        .size:           416
        .value_kind:     by_value
      - .offset:         2912
        .size:           8
        .value_kind:     by_value
      - .offset:         2920
        .size:           8
        .value_kind:     by_value
      - .offset:         2928
        .size:           4
        .value_kind:     hidden_block_count_x
      - .offset:         2932
        .size:           4
        .value_kind:     hidden_block_count_y
      - .offset:         2936
        .size:           4
        .value_kind:     hidden_block_count_z
      - .offset:         2940
        .size:           2
        .value_kind:     hidden_group_size_x
      - .offset:         2942
        .size:           2
        .value_kind:     hidden_group_size_y
      - .offset:         2944
        .size:           2
        .value_kind:     hidden_group_size_z
      - .offset:         2946
        .size:           2
        .value_kind:     hidden_remainder_x
      - .offset:         2948
        .size:           2
        .value_kind:     hidden_remainder_y
      - .offset:         2950
        .size:           2
        .value_kind:     hidden_remainder_z
      - .offset:         2968
        .size:           8
        .value_kind:     hidden_global_offset_x
      - .offset:         2976
        .size:           8
        .value_kind:     hidden_global_offset_y
      - .offset:         2984
        .size:           8
        .value_kind:     hidden_global_offset_z
      - .offset:         2992
        .size:           2
        .value_kind:     hidden_grid_dims
    .group_segment_fixed_size: 0
    .kernarg_segment_align: 8
    .kernarg_segment_size: 3184
    .language:       OpenCL C
    .language_version:
      - 2
      - 0
    .max_flat_workgroup_size: 512
    .name:           _ZN2at6native12_GLOBAL__N_16kernel18lstm_cell_backwardIfflLi1EEEvNS_4cuda6detail10TensorInfoIT_T1_EES9_S9_S9_S9_S9_S9_S8_S8_
    .private_segment_fixed_size: 0
    .sgpr_count:     50
    .sgpr_spill_count: 0
    .symbol:         _ZN2at6native12_GLOBAL__N_16kernel18lstm_cell_backwardIfflLi1EEEvNS_4cuda6detail10TensorInfoIT_T1_EES9_S9_S9_S9_S9_S9_S8_S8_.kd
    .uniform_work_group_size: 1
    .uses_dynamic_stack: false
    .vgpr_count:     40
    .vgpr_spill_count: 0
    .wavefront_size: 64
  - .agpr_count:     0
    .args:
      - .offset:         0
        .size:           416
        .value_kind:     by_value
      - .offset:         416
        .size:           416
        .value_kind:     by_value
      - .offset:         832
        .size:           416
        .value_kind:     by_value
      - .offset:         1248
        .size:           416
        .value_kind:     by_value
      - .offset:         1664
        .size:           416
        .value_kind:     by_value
      - .offset:         2080
        .size:           416
        .value_kind:     by_value
      - .offset:         2496
        .size:           416
        .value_kind:     by_value
      - .offset:         2912
        .size:           8
        .value_kind:     by_value
      - .offset:         2920
        .size:           8
        .value_kind:     by_value
      - .offset:         2928
        .size:           4
        .value_kind:     hidden_block_count_x
      - .offset:         2932
        .size:           4
        .value_kind:     hidden_block_count_y
      - .offset:         2936
        .size:           4
        .value_kind:     hidden_block_count_z
      - .offset:         2940
        .size:           2
        .value_kind:     hidden_group_size_x
      - .offset:         2942
        .size:           2
        .value_kind:     hidden_group_size_y
      - .offset:         2944
        .size:           2
        .value_kind:     hidden_group_size_z
      - .offset:         2946
        .size:           2
        .value_kind:     hidden_remainder_x
      - .offset:         2948
        .size:           2
        .value_kind:     hidden_remainder_y
      - .offset:         2950
        .size:           2
        .value_kind:     hidden_remainder_z
      - .offset:         2968
        .size:           8
        .value_kind:     hidden_global_offset_x
      - .offset:         2976
        .size:           8
        .value_kind:     hidden_global_offset_y
      - .offset:         2984
        .size:           8
        .value_kind:     hidden_global_offset_z
      - .offset:         2992
        .size:           2
        .value_kind:     hidden_grid_dims
    .group_segment_fixed_size: 0
    .kernarg_segment_align: 8
    .kernarg_segment_size: 3184
    .language:       OpenCL C
    .language_version:
      - 2
      - 0
    .max_flat_workgroup_size: 512
    .name:           _ZN2at6native12_GLOBAL__N_16kernel18lstm_cell_backwardIfflLi2EEEvNS_4cuda6detail10TensorInfoIT_T1_EES9_S9_S9_S9_S9_S9_S8_S8_
    .private_segment_fixed_size: 0
    .sgpr_count:     98
    .sgpr_spill_count: 0
    .symbol:         _ZN2at6native12_GLOBAL__N_16kernel18lstm_cell_backwardIfflLi2EEEvNS_4cuda6detail10TensorInfoIT_T1_EES9_S9_S9_S9_S9_S9_S8_S8_.kd
    .uniform_work_group_size: 1
    .uses_dynamic_stack: false
    .vgpr_count:     44
    .vgpr_spill_count: 0
    .wavefront_size: 64
  - .agpr_count:     0
    .args:
      - .offset:         0
        .size:           216
        .value_kind:     by_value
      - .offset:         216
        .size:           216
        .value_kind:     by_value
      - .offset:         432
        .size:           216
        .value_kind:     by_value
      - .offset:         648
        .size:           216
        .value_kind:     by_value
      - .offset:         864
        .size:           216
        .value_kind:     by_value
      - .offset:         1080
        .size:           216
        .value_kind:     by_value
      - .offset:         1296
        .size:           216
        .value_kind:     by_value
      - .offset:         1512
        .size:           4
        .value_kind:     by_value
      - .offset:         1516
        .size:           4
        .value_kind:     by_value
      - .offset:         1520
        .size:           4
        .value_kind:     hidden_block_count_x
      - .offset:         1524
        .size:           4
        .value_kind:     hidden_block_count_y
      - .offset:         1528
        .size:           4
        .value_kind:     hidden_block_count_z
      - .offset:         1532
        .size:           2
        .value_kind:     hidden_group_size_x
      - .offset:         1534
        .size:           2
        .value_kind:     hidden_group_size_y
      - .offset:         1536
        .size:           2
        .value_kind:     hidden_group_size_z
      - .offset:         1538
        .size:           2
        .value_kind:     hidden_remainder_x
      - .offset:         1540
        .size:           2
        .value_kind:     hidden_remainder_y
      - .offset:         1542
        .size:           2
        .value_kind:     hidden_remainder_z
      - .offset:         1560
        .size:           8
        .value_kind:     hidden_global_offset_x
      - .offset:         1568
        .size:           8
        .value_kind:     hidden_global_offset_y
      - .offset:         1576
        .size:           8
        .value_kind:     hidden_global_offset_z
      - .offset:         1584
        .size:           2
        .value_kind:     hidden_grid_dims
    .group_segment_fixed_size: 0
    .kernarg_segment_align: 8
    .kernarg_segment_size: 1776
    .language:       OpenCL C
    .language_version:
      - 2
      - 0
    .max_flat_workgroup_size: 512
    .name:           _ZN2at6native12_GLOBAL__N_16kernel18lstm_cell_backwardIN3c104HalfEfiLi1EEEvNS_4cuda6detail10TensorInfoIT_T1_EESB_SB_SB_SB_SB_SB_SA_SA_
    .private_segment_fixed_size: 0
    .sgpr_count:     46
    .sgpr_spill_count: 0
    .symbol:         _ZN2at6native12_GLOBAL__N_16kernel18lstm_cell_backwardIN3c104HalfEfiLi1EEEvNS_4cuda6detail10TensorInfoIT_T1_EESB_SB_SB_SB_SB_SB_SA_SA_.kd
    .uniform_work_group_size: 1
    .uses_dynamic_stack: false
    .vgpr_count:     38
    .vgpr_spill_count: 0
    .wavefront_size: 64
  - .agpr_count:     0
    .args:
      - .offset:         0
        .size:           216
        .value_kind:     by_value
      - .offset:         216
        .size:           216
        .value_kind:     by_value
      - .offset:         432
        .size:           216
        .value_kind:     by_value
      - .offset:         648
        .size:           216
        .value_kind:     by_value
      - .offset:         864
        .size:           216
        .value_kind:     by_value
      - .offset:         1080
        .size:           216
        .value_kind:     by_value
      - .offset:         1296
        .size:           216
        .value_kind:     by_value
      - .offset:         1512
        .size:           4
        .value_kind:     by_value
      - .offset:         1516
        .size:           4
        .value_kind:     by_value
      - .offset:         1520
        .size:           4
        .value_kind:     hidden_block_count_x
      - .offset:         1524
        .size:           4
        .value_kind:     hidden_block_count_y
      - .offset:         1528
        .size:           4
        .value_kind:     hidden_block_count_z
      - .offset:         1532
        .size:           2
        .value_kind:     hidden_group_size_x
      - .offset:         1534
        .size:           2
        .value_kind:     hidden_group_size_y
      - .offset:         1536
        .size:           2
        .value_kind:     hidden_group_size_z
      - .offset:         1538
        .size:           2
        .value_kind:     hidden_remainder_x
      - .offset:         1540
        .size:           2
        .value_kind:     hidden_remainder_y
      - .offset:         1542
        .size:           2
        .value_kind:     hidden_remainder_z
      - .offset:         1560
        .size:           8
        .value_kind:     hidden_global_offset_x
      - .offset:         1568
        .size:           8
        .value_kind:     hidden_global_offset_y
      - .offset:         1576
        .size:           8
        .value_kind:     hidden_global_offset_z
      - .offset:         1584
        .size:           2
        .value_kind:     hidden_grid_dims
    .group_segment_fixed_size: 0
    .kernarg_segment_align: 8
    .kernarg_segment_size: 1776
    .language:       OpenCL C
    .language_version:
      - 2
      - 0
    .max_flat_workgroup_size: 512
    .name:           _ZN2at6native12_GLOBAL__N_16kernel18lstm_cell_backwardIN3c104HalfEfiLi2EEEvNS_4cuda6detail10TensorInfoIT_T1_EESB_SB_SB_SB_SB_SB_SA_SA_
    .private_segment_fixed_size: 0
    .sgpr_count:     74
    .sgpr_spill_count: 0
    .symbol:         _ZN2at6native12_GLOBAL__N_16kernel18lstm_cell_backwardIN3c104HalfEfiLi2EEEvNS_4cuda6detail10TensorInfoIT_T1_EESB_SB_SB_SB_SB_SB_SA_SA_.kd
    .uniform_work_group_size: 1
    .uses_dynamic_stack: false
    .vgpr_count:     42
    .vgpr_spill_count: 0
    .wavefront_size: 64
  - .agpr_count:     0
    .args:
      - .offset:         0
        .size:           416
        .value_kind:     by_value
      - .offset:         416
        .size:           416
        .value_kind:     by_value
      - .offset:         832
        .size:           416
        .value_kind:     by_value
      - .offset:         1248
        .size:           416
        .value_kind:     by_value
      - .offset:         1664
        .size:           416
        .value_kind:     by_value
      - .offset:         2080
        .size:           416
        .value_kind:     by_value
      - .offset:         2496
        .size:           416
        .value_kind:     by_value
      - .offset:         2912
        .size:           8
        .value_kind:     by_value
      - .offset:         2920
        .size:           8
        .value_kind:     by_value
      - .offset:         2928
        .size:           4
        .value_kind:     hidden_block_count_x
      - .offset:         2932
        .size:           4
        .value_kind:     hidden_block_count_y
      - .offset:         2936
        .size:           4
        .value_kind:     hidden_block_count_z
      - .offset:         2940
        .size:           2
        .value_kind:     hidden_group_size_x
      - .offset:         2942
        .size:           2
        .value_kind:     hidden_group_size_y
      - .offset:         2944
        .size:           2
        .value_kind:     hidden_group_size_z
      - .offset:         2946
        .size:           2
        .value_kind:     hidden_remainder_x
      - .offset:         2948
        .size:           2
        .value_kind:     hidden_remainder_y
      - .offset:         2950
        .size:           2
        .value_kind:     hidden_remainder_z
      - .offset:         2968
        .size:           8
        .value_kind:     hidden_global_offset_x
      - .offset:         2976
        .size:           8
        .value_kind:     hidden_global_offset_y
      - .offset:         2984
        .size:           8
        .value_kind:     hidden_global_offset_z
      - .offset:         2992
        .size:           2
        .value_kind:     hidden_grid_dims
    .group_segment_fixed_size: 0
    .kernarg_segment_align: 8
    .kernarg_segment_size: 3184
    .language:       OpenCL C
    .language_version:
      - 2
      - 0
    .max_flat_workgroup_size: 512
    .name:           _ZN2at6native12_GLOBAL__N_16kernel18lstm_cell_backwardIN3c104HalfEflLi1EEEvNS_4cuda6detail10TensorInfoIT_T1_EESB_SB_SB_SB_SB_SB_SA_SA_
    .private_segment_fixed_size: 0
    .sgpr_count:     51
    .sgpr_spill_count: 0
    .symbol:         _ZN2at6native12_GLOBAL__N_16kernel18lstm_cell_backwardIN3c104HalfEflLi1EEEvNS_4cuda6detail10TensorInfoIT_T1_EESB_SB_SB_SB_SB_SB_SA_SA_.kd
    .uniform_work_group_size: 1
    .uses_dynamic_stack: false
    .vgpr_count:     42
    .vgpr_spill_count: 0
    .wavefront_size: 64
  - .agpr_count:     0
    .args:
      - .offset:         0
        .size:           416
        .value_kind:     by_value
      - .offset:         416
        .size:           416
        .value_kind:     by_value
      - .offset:         832
        .size:           416
        .value_kind:     by_value
      - .offset:         1248
        .size:           416
        .value_kind:     by_value
      - .offset:         1664
        .size:           416
        .value_kind:     by_value
      - .offset:         2080
        .size:           416
        .value_kind:     by_value
      - .offset:         2496
        .size:           416
        .value_kind:     by_value
      - .offset:         2912
        .size:           8
        .value_kind:     by_value
      - .offset:         2920
        .size:           8
        .value_kind:     by_value
      - .offset:         2928
        .size:           4
        .value_kind:     hidden_block_count_x
      - .offset:         2932
        .size:           4
        .value_kind:     hidden_block_count_y
      - .offset:         2936
        .size:           4
        .value_kind:     hidden_block_count_z
      - .offset:         2940
        .size:           2
        .value_kind:     hidden_group_size_x
      - .offset:         2942
        .size:           2
        .value_kind:     hidden_group_size_y
      - .offset:         2944
        .size:           2
        .value_kind:     hidden_group_size_z
      - .offset:         2946
        .size:           2
        .value_kind:     hidden_remainder_x
      - .offset:         2948
        .size:           2
        .value_kind:     hidden_remainder_y
      - .offset:         2950
        .size:           2
        .value_kind:     hidden_remainder_z
      - .offset:         2968
        .size:           8
        .value_kind:     hidden_global_offset_x
      - .offset:         2976
        .size:           8
        .value_kind:     hidden_global_offset_y
      - .offset:         2984
        .size:           8
        .value_kind:     hidden_global_offset_z
      - .offset:         2992
        .size:           2
        .value_kind:     hidden_grid_dims
    .group_segment_fixed_size: 0
    .kernarg_segment_align: 8
    .kernarg_segment_size: 3184
    .language:       OpenCL C
    .language_version:
      - 2
      - 0
    .max_flat_workgroup_size: 512
    .name:           _ZN2at6native12_GLOBAL__N_16kernel18lstm_cell_backwardIN3c104HalfEflLi2EEEvNS_4cuda6detail10TensorInfoIT_T1_EESB_SB_SB_SB_SB_SB_SA_SA_
    .private_segment_fixed_size: 0
    .sgpr_count:     99
    .sgpr_spill_count: 0
    .symbol:         _ZN2at6native12_GLOBAL__N_16kernel18lstm_cell_backwardIN3c104HalfEflLi2EEEvNS_4cuda6detail10TensorInfoIT_T1_EESB_SB_SB_SB_SB_SB_SA_SA_.kd
    .uniform_work_group_size: 1
    .uses_dynamic_stack: false
    .vgpr_count:     44
    .vgpr_spill_count: 0
    .wavefront_size: 64
  - .agpr_count:     0
    .args:
      - .offset:         0
        .size:           216
        .value_kind:     by_value
      - .offset:         216
        .size:           216
        .value_kind:     by_value
      - .offset:         432
        .size:           216
        .value_kind:     by_value
      - .offset:         648
        .size:           216
        .value_kind:     by_value
      - .offset:         864
        .size:           216
        .value_kind:     by_value
      - .offset:         1080
        .size:           216
        .value_kind:     by_value
      - .offset:         1296
        .size:           216
        .value_kind:     by_value
      - .offset:         1512
        .size:           4
        .value_kind:     by_value
      - .offset:         1516
        .size:           4
        .value_kind:     by_value
      - .offset:         1520
        .size:           4
        .value_kind:     hidden_block_count_x
      - .offset:         1524
        .size:           4
        .value_kind:     hidden_block_count_y
      - .offset:         1528
        .size:           4
        .value_kind:     hidden_block_count_z
      - .offset:         1532
        .size:           2
        .value_kind:     hidden_group_size_x
      - .offset:         1534
        .size:           2
        .value_kind:     hidden_group_size_y
      - .offset:         1536
        .size:           2
        .value_kind:     hidden_group_size_z
      - .offset:         1538
        .size:           2
        .value_kind:     hidden_remainder_x
      - .offset:         1540
        .size:           2
        .value_kind:     hidden_remainder_y
      - .offset:         1542
        .size:           2
        .value_kind:     hidden_remainder_z
      - .offset:         1560
        .size:           8
        .value_kind:     hidden_global_offset_x
      - .offset:         1568
        .size:           8
        .value_kind:     hidden_global_offset_y
      - .offset:         1576
        .size:           8
        .value_kind:     hidden_global_offset_z
      - .offset:         1584
        .size:           2
        .value_kind:     hidden_grid_dims
    .group_segment_fixed_size: 0
    .kernarg_segment_align: 8
    .kernarg_segment_size: 1776
    .language:       OpenCL C
    .language_version:
      - 2
      - 0
    .max_flat_workgroup_size: 512
    .name:           _ZN2at6native12_GLOBAL__N_16kernel18lstm_cell_backwardIN3c108BFloat16EfiLi1EEEvNS_4cuda6detail10TensorInfoIT_T1_EESB_SB_SB_SB_SB_SB_SA_SA_
    .private_segment_fixed_size: 0
    .sgpr_count:     46
    .sgpr_spill_count: 0
    .symbol:         _ZN2at6native12_GLOBAL__N_16kernel18lstm_cell_backwardIN3c108BFloat16EfiLi1EEEvNS_4cuda6detail10TensorInfoIT_T1_EESB_SB_SB_SB_SB_SB_SA_SA_.kd
    .uniform_work_group_size: 1
    .uses_dynamic_stack: false
    .vgpr_count:     38
    .vgpr_spill_count: 0
    .wavefront_size: 64
  - .agpr_count:     0
    .args:
      - .offset:         0
        .size:           216
        .value_kind:     by_value
      - .offset:         216
        .size:           216
        .value_kind:     by_value
      - .offset:         432
        .size:           216
        .value_kind:     by_value
      - .offset:         648
        .size:           216
        .value_kind:     by_value
      - .offset:         864
        .size:           216
        .value_kind:     by_value
      - .offset:         1080
        .size:           216
        .value_kind:     by_value
      - .offset:         1296
        .size:           216
        .value_kind:     by_value
      - .offset:         1512
        .size:           4
        .value_kind:     by_value
      - .offset:         1516
        .size:           4
        .value_kind:     by_value
      - .offset:         1520
        .size:           4
        .value_kind:     hidden_block_count_x
      - .offset:         1524
        .size:           4
        .value_kind:     hidden_block_count_y
      - .offset:         1528
        .size:           4
        .value_kind:     hidden_block_count_z
      - .offset:         1532
        .size:           2
        .value_kind:     hidden_group_size_x
      - .offset:         1534
        .size:           2
        .value_kind:     hidden_group_size_y
      - .offset:         1536
        .size:           2
        .value_kind:     hidden_group_size_z
      - .offset:         1538
        .size:           2
        .value_kind:     hidden_remainder_x
      - .offset:         1540
        .size:           2
        .value_kind:     hidden_remainder_y
      - .offset:         1542
        .size:           2
        .value_kind:     hidden_remainder_z
      - .offset:         1560
        .size:           8
        .value_kind:     hidden_global_offset_x
      - .offset:         1568
        .size:           8
        .value_kind:     hidden_global_offset_y
      - .offset:         1576
        .size:           8
        .value_kind:     hidden_global_offset_z
      - .offset:         1584
        .size:           2
        .value_kind:     hidden_grid_dims
    .group_segment_fixed_size: 0
    .kernarg_segment_align: 8
    .kernarg_segment_size: 1776
    .language:       OpenCL C
    .language_version:
      - 2
      - 0
    .max_flat_workgroup_size: 512
    .name:           _ZN2at6native12_GLOBAL__N_16kernel18lstm_cell_backwardIN3c108BFloat16EfiLi2EEEvNS_4cuda6detail10TensorInfoIT_T1_EESB_SB_SB_SB_SB_SB_SA_SA_
    .private_segment_fixed_size: 0
    .sgpr_count:     74
    .sgpr_spill_count: 0
    .symbol:         _ZN2at6native12_GLOBAL__N_16kernel18lstm_cell_backwardIN3c108BFloat16EfiLi2EEEvNS_4cuda6detail10TensorInfoIT_T1_EESB_SB_SB_SB_SB_SB_SA_SA_.kd
    .uniform_work_group_size: 1
    .uses_dynamic_stack: false
    .vgpr_count:     43
    .vgpr_spill_count: 0
    .wavefront_size: 64
  - .agpr_count:     0
    .args:
      - .offset:         0
        .size:           416
        .value_kind:     by_value
      - .offset:         416
        .size:           416
        .value_kind:     by_value
      - .offset:         832
        .size:           416
        .value_kind:     by_value
      - .offset:         1248
        .size:           416
        .value_kind:     by_value
      - .offset:         1664
        .size:           416
        .value_kind:     by_value
      - .offset:         2080
        .size:           416
        .value_kind:     by_value
      - .offset:         2496
        .size:           416
        .value_kind:     by_value
      - .offset:         2912
        .size:           8
        .value_kind:     by_value
      - .offset:         2920
        .size:           8
        .value_kind:     by_value
      - .offset:         2928
        .size:           4
        .value_kind:     hidden_block_count_x
      - .offset:         2932
        .size:           4
        .value_kind:     hidden_block_count_y
      - .offset:         2936
        .size:           4
        .value_kind:     hidden_block_count_z
      - .offset:         2940
        .size:           2
        .value_kind:     hidden_group_size_x
      - .offset:         2942
        .size:           2
        .value_kind:     hidden_group_size_y
      - .offset:         2944
        .size:           2
        .value_kind:     hidden_group_size_z
      - .offset:         2946
        .size:           2
        .value_kind:     hidden_remainder_x
      - .offset:         2948
        .size:           2
        .value_kind:     hidden_remainder_y
      - .offset:         2950
        .size:           2
        .value_kind:     hidden_remainder_z
      - .offset:         2968
        .size:           8
        .value_kind:     hidden_global_offset_x
      - .offset:         2976
        .size:           8
        .value_kind:     hidden_global_offset_y
      - .offset:         2984
        .size:           8
        .value_kind:     hidden_global_offset_z
      - .offset:         2992
        .size:           2
        .value_kind:     hidden_grid_dims
    .group_segment_fixed_size: 0
    .kernarg_segment_align: 8
    .kernarg_segment_size: 3184
    .language:       OpenCL C
    .language_version:
      - 2
      - 0
    .max_flat_workgroup_size: 512
    .name:           _ZN2at6native12_GLOBAL__N_16kernel18lstm_cell_backwardIN3c108BFloat16EflLi1EEEvNS_4cuda6detail10TensorInfoIT_T1_EESB_SB_SB_SB_SB_SB_SA_SA_
    .private_segment_fixed_size: 0
    .sgpr_count:     51
    .sgpr_spill_count: 0
    .symbol:         _ZN2at6native12_GLOBAL__N_16kernel18lstm_cell_backwardIN3c108BFloat16EflLi1EEEvNS_4cuda6detail10TensorInfoIT_T1_EESB_SB_SB_SB_SB_SB_SA_SA_.kd
    .uniform_work_group_size: 1
    .uses_dynamic_stack: false
    .vgpr_count:     44
    .vgpr_spill_count: 0
    .wavefront_size: 64
  - .agpr_count:     0
    .args:
      - .offset:         0
        .size:           416
        .value_kind:     by_value
      - .offset:         416
        .size:           416
        .value_kind:     by_value
      - .offset:         832
        .size:           416
        .value_kind:     by_value
      - .offset:         1248
        .size:           416
        .value_kind:     by_value
      - .offset:         1664
        .size:           416
        .value_kind:     by_value
      - .offset:         2080
        .size:           416
        .value_kind:     by_value
      - .offset:         2496
        .size:           416
        .value_kind:     by_value
      - .offset:         2912
        .size:           8
        .value_kind:     by_value
      - .offset:         2920
        .size:           8
        .value_kind:     by_value
      - .offset:         2928
        .size:           4
        .value_kind:     hidden_block_count_x
      - .offset:         2932
        .size:           4
        .value_kind:     hidden_block_count_y
      - .offset:         2936
        .size:           4
        .value_kind:     hidden_block_count_z
      - .offset:         2940
        .size:           2
        .value_kind:     hidden_group_size_x
      - .offset:         2942
        .size:           2
        .value_kind:     hidden_group_size_y
      - .offset:         2944
        .size:           2
        .value_kind:     hidden_group_size_z
      - .offset:         2946
        .size:           2
        .value_kind:     hidden_remainder_x
      - .offset:         2948
        .size:           2
        .value_kind:     hidden_remainder_y
      - .offset:         2950
        .size:           2
        .value_kind:     hidden_remainder_z
      - .offset:         2968
        .size:           8
        .value_kind:     hidden_global_offset_x
      - .offset:         2976
        .size:           8
        .value_kind:     hidden_global_offset_y
      - .offset:         2984
        .size:           8
        .value_kind:     hidden_global_offset_z
      - .offset:         2992
        .size:           2
        .value_kind:     hidden_grid_dims
    .group_segment_fixed_size: 0
    .kernarg_segment_align: 8
    .kernarg_segment_size: 3184
    .language:       OpenCL C
    .language_version:
      - 2
      - 0
    .max_flat_workgroup_size: 512
    .name:           _ZN2at6native12_GLOBAL__N_16kernel18lstm_cell_backwardIN3c108BFloat16EflLi2EEEvNS_4cuda6detail10TensorInfoIT_T1_EESB_SB_SB_SB_SB_SB_SA_SA_
    .private_segment_fixed_size: 0
    .sgpr_count:     99
    .sgpr_spill_count: 0
    .symbol:         _ZN2at6native12_GLOBAL__N_16kernel18lstm_cell_backwardIN3c108BFloat16EflLi2EEEvNS_4cuda6detail10TensorInfoIT_T1_EESB_SB_SB_SB_SB_SB_SA_SA_.kd
    .uniform_work_group_size: 1
    .uses_dynamic_stack: false
    .vgpr_count:     45
    .vgpr_spill_count: 0
    .wavefront_size: 64
  - .agpr_count:     0
    .args:
      - .offset:         0
        .size:           216
        .value_kind:     by_value
      - .offset:         216
        .size:           216
        .value_kind:     by_value
      - .offset:         432
        .size:           216
        .value_kind:     by_value
      - .offset:         648
        .size:           216
        .value_kind:     by_value
      - .offset:         864
        .size:           216
        .value_kind:     by_value
      - .offset:         1080
        .size:           216
        .value_kind:     by_value
      - .offset:         1296
        .size:           216
        .value_kind:     by_value
      - .offset:         1512
        .size:           4
        .value_kind:     by_value
      - .offset:         1516
        .size:           4
        .value_kind:     by_value
      - .offset:         1520
        .size:           4
        .value_kind:     hidden_block_count_x
      - .offset:         1524
        .size:           4
        .value_kind:     hidden_block_count_y
      - .offset:         1528
        .size:           4
        .value_kind:     hidden_block_count_z
      - .offset:         1532
        .size:           2
        .value_kind:     hidden_group_size_x
      - .offset:         1534
        .size:           2
        .value_kind:     hidden_group_size_y
      - .offset:         1536
        .size:           2
        .value_kind:     hidden_group_size_z
      - .offset:         1538
        .size:           2
        .value_kind:     hidden_remainder_x
      - .offset:         1540
        .size:           2
        .value_kind:     hidden_remainder_y
      - .offset:         1542
        .size:           2
        .value_kind:     hidden_remainder_z
      - .offset:         1560
        .size:           8
        .value_kind:     hidden_global_offset_x
      - .offset:         1568
        .size:           8
        .value_kind:     hidden_global_offset_y
      - .offset:         1576
        .size:           8
        .value_kind:     hidden_global_offset_z
      - .offset:         1584
        .size:           2
        .value_kind:     hidden_grid_dims
    .group_segment_fixed_size: 0
    .kernarg_segment_align: 8
    .kernarg_segment_size: 1776
    .language:       OpenCL C
    .language_version:
      - 2
      - 0
    .max_flat_workgroup_size: 512
    .name:           _ZN2at6native12_GLOBAL__N_16kernel16gru_cell_forwardIddiLi1EEEvNS_4cuda6detail10TensorInfoIT_T1_EES9_S9_S9_S9_S9_S9_S8_S8_
    .private_segment_fixed_size: 0
    .sgpr_count:     82
    .sgpr_spill_count: 0
    .symbol:         _ZN2at6native12_GLOBAL__N_16kernel16gru_cell_forwardIddiLi1EEEvNS_4cuda6detail10TensorInfoIT_T1_EES9_S9_S9_S9_S9_S9_S8_S8_.kd
    .uniform_work_group_size: 1
    .uses_dynamic_stack: false
    .vgpr_count:     48
    .vgpr_spill_count: 0
    .wavefront_size: 64
  - .agpr_count:     0
    .args:
      - .offset:         0
        .size:           216
        .value_kind:     by_value
      - .offset:         216
        .size:           216
        .value_kind:     by_value
      - .offset:         432
        .size:           216
        .value_kind:     by_value
      - .offset:         648
        .size:           216
        .value_kind:     by_value
      - .offset:         864
        .size:           216
        .value_kind:     by_value
      - .offset:         1080
        .size:           216
        .value_kind:     by_value
      - .offset:         1296
        .size:           216
        .value_kind:     by_value
      - .offset:         1512
        .size:           4
        .value_kind:     by_value
      - .offset:         1516
        .size:           4
        .value_kind:     by_value
      - .offset:         1520
        .size:           4
        .value_kind:     hidden_block_count_x
      - .offset:         1524
        .size:           4
        .value_kind:     hidden_block_count_y
      - .offset:         1528
        .size:           4
        .value_kind:     hidden_block_count_z
      - .offset:         1532
        .size:           2
        .value_kind:     hidden_group_size_x
      - .offset:         1534
        .size:           2
        .value_kind:     hidden_group_size_y
      - .offset:         1536
        .size:           2
        .value_kind:     hidden_group_size_z
      - .offset:         1538
        .size:           2
        .value_kind:     hidden_remainder_x
      - .offset:         1540
        .size:           2
        .value_kind:     hidden_remainder_y
      - .offset:         1542
        .size:           2
        .value_kind:     hidden_remainder_z
      - .offset:         1560
        .size:           8
        .value_kind:     hidden_global_offset_x
      - .offset:         1568
        .size:           8
        .value_kind:     hidden_global_offset_y
      - .offset:         1576
        .size:           8
        .value_kind:     hidden_global_offset_z
      - .offset:         1584
        .size:           2
        .value_kind:     hidden_grid_dims
    .group_segment_fixed_size: 0
    .kernarg_segment_align: 8
    .kernarg_segment_size: 1776
    .language:       OpenCL C
    .language_version:
      - 2
      - 0
    .max_flat_workgroup_size: 512
    .name:           _ZN2at6native12_GLOBAL__N_16kernel16gru_cell_forwardIddiLi2EEEvNS_4cuda6detail10TensorInfoIT_T1_EES9_S9_S9_S9_S9_S9_S8_S8_
    .private_segment_fixed_size: 0
    .sgpr_count:     100
    .sgpr_spill_count: 0
    .symbol:         _ZN2at6native12_GLOBAL__N_16kernel16gru_cell_forwardIddiLi2EEEvNS_4cuda6detail10TensorInfoIT_T1_EES9_S9_S9_S9_S9_S9_S8_S8_.kd
    .uniform_work_group_size: 1
    .uses_dynamic_stack: false
    .vgpr_count:     50
    .vgpr_spill_count: 0
    .wavefront_size: 64
  - .agpr_count:     0
    .args:
      - .offset:         0
        .size:           416
        .value_kind:     by_value
      - .offset:         416
        .size:           416
        .value_kind:     by_value
      - .offset:         832
        .size:           416
        .value_kind:     by_value
      - .offset:         1248
        .size:           416
        .value_kind:     by_value
      - .offset:         1664
        .size:           416
        .value_kind:     by_value
      - .offset:         2080
        .size:           416
        .value_kind:     by_value
      - .offset:         2496
        .size:           416
        .value_kind:     by_value
      - .offset:         2912
        .size:           8
        .value_kind:     by_value
      - .offset:         2920
        .size:           8
        .value_kind:     by_value
      - .offset:         2928
        .size:           4
        .value_kind:     hidden_block_count_x
      - .offset:         2932
        .size:           4
        .value_kind:     hidden_block_count_y
      - .offset:         2936
        .size:           4
        .value_kind:     hidden_block_count_z
      - .offset:         2940
        .size:           2
        .value_kind:     hidden_group_size_x
      - .offset:         2942
        .size:           2
        .value_kind:     hidden_group_size_y
      - .offset:         2944
        .size:           2
        .value_kind:     hidden_group_size_z
      - .offset:         2946
        .size:           2
        .value_kind:     hidden_remainder_x
      - .offset:         2948
        .size:           2
        .value_kind:     hidden_remainder_y
      - .offset:         2950
        .size:           2
        .value_kind:     hidden_remainder_z
      - .offset:         2968
        .size:           8
        .value_kind:     hidden_global_offset_x
      - .offset:         2976
        .size:           8
        .value_kind:     hidden_global_offset_y
      - .offset:         2984
        .size:           8
        .value_kind:     hidden_global_offset_z
      - .offset:         2992
        .size:           2
        .value_kind:     hidden_grid_dims
    .group_segment_fixed_size: 0
    .kernarg_segment_align: 8
    .kernarg_segment_size: 3184
    .language:       OpenCL C
    .language_version:
      - 2
      - 0
    .max_flat_workgroup_size: 512
    .name:           _ZN2at6native12_GLOBAL__N_16kernel16gru_cell_forwardIddlLi1EEEvNS_4cuda6detail10TensorInfoIT_T1_EES9_S9_S9_S9_S9_S9_S8_S8_
    .private_segment_fixed_size: 0
    .sgpr_count:     96
    .sgpr_spill_count: 0
    .symbol:         _ZN2at6native12_GLOBAL__N_16kernel16gru_cell_forwardIddlLi1EEEvNS_4cuda6detail10TensorInfoIT_T1_EES9_S9_S9_S9_S9_S9_S8_S8_.kd
    .uniform_work_group_size: 1
    .uses_dynamic_stack: false
    .vgpr_count:     46
    .vgpr_spill_count: 0
    .wavefront_size: 64
  - .agpr_count:     0
    .args:
      - .offset:         0
        .size:           416
        .value_kind:     by_value
      - .offset:         416
        .size:           416
        .value_kind:     by_value
      - .offset:         832
        .size:           416
        .value_kind:     by_value
      - .offset:         1248
        .size:           416
        .value_kind:     by_value
      - .offset:         1664
        .size:           416
        .value_kind:     by_value
      - .offset:         2080
        .size:           416
        .value_kind:     by_value
      - .offset:         2496
        .size:           416
        .value_kind:     by_value
      - .offset:         2912
        .size:           8
        .value_kind:     by_value
      - .offset:         2920
        .size:           8
        .value_kind:     by_value
      - .offset:         2928
        .size:           4
        .value_kind:     hidden_block_count_x
      - .offset:         2932
        .size:           4
        .value_kind:     hidden_block_count_y
      - .offset:         2936
        .size:           4
        .value_kind:     hidden_block_count_z
      - .offset:         2940
        .size:           2
        .value_kind:     hidden_group_size_x
      - .offset:         2942
        .size:           2
        .value_kind:     hidden_group_size_y
      - .offset:         2944
        .size:           2
        .value_kind:     hidden_group_size_z
      - .offset:         2946
        .size:           2
        .value_kind:     hidden_remainder_x
      - .offset:         2948
        .size:           2
        .value_kind:     hidden_remainder_y
      - .offset:         2950
        .size:           2
        .value_kind:     hidden_remainder_z
      - .offset:         2968
        .size:           8
        .value_kind:     hidden_global_offset_x
      - .offset:         2976
        .size:           8
        .value_kind:     hidden_global_offset_y
      - .offset:         2984
        .size:           8
        .value_kind:     hidden_global_offset_z
      - .offset:         2992
        .size:           2
        .value_kind:     hidden_grid_dims
    .group_segment_fixed_size: 0
    .kernarg_segment_align: 8
    .kernarg_segment_size: 3184
    .language:       OpenCL C
    .language_version:
      - 2
      - 0
    .max_flat_workgroup_size: 512
    .name:           _ZN2at6native12_GLOBAL__N_16kernel16gru_cell_forwardIddlLi2EEEvNS_4cuda6detail10TensorInfoIT_T1_EES9_S9_S9_S9_S9_S9_S8_S8_
    .private_segment_fixed_size: 0
    .sgpr_count:     100
    .sgpr_spill_count: 8
    .symbol:         _ZN2at6native12_GLOBAL__N_16kernel16gru_cell_forwardIddlLi2EEEvNS_4cuda6detail10TensorInfoIT_T1_EES9_S9_S9_S9_S9_S9_S8_S8_.kd
    .uniform_work_group_size: 1
    .uses_dynamic_stack: false
    .vgpr_count:     47
    .vgpr_spill_count: 0
    .wavefront_size: 64
  - .agpr_count:     0
    .args:
      - .offset:         0
        .size:           216
        .value_kind:     by_value
      - .offset:         216
        .size:           216
        .value_kind:     by_value
      - .offset:         432
        .size:           216
        .value_kind:     by_value
      - .offset:         648
        .size:           216
        .value_kind:     by_value
      - .offset:         864
        .size:           216
        .value_kind:     by_value
      - .offset:         1080
        .size:           216
        .value_kind:     by_value
      - .offset:         1296
        .size:           216
        .value_kind:     by_value
      - .offset:         1512
        .size:           4
        .value_kind:     by_value
      - .offset:         1516
        .size:           4
        .value_kind:     by_value
      - .offset:         1520
        .size:           4
        .value_kind:     hidden_block_count_x
      - .offset:         1524
        .size:           4
        .value_kind:     hidden_block_count_y
      - .offset:         1528
        .size:           4
        .value_kind:     hidden_block_count_z
      - .offset:         1532
        .size:           2
        .value_kind:     hidden_group_size_x
      - .offset:         1534
        .size:           2
        .value_kind:     hidden_group_size_y
      - .offset:         1536
        .size:           2
        .value_kind:     hidden_group_size_z
      - .offset:         1538
        .size:           2
        .value_kind:     hidden_remainder_x
      - .offset:         1540
        .size:           2
        .value_kind:     hidden_remainder_y
      - .offset:         1542
        .size:           2
        .value_kind:     hidden_remainder_z
      - .offset:         1560
        .size:           8
        .value_kind:     hidden_global_offset_x
      - .offset:         1568
        .size:           8
        .value_kind:     hidden_global_offset_y
      - .offset:         1576
        .size:           8
        .value_kind:     hidden_global_offset_z
      - .offset:         1584
        .size:           2
        .value_kind:     hidden_grid_dims
    .group_segment_fixed_size: 0
    .kernarg_segment_align: 8
    .kernarg_segment_size: 1776
    .language:       OpenCL C
    .language_version:
      - 2
      - 0
    .max_flat_workgroup_size: 512
    .name:           _ZN2at6native12_GLOBAL__N_16kernel16gru_cell_forwardIffiLi1EEEvNS_4cuda6detail10TensorInfoIT_T1_EES9_S9_S9_S9_S9_S9_S8_S8_
    .private_segment_fixed_size: 0
    .sgpr_count:     48
    .sgpr_spill_count: 0
    .symbol:         _ZN2at6native12_GLOBAL__N_16kernel16gru_cell_forwardIffiLi1EEEvNS_4cuda6detail10TensorInfoIT_T1_EES9_S9_S9_S9_S9_S9_S8_S8_.kd
    .uniform_work_group_size: 1
    .uses_dynamic_stack: false
    .vgpr_count:     35
    .vgpr_spill_count: 0
    .wavefront_size: 64
  - .agpr_count:     0
    .args:
      - .offset:         0
        .size:           216
        .value_kind:     by_value
      - .offset:         216
        .size:           216
        .value_kind:     by_value
      - .offset:         432
        .size:           216
        .value_kind:     by_value
      - .offset:         648
        .size:           216
        .value_kind:     by_value
      - .offset:         864
        .size:           216
        .value_kind:     by_value
      - .offset:         1080
        .size:           216
        .value_kind:     by_value
      - .offset:         1296
        .size:           216
        .value_kind:     by_value
      - .offset:         1512
        .size:           4
        .value_kind:     by_value
      - .offset:         1516
        .size:           4
        .value_kind:     by_value
      - .offset:         1520
        .size:           4
        .value_kind:     hidden_block_count_x
      - .offset:         1524
        .size:           4
        .value_kind:     hidden_block_count_y
      - .offset:         1528
        .size:           4
        .value_kind:     hidden_block_count_z
      - .offset:         1532
        .size:           2
        .value_kind:     hidden_group_size_x
      - .offset:         1534
        .size:           2
        .value_kind:     hidden_group_size_y
      - .offset:         1536
        .size:           2
        .value_kind:     hidden_group_size_z
      - .offset:         1538
        .size:           2
        .value_kind:     hidden_remainder_x
      - .offset:         1540
        .size:           2
        .value_kind:     hidden_remainder_y
      - .offset:         1542
        .size:           2
        .value_kind:     hidden_remainder_z
      - .offset:         1560
        .size:           8
        .value_kind:     hidden_global_offset_x
      - .offset:         1568
        .size:           8
        .value_kind:     hidden_global_offset_y
      - .offset:         1576
        .size:           8
        .value_kind:     hidden_global_offset_z
      - .offset:         1584
        .size:           2
        .value_kind:     hidden_grid_dims
    .group_segment_fixed_size: 0
    .kernarg_segment_align: 8
    .kernarg_segment_size: 1776
    .language:       OpenCL C
    .language_version:
      - 2
      - 0
    .max_flat_workgroup_size: 512
    .name:           _ZN2at6native12_GLOBAL__N_16kernel16gru_cell_forwardIffiLi2EEEvNS_4cuda6detail10TensorInfoIT_T1_EES9_S9_S9_S9_S9_S9_S8_S8_
    .private_segment_fixed_size: 0
    .sgpr_count:     68
    .sgpr_spill_count: 0
    .symbol:         _ZN2at6native12_GLOBAL__N_16kernel16gru_cell_forwardIffiLi2EEEvNS_4cuda6detail10TensorInfoIT_T1_EES9_S9_S9_S9_S9_S9_S8_S8_.kd
    .uniform_work_group_size: 1
    .uses_dynamic_stack: false
    .vgpr_count:     41
    .vgpr_spill_count: 0
    .wavefront_size: 64
  - .agpr_count:     0
    .args:
      - .offset:         0
        .size:           416
        .value_kind:     by_value
      - .offset:         416
        .size:           416
        .value_kind:     by_value
      - .offset:         832
        .size:           416
        .value_kind:     by_value
      - .offset:         1248
        .size:           416
        .value_kind:     by_value
      - .offset:         1664
        .size:           416
        .value_kind:     by_value
      - .offset:         2080
        .size:           416
        .value_kind:     by_value
      - .offset:         2496
        .size:           416
        .value_kind:     by_value
      - .offset:         2912
        .size:           8
        .value_kind:     by_value
      - .offset:         2920
        .size:           8
        .value_kind:     by_value
      - .offset:         2928
        .size:           4
        .value_kind:     hidden_block_count_x
      - .offset:         2932
        .size:           4
        .value_kind:     hidden_block_count_y
      - .offset:         2936
        .size:           4
        .value_kind:     hidden_block_count_z
      - .offset:         2940
        .size:           2
        .value_kind:     hidden_group_size_x
      - .offset:         2942
        .size:           2
        .value_kind:     hidden_group_size_y
      - .offset:         2944
        .size:           2
        .value_kind:     hidden_group_size_z
      - .offset:         2946
        .size:           2
        .value_kind:     hidden_remainder_x
      - .offset:         2948
        .size:           2
        .value_kind:     hidden_remainder_y
      - .offset:         2950
        .size:           2
        .value_kind:     hidden_remainder_z
      - .offset:         2968
        .size:           8
        .value_kind:     hidden_global_offset_x
      - .offset:         2976
        .size:           8
        .value_kind:     hidden_global_offset_y
      - .offset:         2984
        .size:           8
        .value_kind:     hidden_global_offset_z
      - .offset:         2992
        .size:           2
        .value_kind:     hidden_grid_dims
    .group_segment_fixed_size: 0
    .kernarg_segment_align: 8
    .kernarg_segment_size: 3184
    .language:       OpenCL C
    .language_version:
      - 2
      - 0
    .max_flat_workgroup_size: 512
    .name:           _ZN2at6native12_GLOBAL__N_16kernel16gru_cell_forwardIfflLi1EEEvNS_4cuda6detail10TensorInfoIT_T1_EES9_S9_S9_S9_S9_S9_S8_S8_
    .private_segment_fixed_size: 0
    .sgpr_count:     61
    .sgpr_spill_count: 0
    .symbol:         _ZN2at6native12_GLOBAL__N_16kernel16gru_cell_forwardIfflLi1EEEvNS_4cuda6detail10TensorInfoIT_T1_EES9_S9_S9_S9_S9_S9_S8_S8_.kd
    .uniform_work_group_size: 1
    .uses_dynamic_stack: false
    .vgpr_count:     36
    .vgpr_spill_count: 0
    .wavefront_size: 64
  - .agpr_count:     0
    .args:
      - .offset:         0
        .size:           416
        .value_kind:     by_value
      - .offset:         416
        .size:           416
        .value_kind:     by_value
      - .offset:         832
        .size:           416
        .value_kind:     by_value
      - .offset:         1248
        .size:           416
        .value_kind:     by_value
      - .offset:         1664
        .size:           416
        .value_kind:     by_value
      - .offset:         2080
        .size:           416
        .value_kind:     by_value
      - .offset:         2496
        .size:           416
        .value_kind:     by_value
      - .offset:         2912
        .size:           8
        .value_kind:     by_value
      - .offset:         2920
        .size:           8
        .value_kind:     by_value
      - .offset:         2928
        .size:           4
        .value_kind:     hidden_block_count_x
      - .offset:         2932
        .size:           4
        .value_kind:     hidden_block_count_y
      - .offset:         2936
        .size:           4
        .value_kind:     hidden_block_count_z
      - .offset:         2940
        .size:           2
        .value_kind:     hidden_group_size_x
      - .offset:         2942
        .size:           2
        .value_kind:     hidden_group_size_y
      - .offset:         2944
        .size:           2
        .value_kind:     hidden_group_size_z
      - .offset:         2946
        .size:           2
        .value_kind:     hidden_remainder_x
      - .offset:         2948
        .size:           2
        .value_kind:     hidden_remainder_y
      - .offset:         2950
        .size:           2
        .value_kind:     hidden_remainder_z
      - .offset:         2968
        .size:           8
        .value_kind:     hidden_global_offset_x
      - .offset:         2976
        .size:           8
        .value_kind:     hidden_global_offset_y
      - .offset:         2984
        .size:           8
        .value_kind:     hidden_global_offset_z
      - .offset:         2992
        .size:           2
        .value_kind:     hidden_grid_dims
    .group_segment_fixed_size: 0
    .kernarg_segment_align: 8
    .kernarg_segment_size: 3184
    .language:       OpenCL C
    .language_version:
      - 2
      - 0
    .max_flat_workgroup_size: 512
    .name:           _ZN2at6native12_GLOBAL__N_16kernel16gru_cell_forwardIfflLi2EEEvNS_4cuda6detail10TensorInfoIT_T1_EES9_S9_S9_S9_S9_S9_S8_S8_
    .private_segment_fixed_size: 0
    .sgpr_count:     89
    .sgpr_spill_count: 0
    .symbol:         _ZN2at6native12_GLOBAL__N_16kernel16gru_cell_forwardIfflLi2EEEvNS_4cuda6detail10TensorInfoIT_T1_EES9_S9_S9_S9_S9_S9_S8_S8_.kd
    .uniform_work_group_size: 1
    .uses_dynamic_stack: false
    .vgpr_count:     39
    .vgpr_spill_count: 0
    .wavefront_size: 64
  - .agpr_count:     0
    .args:
      - .offset:         0
        .size:           216
        .value_kind:     by_value
      - .offset:         216
        .size:           216
        .value_kind:     by_value
      - .offset:         432
        .size:           216
        .value_kind:     by_value
      - .offset:         648
        .size:           216
        .value_kind:     by_value
      - .offset:         864
        .size:           216
        .value_kind:     by_value
      - .offset:         1080
        .size:           216
        .value_kind:     by_value
      - .offset:         1296
        .size:           216
        .value_kind:     by_value
      - .offset:         1512
        .size:           4
        .value_kind:     by_value
      - .offset:         1516
        .size:           4
        .value_kind:     by_value
      - .offset:         1520
        .size:           4
        .value_kind:     hidden_block_count_x
      - .offset:         1524
        .size:           4
        .value_kind:     hidden_block_count_y
      - .offset:         1528
        .size:           4
        .value_kind:     hidden_block_count_z
      - .offset:         1532
        .size:           2
        .value_kind:     hidden_group_size_x
      - .offset:         1534
        .size:           2
        .value_kind:     hidden_group_size_y
      - .offset:         1536
        .size:           2
        .value_kind:     hidden_group_size_z
      - .offset:         1538
        .size:           2
        .value_kind:     hidden_remainder_x
      - .offset:         1540
        .size:           2
        .value_kind:     hidden_remainder_y
      - .offset:         1542
        .size:           2
        .value_kind:     hidden_remainder_z
      - .offset:         1560
        .size:           8
        .value_kind:     hidden_global_offset_x
      - .offset:         1568
        .size:           8
        .value_kind:     hidden_global_offset_y
      - .offset:         1576
        .size:           8
        .value_kind:     hidden_global_offset_z
      - .offset:         1584
        .size:           2
        .value_kind:     hidden_grid_dims
    .group_segment_fixed_size: 0
    .kernarg_segment_align: 8
    .kernarg_segment_size: 1776
    .language:       OpenCL C
    .language_version:
      - 2
      - 0
    .max_flat_workgroup_size: 512
    .name:           _ZN2at6native12_GLOBAL__N_16kernel16gru_cell_forwardIN3c104HalfEfiLi1EEEvNS_4cuda6detail10TensorInfoIT_T1_EESB_SB_SB_SB_SB_SB_SA_SA_
    .private_segment_fixed_size: 0
    .sgpr_count:     48
    .sgpr_spill_count: 0
    .symbol:         _ZN2at6native12_GLOBAL__N_16kernel16gru_cell_forwardIN3c104HalfEfiLi1EEEvNS_4cuda6detail10TensorInfoIT_T1_EESB_SB_SB_SB_SB_SB_SA_SA_.kd
    .uniform_work_group_size: 1
    .uses_dynamic_stack: false
    .vgpr_count:     35
    .vgpr_spill_count: 0
    .wavefront_size: 64
  - .agpr_count:     0
    .args:
      - .offset:         0
        .size:           216
        .value_kind:     by_value
      - .offset:         216
        .size:           216
        .value_kind:     by_value
      - .offset:         432
        .size:           216
        .value_kind:     by_value
      - .offset:         648
        .size:           216
        .value_kind:     by_value
      - .offset:         864
        .size:           216
        .value_kind:     by_value
      - .offset:         1080
        .size:           216
        .value_kind:     by_value
      - .offset:         1296
        .size:           216
        .value_kind:     by_value
      - .offset:         1512
        .size:           4
        .value_kind:     by_value
      - .offset:         1516
        .size:           4
        .value_kind:     by_value
      - .offset:         1520
        .size:           4
        .value_kind:     hidden_block_count_x
      - .offset:         1524
        .size:           4
        .value_kind:     hidden_block_count_y
      - .offset:         1528
        .size:           4
        .value_kind:     hidden_block_count_z
      - .offset:         1532
        .size:           2
        .value_kind:     hidden_group_size_x
      - .offset:         1534
        .size:           2
        .value_kind:     hidden_group_size_y
      - .offset:         1536
        .size:           2
        .value_kind:     hidden_group_size_z
      - .offset:         1538
        .size:           2
        .value_kind:     hidden_remainder_x
      - .offset:         1540
        .size:           2
        .value_kind:     hidden_remainder_y
      - .offset:         1542
        .size:           2
        .value_kind:     hidden_remainder_z
      - .offset:         1560
        .size:           8
        .value_kind:     hidden_global_offset_x
      - .offset:         1568
        .size:           8
        .value_kind:     hidden_global_offset_y
      - .offset:         1576
        .size:           8
        .value_kind:     hidden_global_offset_z
      - .offset:         1584
        .size:           2
        .value_kind:     hidden_grid_dims
    .group_segment_fixed_size: 0
    .kernarg_segment_align: 8
    .kernarg_segment_size: 1776
    .language:       OpenCL C
    .language_version:
      - 2
      - 0
    .max_flat_workgroup_size: 512
    .name:           _ZN2at6native12_GLOBAL__N_16kernel16gru_cell_forwardIN3c104HalfEfiLi2EEEvNS_4cuda6detail10TensorInfoIT_T1_EESB_SB_SB_SB_SB_SB_SA_SA_
    .private_segment_fixed_size: 0
    .sgpr_count:     68
    .sgpr_spill_count: 0
    .symbol:         _ZN2at6native12_GLOBAL__N_16kernel16gru_cell_forwardIN3c104HalfEfiLi2EEEvNS_4cuda6detail10TensorInfoIT_T1_EESB_SB_SB_SB_SB_SB_SA_SA_.kd
    .uniform_work_group_size: 1
    .uses_dynamic_stack: false
    .vgpr_count:     41
    .vgpr_spill_count: 0
    .wavefront_size: 64
  - .agpr_count:     0
    .args:
      - .offset:         0
        .size:           416
        .value_kind:     by_value
      - .offset:         416
        .size:           416
        .value_kind:     by_value
      - .offset:         832
        .size:           416
        .value_kind:     by_value
      - .offset:         1248
        .size:           416
        .value_kind:     by_value
      - .offset:         1664
        .size:           416
        .value_kind:     by_value
      - .offset:         2080
        .size:           416
        .value_kind:     by_value
      - .offset:         2496
        .size:           416
        .value_kind:     by_value
      - .offset:         2912
        .size:           8
        .value_kind:     by_value
      - .offset:         2920
        .size:           8
        .value_kind:     by_value
      - .offset:         2928
        .size:           4
        .value_kind:     hidden_block_count_x
      - .offset:         2932
        .size:           4
        .value_kind:     hidden_block_count_y
      - .offset:         2936
        .size:           4
        .value_kind:     hidden_block_count_z
      - .offset:         2940
        .size:           2
        .value_kind:     hidden_group_size_x
      - .offset:         2942
        .size:           2
        .value_kind:     hidden_group_size_y
      - .offset:         2944
        .size:           2
        .value_kind:     hidden_group_size_z
      - .offset:         2946
        .size:           2
        .value_kind:     hidden_remainder_x
      - .offset:         2948
        .size:           2
        .value_kind:     hidden_remainder_y
      - .offset:         2950
        .size:           2
        .value_kind:     hidden_remainder_z
      - .offset:         2968
        .size:           8
        .value_kind:     hidden_global_offset_x
      - .offset:         2976
        .size:           8
        .value_kind:     hidden_global_offset_y
      - .offset:         2984
        .size:           8
        .value_kind:     hidden_global_offset_z
      - .offset:         2992
        .size:           2
        .value_kind:     hidden_grid_dims
    .group_segment_fixed_size: 0
    .kernarg_segment_align: 8
    .kernarg_segment_size: 3184
    .language:       OpenCL C
    .language_version:
      - 2
      - 0
    .max_flat_workgroup_size: 512
    .name:           _ZN2at6native12_GLOBAL__N_16kernel16gru_cell_forwardIN3c104HalfEflLi1EEEvNS_4cuda6detail10TensorInfoIT_T1_EESB_SB_SB_SB_SB_SB_SA_SA_
    .private_segment_fixed_size: 0
    .sgpr_count:     61
    .sgpr_spill_count: 0
    .symbol:         _ZN2at6native12_GLOBAL__N_16kernel16gru_cell_forwardIN3c104HalfEflLi1EEEvNS_4cuda6detail10TensorInfoIT_T1_EESB_SB_SB_SB_SB_SB_SA_SA_.kd
    .uniform_work_group_size: 1
    .uses_dynamic_stack: false
    .vgpr_count:     36
    .vgpr_spill_count: 0
    .wavefront_size: 64
  - .agpr_count:     0
    .args:
      - .offset:         0
        .size:           416
        .value_kind:     by_value
      - .offset:         416
        .size:           416
        .value_kind:     by_value
      - .offset:         832
        .size:           416
        .value_kind:     by_value
      - .offset:         1248
        .size:           416
        .value_kind:     by_value
      - .offset:         1664
        .size:           416
        .value_kind:     by_value
      - .offset:         2080
        .size:           416
        .value_kind:     by_value
      - .offset:         2496
        .size:           416
        .value_kind:     by_value
      - .offset:         2912
        .size:           8
        .value_kind:     by_value
      - .offset:         2920
        .size:           8
        .value_kind:     by_value
      - .offset:         2928
        .size:           4
        .value_kind:     hidden_block_count_x
      - .offset:         2932
        .size:           4
        .value_kind:     hidden_block_count_y
      - .offset:         2936
        .size:           4
        .value_kind:     hidden_block_count_z
      - .offset:         2940
        .size:           2
        .value_kind:     hidden_group_size_x
      - .offset:         2942
        .size:           2
        .value_kind:     hidden_group_size_y
      - .offset:         2944
        .size:           2
        .value_kind:     hidden_group_size_z
      - .offset:         2946
        .size:           2
        .value_kind:     hidden_remainder_x
      - .offset:         2948
        .size:           2
        .value_kind:     hidden_remainder_y
      - .offset:         2950
        .size:           2
        .value_kind:     hidden_remainder_z
      - .offset:         2968
        .size:           8
        .value_kind:     hidden_global_offset_x
      - .offset:         2976
        .size:           8
        .value_kind:     hidden_global_offset_y
      - .offset:         2984
        .size:           8
        .value_kind:     hidden_global_offset_z
      - .offset:         2992
        .size:           2
        .value_kind:     hidden_grid_dims
    .group_segment_fixed_size: 0
    .kernarg_segment_align: 8
    .kernarg_segment_size: 3184
    .language:       OpenCL C
    .language_version:
      - 2
      - 0
    .max_flat_workgroup_size: 512
    .name:           _ZN2at6native12_GLOBAL__N_16kernel16gru_cell_forwardIN3c104HalfEflLi2EEEvNS_4cuda6detail10TensorInfoIT_T1_EESB_SB_SB_SB_SB_SB_SA_SA_
    .private_segment_fixed_size: 0
    .sgpr_count:     89
    .sgpr_spill_count: 0
    .symbol:         _ZN2at6native12_GLOBAL__N_16kernel16gru_cell_forwardIN3c104HalfEflLi2EEEvNS_4cuda6detail10TensorInfoIT_T1_EESB_SB_SB_SB_SB_SB_SA_SA_.kd
    .uniform_work_group_size: 1
    .uses_dynamic_stack: false
    .vgpr_count:     39
    .vgpr_spill_count: 0
    .wavefront_size: 64
  - .agpr_count:     0
    .args:
      - .offset:         0
        .size:           216
        .value_kind:     by_value
      - .offset:         216
        .size:           216
        .value_kind:     by_value
      - .offset:         432
        .size:           216
        .value_kind:     by_value
      - .offset:         648
        .size:           216
        .value_kind:     by_value
      - .offset:         864
        .size:           216
        .value_kind:     by_value
      - .offset:         1080
        .size:           216
        .value_kind:     by_value
      - .offset:         1296
        .size:           216
        .value_kind:     by_value
      - .offset:         1512
        .size:           4
        .value_kind:     by_value
      - .offset:         1516
        .size:           4
        .value_kind:     by_value
      - .offset:         1520
        .size:           4
        .value_kind:     hidden_block_count_x
      - .offset:         1524
        .size:           4
        .value_kind:     hidden_block_count_y
      - .offset:         1528
        .size:           4
        .value_kind:     hidden_block_count_z
      - .offset:         1532
        .size:           2
        .value_kind:     hidden_group_size_x
      - .offset:         1534
        .size:           2
        .value_kind:     hidden_group_size_y
      - .offset:         1536
        .size:           2
        .value_kind:     hidden_group_size_z
      - .offset:         1538
        .size:           2
        .value_kind:     hidden_remainder_x
      - .offset:         1540
        .size:           2
        .value_kind:     hidden_remainder_y
      - .offset:         1542
        .size:           2
        .value_kind:     hidden_remainder_z
      - .offset:         1560
        .size:           8
        .value_kind:     hidden_global_offset_x
      - .offset:         1568
        .size:           8
        .value_kind:     hidden_global_offset_y
      - .offset:         1576
        .size:           8
        .value_kind:     hidden_global_offset_z
      - .offset:         1584
        .size:           2
        .value_kind:     hidden_grid_dims
    .group_segment_fixed_size: 0
    .kernarg_segment_align: 8
    .kernarg_segment_size: 1776
    .language:       OpenCL C
    .language_version:
      - 2
      - 0
    .max_flat_workgroup_size: 512
    .name:           _ZN2at6native12_GLOBAL__N_16kernel16gru_cell_forwardIN3c108BFloat16EfiLi1EEEvNS_4cuda6detail10TensorInfoIT_T1_EESB_SB_SB_SB_SB_SB_SA_SA_
    .private_segment_fixed_size: 0
    .sgpr_count:     50
    .sgpr_spill_count: 0
    .symbol:         _ZN2at6native12_GLOBAL__N_16kernel16gru_cell_forwardIN3c108BFloat16EfiLi1EEEvNS_4cuda6detail10TensorInfoIT_T1_EESB_SB_SB_SB_SB_SB_SA_SA_.kd
    .uniform_work_group_size: 1
    .uses_dynamic_stack: false
    .vgpr_count:     37
    .vgpr_spill_count: 0
    .wavefront_size: 64
  - .agpr_count:     0
    .args:
      - .offset:         0
        .size:           216
        .value_kind:     by_value
      - .offset:         216
        .size:           216
        .value_kind:     by_value
      - .offset:         432
        .size:           216
        .value_kind:     by_value
      - .offset:         648
        .size:           216
        .value_kind:     by_value
      - .offset:         864
        .size:           216
        .value_kind:     by_value
      - .offset:         1080
        .size:           216
        .value_kind:     by_value
      - .offset:         1296
        .size:           216
        .value_kind:     by_value
      - .offset:         1512
        .size:           4
        .value_kind:     by_value
      - .offset:         1516
        .size:           4
        .value_kind:     by_value
      - .offset:         1520
        .size:           4
        .value_kind:     hidden_block_count_x
      - .offset:         1524
        .size:           4
        .value_kind:     hidden_block_count_y
      - .offset:         1528
        .size:           4
        .value_kind:     hidden_block_count_z
      - .offset:         1532
        .size:           2
        .value_kind:     hidden_group_size_x
      - .offset:         1534
        .size:           2
        .value_kind:     hidden_group_size_y
      - .offset:         1536
        .size:           2
        .value_kind:     hidden_group_size_z
      - .offset:         1538
        .size:           2
        .value_kind:     hidden_remainder_x
      - .offset:         1540
        .size:           2
        .value_kind:     hidden_remainder_y
      - .offset:         1542
        .size:           2
        .value_kind:     hidden_remainder_z
      - .offset:         1560
        .size:           8
        .value_kind:     hidden_global_offset_x
      - .offset:         1568
        .size:           8
        .value_kind:     hidden_global_offset_y
      - .offset:         1576
        .size:           8
        .value_kind:     hidden_global_offset_z
      - .offset:         1584
        .size:           2
        .value_kind:     hidden_grid_dims
    .group_segment_fixed_size: 0
    .kernarg_segment_align: 8
    .kernarg_segment_size: 1776
    .language:       OpenCL C
    .language_version:
      - 2
      - 0
    .max_flat_workgroup_size: 512
    .name:           _ZN2at6native12_GLOBAL__N_16kernel16gru_cell_forwardIN3c108BFloat16EfiLi2EEEvNS_4cuda6detail10TensorInfoIT_T1_EESB_SB_SB_SB_SB_SB_SA_SA_
    .private_segment_fixed_size: 0
    .sgpr_count:     70
    .sgpr_spill_count: 0
    .symbol:         _ZN2at6native12_GLOBAL__N_16kernel16gru_cell_forwardIN3c108BFloat16EfiLi2EEEvNS_4cuda6detail10TensorInfoIT_T1_EESB_SB_SB_SB_SB_SB_SA_SA_.kd
    .uniform_work_group_size: 1
    .uses_dynamic_stack: false
    .vgpr_count:     39
    .vgpr_spill_count: 0
    .wavefront_size: 64
  - .agpr_count:     0
    .args:
      - .offset:         0
        .size:           416
        .value_kind:     by_value
      - .offset:         416
        .size:           416
        .value_kind:     by_value
      - .offset:         832
        .size:           416
        .value_kind:     by_value
      - .offset:         1248
        .size:           416
        .value_kind:     by_value
      - .offset:         1664
        .size:           416
        .value_kind:     by_value
      - .offset:         2080
        .size:           416
        .value_kind:     by_value
      - .offset:         2496
        .size:           416
        .value_kind:     by_value
      - .offset:         2912
        .size:           8
        .value_kind:     by_value
      - .offset:         2920
        .size:           8
        .value_kind:     by_value
      - .offset:         2928
        .size:           4
        .value_kind:     hidden_block_count_x
      - .offset:         2932
        .size:           4
        .value_kind:     hidden_block_count_y
      - .offset:         2936
        .size:           4
        .value_kind:     hidden_block_count_z
      - .offset:         2940
        .size:           2
        .value_kind:     hidden_group_size_x
      - .offset:         2942
        .size:           2
        .value_kind:     hidden_group_size_y
      - .offset:         2944
        .size:           2
        .value_kind:     hidden_group_size_z
      - .offset:         2946
        .size:           2
        .value_kind:     hidden_remainder_x
      - .offset:         2948
        .size:           2
        .value_kind:     hidden_remainder_y
      - .offset:         2950
        .size:           2
        .value_kind:     hidden_remainder_z
      - .offset:         2968
        .size:           8
        .value_kind:     hidden_global_offset_x
      - .offset:         2976
        .size:           8
        .value_kind:     hidden_global_offset_y
      - .offset:         2984
        .size:           8
        .value_kind:     hidden_global_offset_z
      - .offset:         2992
        .size:           2
        .value_kind:     hidden_grid_dims
    .group_segment_fixed_size: 0
    .kernarg_segment_align: 8
    .kernarg_segment_size: 3184
    .language:       OpenCL C
    .language_version:
      - 2
      - 0
    .max_flat_workgroup_size: 512
    .name:           _ZN2at6native12_GLOBAL__N_16kernel16gru_cell_forwardIN3c108BFloat16EflLi1EEEvNS_4cuda6detail10TensorInfoIT_T1_EESB_SB_SB_SB_SB_SB_SA_SA_
    .private_segment_fixed_size: 0
    .sgpr_count:     63
    .sgpr_spill_count: 0
    .symbol:         _ZN2at6native12_GLOBAL__N_16kernel16gru_cell_forwardIN3c108BFloat16EflLi1EEEvNS_4cuda6detail10TensorInfoIT_T1_EESB_SB_SB_SB_SB_SB_SA_SA_.kd
    .uniform_work_group_size: 1
    .uses_dynamic_stack: false
    .vgpr_count:     36
    .vgpr_spill_count: 0
    .wavefront_size: 64
  - .agpr_count:     0
    .args:
      - .offset:         0
        .size:           416
        .value_kind:     by_value
      - .offset:         416
        .size:           416
        .value_kind:     by_value
      - .offset:         832
        .size:           416
        .value_kind:     by_value
      - .offset:         1248
        .size:           416
        .value_kind:     by_value
      - .offset:         1664
        .size:           416
        .value_kind:     by_value
      - .offset:         2080
        .size:           416
        .value_kind:     by_value
      - .offset:         2496
        .size:           416
        .value_kind:     by_value
      - .offset:         2912
        .size:           8
        .value_kind:     by_value
      - .offset:         2920
        .size:           8
        .value_kind:     by_value
      - .offset:         2928
        .size:           4
        .value_kind:     hidden_block_count_x
      - .offset:         2932
        .size:           4
        .value_kind:     hidden_block_count_y
      - .offset:         2936
        .size:           4
        .value_kind:     hidden_block_count_z
      - .offset:         2940
        .size:           2
        .value_kind:     hidden_group_size_x
      - .offset:         2942
        .size:           2
        .value_kind:     hidden_group_size_y
      - .offset:         2944
        .size:           2
        .value_kind:     hidden_group_size_z
      - .offset:         2946
        .size:           2
        .value_kind:     hidden_remainder_x
      - .offset:         2948
        .size:           2
        .value_kind:     hidden_remainder_y
      - .offset:         2950
        .size:           2
        .value_kind:     hidden_remainder_z
      - .offset:         2968
        .size:           8
        .value_kind:     hidden_global_offset_x
      - .offset:         2976
        .size:           8
        .value_kind:     hidden_global_offset_y
      - .offset:         2984
        .size:           8
        .value_kind:     hidden_global_offset_z
      - .offset:         2992
        .size:           2
        .value_kind:     hidden_grid_dims
    .group_segment_fixed_size: 0
    .kernarg_segment_align: 8
    .kernarg_segment_size: 3184
    .language:       OpenCL C
    .language_version:
      - 2
      - 0
    .max_flat_workgroup_size: 512
    .name:           _ZN2at6native12_GLOBAL__N_16kernel16gru_cell_forwardIN3c108BFloat16EflLi2EEEvNS_4cuda6detail10TensorInfoIT_T1_EESB_SB_SB_SB_SB_SB_SA_SA_
    .private_segment_fixed_size: 0
    .sgpr_count:     91
    .sgpr_spill_count: 0
    .symbol:         _ZN2at6native12_GLOBAL__N_16kernel16gru_cell_forwardIN3c108BFloat16EflLi2EEEvNS_4cuda6detail10TensorInfoIT_T1_EESB_SB_SB_SB_SB_SB_SA_SA_.kd
    .uniform_work_group_size: 1
    .uses_dynamic_stack: false
    .vgpr_count:     40
    .vgpr_spill_count: 0
    .wavefront_size: 64
  - .agpr_count:     0
    .args:
      - .offset:         0
        .size:           216
        .value_kind:     by_value
      - .offset:         216
        .size:           216
        .value_kind:     by_value
      - .offset:         432
        .size:           216
        .value_kind:     by_value
      - .offset:         648
        .size:           216
        .value_kind:     by_value
      - .offset:         864
        .size:           216
        .value_kind:     by_value
      - .offset:         1080
        .size:           4
        .value_kind:     by_value
      - .offset:         1084
        .size:           4
        .value_kind:     by_value
      - .offset:         1088
        .size:           4
        .value_kind:     hidden_block_count_x
      - .offset:         1092
        .size:           4
        .value_kind:     hidden_block_count_y
      - .offset:         1096
        .size:           4
        .value_kind:     hidden_block_count_z
      - .offset:         1100
        .size:           2
        .value_kind:     hidden_group_size_x
      - .offset:         1102
        .size:           2
        .value_kind:     hidden_group_size_y
      - .offset:         1104
        .size:           2
        .value_kind:     hidden_group_size_z
      - .offset:         1106
        .size:           2
        .value_kind:     hidden_remainder_x
      - .offset:         1108
        .size:           2
        .value_kind:     hidden_remainder_y
      - .offset:         1110
        .size:           2
        .value_kind:     hidden_remainder_z
      - .offset:         1128
        .size:           8
        .value_kind:     hidden_global_offset_x
      - .offset:         1136
        .size:           8
        .value_kind:     hidden_global_offset_y
      - .offset:         1144
        .size:           8
        .value_kind:     hidden_global_offset_z
      - .offset:         1152
        .size:           2
        .value_kind:     hidden_grid_dims
    .group_segment_fixed_size: 0
    .kernarg_segment_align: 8
    .kernarg_segment_size: 1344
    .language:       OpenCL C
    .language_version:
      - 2
      - 0
    .max_flat_workgroup_size: 512
    .name:           _ZN2at6native12_GLOBAL__N_16kernel17gru_cell_backwardIddiLi1EEEvNS_4cuda6detail10TensorInfoIT_T1_EES9_S9_S9_S9_S8_S8_
    .private_segment_fixed_size: 0
    .sgpr_count:     30
    .sgpr_spill_count: 0
    .symbol:         _ZN2at6native12_GLOBAL__N_16kernel17gru_cell_backwardIddiLi1EEEvNS_4cuda6detail10TensorInfoIT_T1_EES9_S9_S9_S9_S8_S8_.kd
    .uniform_work_group_size: 1
    .uses_dynamic_stack: false
    .vgpr_count:     44
    .vgpr_spill_count: 0
    .wavefront_size: 64
  - .agpr_count:     0
    .args:
      - .offset:         0
        .size:           216
        .value_kind:     by_value
      - .offset:         216
        .size:           216
        .value_kind:     by_value
      - .offset:         432
        .size:           216
        .value_kind:     by_value
      - .offset:         648
        .size:           216
        .value_kind:     by_value
      - .offset:         864
        .size:           216
        .value_kind:     by_value
      - .offset:         1080
        .size:           4
        .value_kind:     by_value
      - .offset:         1084
        .size:           4
        .value_kind:     by_value
      - .offset:         1088
        .size:           4
        .value_kind:     hidden_block_count_x
      - .offset:         1092
        .size:           4
        .value_kind:     hidden_block_count_y
      - .offset:         1096
        .size:           4
        .value_kind:     hidden_block_count_z
      - .offset:         1100
        .size:           2
        .value_kind:     hidden_group_size_x
      - .offset:         1102
        .size:           2
        .value_kind:     hidden_group_size_y
      - .offset:         1104
        .size:           2
        .value_kind:     hidden_group_size_z
      - .offset:         1106
        .size:           2
        .value_kind:     hidden_remainder_x
      - .offset:         1108
        .size:           2
        .value_kind:     hidden_remainder_y
      - .offset:         1110
        .size:           2
        .value_kind:     hidden_remainder_z
      - .offset:         1128
        .size:           8
        .value_kind:     hidden_global_offset_x
      - .offset:         1136
        .size:           8
        .value_kind:     hidden_global_offset_y
      - .offset:         1144
        .size:           8
        .value_kind:     hidden_global_offset_z
      - .offset:         1152
        .size:           2
        .value_kind:     hidden_grid_dims
    .group_segment_fixed_size: 0
    .kernarg_segment_align: 8
    .kernarg_segment_size: 1344
    .language:       OpenCL C
    .language_version:
      - 2
      - 0
    .max_flat_workgroup_size: 512
    .name:           _ZN2at6native12_GLOBAL__N_16kernel17gru_cell_backwardIddiLi2EEEvNS_4cuda6detail10TensorInfoIT_T1_EES9_S9_S9_S9_S8_S8_
    .private_segment_fixed_size: 0
    .sgpr_count:     63
    .sgpr_spill_count: 0
    .symbol:         _ZN2at6native12_GLOBAL__N_16kernel17gru_cell_backwardIddiLi2EEEvNS_4cuda6detail10TensorInfoIT_T1_EES9_S9_S9_S9_S8_S8_.kd
    .uniform_work_group_size: 1
    .uses_dynamic_stack: false
    .vgpr_count:     59
    .vgpr_spill_count: 0
    .wavefront_size: 64
  - .agpr_count:     0
    .args:
      - .offset:         0
        .size:           416
        .value_kind:     by_value
      - .offset:         416
        .size:           416
        .value_kind:     by_value
      - .offset:         832
        .size:           416
        .value_kind:     by_value
      - .offset:         1248
        .size:           416
        .value_kind:     by_value
      - .offset:         1664
        .size:           416
        .value_kind:     by_value
      - .offset:         2080
        .size:           8
        .value_kind:     by_value
      - .offset:         2088
        .size:           8
        .value_kind:     by_value
      - .offset:         2096
        .size:           4
        .value_kind:     hidden_block_count_x
      - .offset:         2100
        .size:           4
        .value_kind:     hidden_block_count_y
      - .offset:         2104
        .size:           4
        .value_kind:     hidden_block_count_z
      - .offset:         2108
        .size:           2
        .value_kind:     hidden_group_size_x
      - .offset:         2110
        .size:           2
        .value_kind:     hidden_group_size_y
      - .offset:         2112
        .size:           2
        .value_kind:     hidden_group_size_z
      - .offset:         2114
        .size:           2
        .value_kind:     hidden_remainder_x
      - .offset:         2116
        .size:           2
        .value_kind:     hidden_remainder_y
      - .offset:         2118
        .size:           2
        .value_kind:     hidden_remainder_z
      - .offset:         2136
        .size:           8
        .value_kind:     hidden_global_offset_x
      - .offset:         2144
        .size:           8
        .value_kind:     hidden_global_offset_y
      - .offset:         2152
        .size:           8
        .value_kind:     hidden_global_offset_z
      - .offset:         2160
        .size:           2
        .value_kind:     hidden_grid_dims
    .group_segment_fixed_size: 0
    .kernarg_segment_align: 8
    .kernarg_segment_size: 2352
    .language:       OpenCL C
    .language_version:
      - 2
      - 0
    .max_flat_workgroup_size: 512
    .name:           _ZN2at6native12_GLOBAL__N_16kernel17gru_cell_backwardIddlLi1EEEvNS_4cuda6detail10TensorInfoIT_T1_EES9_S9_S9_S9_S8_S8_
    .private_segment_fixed_size: 0
    .sgpr_count:     41
    .sgpr_spill_count: 0
    .symbol:         _ZN2at6native12_GLOBAL__N_16kernel17gru_cell_backwardIddlLi1EEEvNS_4cuda6detail10TensorInfoIT_T1_EES9_S9_S9_S9_S8_S8_.kd
    .uniform_work_group_size: 1
    .uses_dynamic_stack: false
    .vgpr_count:     28
    .vgpr_spill_count: 0
    .wavefront_size: 64
  - .agpr_count:     0
    .args:
      - .offset:         0
        .size:           416
        .value_kind:     by_value
      - .offset:         416
        .size:           416
        .value_kind:     by_value
      - .offset:         832
        .size:           416
        .value_kind:     by_value
      - .offset:         1248
        .size:           416
        .value_kind:     by_value
      - .offset:         1664
        .size:           416
        .value_kind:     by_value
      - .offset:         2080
        .size:           8
        .value_kind:     by_value
      - .offset:         2088
        .size:           8
        .value_kind:     by_value
      - .offset:         2096
        .size:           4
        .value_kind:     hidden_block_count_x
      - .offset:         2100
        .size:           4
        .value_kind:     hidden_block_count_y
      - .offset:         2104
        .size:           4
        .value_kind:     hidden_block_count_z
      - .offset:         2108
        .size:           2
        .value_kind:     hidden_group_size_x
      - .offset:         2110
        .size:           2
        .value_kind:     hidden_group_size_y
      - .offset:         2112
        .size:           2
        .value_kind:     hidden_group_size_z
      - .offset:         2114
        .size:           2
        .value_kind:     hidden_remainder_x
      - .offset:         2116
        .size:           2
        .value_kind:     hidden_remainder_y
      - .offset:         2118
        .size:           2
        .value_kind:     hidden_remainder_z
      - .offset:         2136
        .size:           8
        .value_kind:     hidden_global_offset_x
      - .offset:         2144
        .size:           8
        .value_kind:     hidden_global_offset_y
      - .offset:         2152
        .size:           8
        .value_kind:     hidden_global_offset_z
      - .offset:         2160
        .size:           2
        .value_kind:     hidden_grid_dims
    .group_segment_fixed_size: 0
    .kernarg_segment_align: 8
    .kernarg_segment_size: 2352
    .language:       OpenCL C
    .language_version:
      - 2
      - 0
    .max_flat_workgroup_size: 512
    .name:           _ZN2at6native12_GLOBAL__N_16kernel17gru_cell_backwardIddlLi2EEEvNS_4cuda6detail10TensorInfoIT_T1_EES9_S9_S9_S9_S8_S8_
    .private_segment_fixed_size: 0
    .sgpr_count:     69
    .sgpr_spill_count: 0
    .symbol:         _ZN2at6native12_GLOBAL__N_16kernel17gru_cell_backwardIddlLi2EEEvNS_4cuda6detail10TensorInfoIT_T1_EES9_S9_S9_S9_S8_S8_.kd
    .uniform_work_group_size: 1
    .uses_dynamic_stack: false
    .vgpr_count:     45
    .vgpr_spill_count: 0
    .wavefront_size: 64
  - .agpr_count:     0
    .args:
      - .offset:         0
        .size:           216
        .value_kind:     by_value
      - .offset:         216
        .size:           216
        .value_kind:     by_value
      - .offset:         432
        .size:           216
        .value_kind:     by_value
      - .offset:         648
        .size:           216
        .value_kind:     by_value
      - .offset:         864
        .size:           216
        .value_kind:     by_value
      - .offset:         1080
        .size:           4
        .value_kind:     by_value
      - .offset:         1084
        .size:           4
        .value_kind:     by_value
      - .offset:         1088
        .size:           4
        .value_kind:     hidden_block_count_x
      - .offset:         1092
        .size:           4
        .value_kind:     hidden_block_count_y
      - .offset:         1096
        .size:           4
        .value_kind:     hidden_block_count_z
      - .offset:         1100
        .size:           2
        .value_kind:     hidden_group_size_x
      - .offset:         1102
        .size:           2
        .value_kind:     hidden_group_size_y
      - .offset:         1104
        .size:           2
        .value_kind:     hidden_group_size_z
      - .offset:         1106
        .size:           2
        .value_kind:     hidden_remainder_x
      - .offset:         1108
        .size:           2
        .value_kind:     hidden_remainder_y
      - .offset:         1110
        .size:           2
        .value_kind:     hidden_remainder_z
      - .offset:         1128
        .size:           8
        .value_kind:     hidden_global_offset_x
      - .offset:         1136
        .size:           8
        .value_kind:     hidden_global_offset_y
      - .offset:         1144
        .size:           8
        .value_kind:     hidden_global_offset_z
      - .offset:         1152
        .size:           2
        .value_kind:     hidden_grid_dims
    .group_segment_fixed_size: 0
    .kernarg_segment_align: 8
    .kernarg_segment_size: 1344
    .language:       OpenCL C
    .language_version:
      - 2
      - 0
    .max_flat_workgroup_size: 512
    .name:           _ZN2at6native12_GLOBAL__N_16kernel17gru_cell_backwardIffiLi1EEEvNS_4cuda6detail10TensorInfoIT_T1_EES9_S9_S9_S9_S8_S8_
    .private_segment_fixed_size: 0
    .sgpr_count:     30
    .sgpr_spill_count: 0
    .symbol:         _ZN2at6native12_GLOBAL__N_16kernel17gru_cell_backwardIffiLi1EEEvNS_4cuda6detail10TensorInfoIT_T1_EES9_S9_S9_S9_S8_S8_.kd
    .uniform_work_group_size: 1
    .uses_dynamic_stack: false
    .vgpr_count:     32
    .vgpr_spill_count: 0
    .wavefront_size: 64
  - .agpr_count:     0
    .args:
      - .offset:         0
        .size:           216
        .value_kind:     by_value
      - .offset:         216
        .size:           216
        .value_kind:     by_value
      - .offset:         432
        .size:           216
        .value_kind:     by_value
      - .offset:         648
        .size:           216
        .value_kind:     by_value
      - .offset:         864
        .size:           216
        .value_kind:     by_value
      - .offset:         1080
        .size:           4
        .value_kind:     by_value
      - .offset:         1084
        .size:           4
        .value_kind:     by_value
      - .offset:         1088
        .size:           4
        .value_kind:     hidden_block_count_x
      - .offset:         1092
        .size:           4
        .value_kind:     hidden_block_count_y
      - .offset:         1096
        .size:           4
        .value_kind:     hidden_block_count_z
      - .offset:         1100
        .size:           2
        .value_kind:     hidden_group_size_x
      - .offset:         1102
        .size:           2
        .value_kind:     hidden_group_size_y
      - .offset:         1104
        .size:           2
        .value_kind:     hidden_group_size_z
      - .offset:         1106
        .size:           2
        .value_kind:     hidden_remainder_x
      - .offset:         1108
        .size:           2
        .value_kind:     hidden_remainder_y
      - .offset:         1110
        .size:           2
        .value_kind:     hidden_remainder_z
      - .offset:         1128
        .size:           8
        .value_kind:     hidden_global_offset_x
      - .offset:         1136
        .size:           8
        .value_kind:     hidden_global_offset_y
      - .offset:         1144
        .size:           8
        .value_kind:     hidden_global_offset_z
      - .offset:         1152
        .size:           2
        .value_kind:     hidden_grid_dims
    .group_segment_fixed_size: 0
    .kernarg_segment_align: 8
    .kernarg_segment_size: 1344
    .language:       OpenCL C
    .language_version:
      - 2
      - 0
    .max_flat_workgroup_size: 512
    .name:           _ZN2at6native12_GLOBAL__N_16kernel17gru_cell_backwardIffiLi2EEEvNS_4cuda6detail10TensorInfoIT_T1_EES9_S9_S9_S9_S8_S8_
    .private_segment_fixed_size: 0
    .sgpr_count:     63
    .sgpr_spill_count: 0
    .symbol:         _ZN2at6native12_GLOBAL__N_16kernel17gru_cell_backwardIffiLi2EEEvNS_4cuda6detail10TensorInfoIT_T1_EES9_S9_S9_S9_S8_S8_.kd
    .uniform_work_group_size: 1
    .uses_dynamic_stack: false
    .vgpr_count:     59
    .vgpr_spill_count: 0
    .wavefront_size: 64
  - .agpr_count:     0
    .args:
      - .offset:         0
        .size:           416
        .value_kind:     by_value
      - .offset:         416
        .size:           416
        .value_kind:     by_value
      - .offset:         832
        .size:           416
        .value_kind:     by_value
      - .offset:         1248
        .size:           416
        .value_kind:     by_value
      - .offset:         1664
        .size:           416
        .value_kind:     by_value
      - .offset:         2080
        .size:           8
        .value_kind:     by_value
      - .offset:         2088
        .size:           8
        .value_kind:     by_value
      - .offset:         2096
        .size:           4
        .value_kind:     hidden_block_count_x
      - .offset:         2100
        .size:           4
        .value_kind:     hidden_block_count_y
      - .offset:         2104
        .size:           4
        .value_kind:     hidden_block_count_z
      - .offset:         2108
        .size:           2
        .value_kind:     hidden_group_size_x
      - .offset:         2110
        .size:           2
        .value_kind:     hidden_group_size_y
      - .offset:         2112
        .size:           2
        .value_kind:     hidden_group_size_z
      - .offset:         2114
        .size:           2
        .value_kind:     hidden_remainder_x
      - .offset:         2116
        .size:           2
        .value_kind:     hidden_remainder_y
      - .offset:         2118
        .size:           2
        .value_kind:     hidden_remainder_z
      - .offset:         2136
        .size:           8
        .value_kind:     hidden_global_offset_x
      - .offset:         2144
        .size:           8
        .value_kind:     hidden_global_offset_y
      - .offset:         2152
        .size:           8
        .value_kind:     hidden_global_offset_z
      - .offset:         2160
        .size:           2
        .value_kind:     hidden_grid_dims
    .group_segment_fixed_size: 0
    .kernarg_segment_align: 8
    .kernarg_segment_size: 2352
    .language:       OpenCL C
    .language_version:
      - 2
      - 0
    .max_flat_workgroup_size: 512
    .name:           _ZN2at6native12_GLOBAL__N_16kernel17gru_cell_backwardIfflLi1EEEvNS_4cuda6detail10TensorInfoIT_T1_EES9_S9_S9_S9_S8_S8_
    .private_segment_fixed_size: 0
    .sgpr_count:     41
    .sgpr_spill_count: 0
    .symbol:         _ZN2at6native12_GLOBAL__N_16kernel17gru_cell_backwardIfflLi1EEEvNS_4cuda6detail10TensorInfoIT_T1_EES9_S9_S9_S9_S8_S8_.kd
    .uniform_work_group_size: 1
    .uses_dynamic_stack: false
    .vgpr_count:     24
    .vgpr_spill_count: 0
    .wavefront_size: 64
  - .agpr_count:     0
    .args:
      - .offset:         0
        .size:           416
        .value_kind:     by_value
      - .offset:         416
        .size:           416
        .value_kind:     by_value
      - .offset:         832
        .size:           416
        .value_kind:     by_value
      - .offset:         1248
        .size:           416
        .value_kind:     by_value
      - .offset:         1664
        .size:           416
        .value_kind:     by_value
      - .offset:         2080
        .size:           8
        .value_kind:     by_value
      - .offset:         2088
        .size:           8
        .value_kind:     by_value
      - .offset:         2096
        .size:           4
        .value_kind:     hidden_block_count_x
      - .offset:         2100
        .size:           4
        .value_kind:     hidden_block_count_y
      - .offset:         2104
        .size:           4
        .value_kind:     hidden_block_count_z
      - .offset:         2108
        .size:           2
        .value_kind:     hidden_group_size_x
      - .offset:         2110
        .size:           2
        .value_kind:     hidden_group_size_y
      - .offset:         2112
        .size:           2
        .value_kind:     hidden_group_size_z
      - .offset:         2114
        .size:           2
        .value_kind:     hidden_remainder_x
      - .offset:         2116
        .size:           2
        .value_kind:     hidden_remainder_y
      - .offset:         2118
        .size:           2
        .value_kind:     hidden_remainder_z
      - .offset:         2136
        .size:           8
        .value_kind:     hidden_global_offset_x
      - .offset:         2144
        .size:           8
        .value_kind:     hidden_global_offset_y
      - .offset:         2152
        .size:           8
        .value_kind:     hidden_global_offset_z
      - .offset:         2160
        .size:           2
        .value_kind:     hidden_grid_dims
    .group_segment_fixed_size: 0
    .kernarg_segment_align: 8
    .kernarg_segment_size: 2352
    .language:       OpenCL C
    .language_version:
      - 2
      - 0
    .max_flat_workgroup_size: 512
    .name:           _ZN2at6native12_GLOBAL__N_16kernel17gru_cell_backwardIfflLi2EEEvNS_4cuda6detail10TensorInfoIT_T1_EES9_S9_S9_S9_S8_S8_
    .private_segment_fixed_size: 0
    .sgpr_count:     69
    .sgpr_spill_count: 0
    .symbol:         _ZN2at6native12_GLOBAL__N_16kernel17gru_cell_backwardIfflLi2EEEvNS_4cuda6detail10TensorInfoIT_T1_EES9_S9_S9_S9_S8_S8_.kd
    .uniform_work_group_size: 1
    .uses_dynamic_stack: false
    .vgpr_count:     37
    .vgpr_spill_count: 0
    .wavefront_size: 64
  - .agpr_count:     0
    .args:
      - .offset:         0
        .size:           216
        .value_kind:     by_value
      - .offset:         216
        .size:           216
        .value_kind:     by_value
      - .offset:         432
        .size:           216
        .value_kind:     by_value
      - .offset:         648
        .size:           216
        .value_kind:     by_value
      - .offset:         864
        .size:           216
        .value_kind:     by_value
      - .offset:         1080
        .size:           4
        .value_kind:     by_value
      - .offset:         1084
        .size:           4
        .value_kind:     by_value
      - .offset:         1088
        .size:           4
        .value_kind:     hidden_block_count_x
      - .offset:         1092
        .size:           4
        .value_kind:     hidden_block_count_y
      - .offset:         1096
        .size:           4
        .value_kind:     hidden_block_count_z
      - .offset:         1100
        .size:           2
        .value_kind:     hidden_group_size_x
      - .offset:         1102
        .size:           2
        .value_kind:     hidden_group_size_y
      - .offset:         1104
        .size:           2
        .value_kind:     hidden_group_size_z
      - .offset:         1106
        .size:           2
        .value_kind:     hidden_remainder_x
      - .offset:         1108
        .size:           2
        .value_kind:     hidden_remainder_y
      - .offset:         1110
        .size:           2
        .value_kind:     hidden_remainder_z
      - .offset:         1128
        .size:           8
        .value_kind:     hidden_global_offset_x
      - .offset:         1136
        .size:           8
        .value_kind:     hidden_global_offset_y
      - .offset:         1144
        .size:           8
        .value_kind:     hidden_global_offset_z
      - .offset:         1152
        .size:           2
        .value_kind:     hidden_grid_dims
    .group_segment_fixed_size: 0
    .kernarg_segment_align: 8
    .kernarg_segment_size: 1344
    .language:       OpenCL C
    .language_version:
      - 2
      - 0
    .max_flat_workgroup_size: 512
    .name:           _ZN2at6native12_GLOBAL__N_16kernel17gru_cell_backwardIN3c104HalfEfiLi1EEEvNS_4cuda6detail10TensorInfoIT_T1_EESB_SB_SB_SB_SA_SA_
    .private_segment_fixed_size: 0
    .sgpr_count:     30
    .sgpr_spill_count: 0
    .symbol:         _ZN2at6native12_GLOBAL__N_16kernel17gru_cell_backwardIN3c104HalfEfiLi1EEEvNS_4cuda6detail10TensorInfoIT_T1_EESB_SB_SB_SB_SA_SA_.kd
    .uniform_work_group_size: 1
    .uses_dynamic_stack: false
    .vgpr_count:     33
    .vgpr_spill_count: 0
    .wavefront_size: 64
  - .agpr_count:     0
    .args:
      - .offset:         0
        .size:           216
        .value_kind:     by_value
      - .offset:         216
        .size:           216
        .value_kind:     by_value
      - .offset:         432
        .size:           216
        .value_kind:     by_value
      - .offset:         648
        .size:           216
        .value_kind:     by_value
      - .offset:         864
        .size:           216
        .value_kind:     by_value
      - .offset:         1080
        .size:           4
        .value_kind:     by_value
      - .offset:         1084
        .size:           4
        .value_kind:     by_value
      - .offset:         1088
        .size:           4
        .value_kind:     hidden_block_count_x
      - .offset:         1092
        .size:           4
        .value_kind:     hidden_block_count_y
      - .offset:         1096
        .size:           4
        .value_kind:     hidden_block_count_z
      - .offset:         1100
        .size:           2
        .value_kind:     hidden_group_size_x
      - .offset:         1102
        .size:           2
        .value_kind:     hidden_group_size_y
      - .offset:         1104
        .size:           2
        .value_kind:     hidden_group_size_z
      - .offset:         1106
        .size:           2
        .value_kind:     hidden_remainder_x
      - .offset:         1108
        .size:           2
        .value_kind:     hidden_remainder_y
      - .offset:         1110
        .size:           2
        .value_kind:     hidden_remainder_z
      - .offset:         1128
        .size:           8
        .value_kind:     hidden_global_offset_x
      - .offset:         1136
        .size:           8
        .value_kind:     hidden_global_offset_y
      - .offset:         1144
        .size:           8
        .value_kind:     hidden_global_offset_z
      - .offset:         1152
        .size:           2
        .value_kind:     hidden_grid_dims
    .group_segment_fixed_size: 0
    .kernarg_segment_align: 8
    .kernarg_segment_size: 1344
    .language:       OpenCL C
    .language_version:
      - 2
      - 0
    .max_flat_workgroup_size: 512
    .name:           _ZN2at6native12_GLOBAL__N_16kernel17gru_cell_backwardIN3c104HalfEfiLi2EEEvNS_4cuda6detail10TensorInfoIT_T1_EESB_SB_SB_SB_SA_SA_
    .private_segment_fixed_size: 0
    .sgpr_count:     63
    .sgpr_spill_count: 0
    .symbol:         _ZN2at6native12_GLOBAL__N_16kernel17gru_cell_backwardIN3c104HalfEfiLi2EEEvNS_4cuda6detail10TensorInfoIT_T1_EESB_SB_SB_SB_SA_SA_.kd
    .uniform_work_group_size: 1
    .uses_dynamic_stack: false
    .vgpr_count:     59
    .vgpr_spill_count: 0
    .wavefront_size: 64
  - .agpr_count:     0
    .args:
      - .offset:         0
        .size:           416
        .value_kind:     by_value
      - .offset:         416
        .size:           416
        .value_kind:     by_value
      - .offset:         832
        .size:           416
        .value_kind:     by_value
      - .offset:         1248
        .size:           416
        .value_kind:     by_value
      - .offset:         1664
        .size:           416
        .value_kind:     by_value
      - .offset:         2080
        .size:           8
        .value_kind:     by_value
      - .offset:         2088
        .size:           8
        .value_kind:     by_value
      - .offset:         2096
        .size:           4
        .value_kind:     hidden_block_count_x
      - .offset:         2100
        .size:           4
        .value_kind:     hidden_block_count_y
      - .offset:         2104
        .size:           4
        .value_kind:     hidden_block_count_z
      - .offset:         2108
        .size:           2
        .value_kind:     hidden_group_size_x
      - .offset:         2110
        .size:           2
        .value_kind:     hidden_group_size_y
      - .offset:         2112
        .size:           2
        .value_kind:     hidden_group_size_z
      - .offset:         2114
        .size:           2
        .value_kind:     hidden_remainder_x
      - .offset:         2116
        .size:           2
        .value_kind:     hidden_remainder_y
      - .offset:         2118
        .size:           2
        .value_kind:     hidden_remainder_z
      - .offset:         2136
        .size:           8
        .value_kind:     hidden_global_offset_x
      - .offset:         2144
        .size:           8
        .value_kind:     hidden_global_offset_y
      - .offset:         2152
        .size:           8
        .value_kind:     hidden_global_offset_z
      - .offset:         2160
        .size:           2
        .value_kind:     hidden_grid_dims
    .group_segment_fixed_size: 0
    .kernarg_segment_align: 8
    .kernarg_segment_size: 2352
    .language:       OpenCL C
    .language_version:
      - 2
      - 0
    .max_flat_workgroup_size: 512
    .name:           _ZN2at6native12_GLOBAL__N_16kernel17gru_cell_backwardIN3c104HalfEflLi1EEEvNS_4cuda6detail10TensorInfoIT_T1_EESB_SB_SB_SB_SA_SA_
    .private_segment_fixed_size: 0
    .sgpr_count:     42
    .sgpr_spill_count: 0
    .symbol:         _ZN2at6native12_GLOBAL__N_16kernel17gru_cell_backwardIN3c104HalfEflLi1EEEvNS_4cuda6detail10TensorInfoIT_T1_EESB_SB_SB_SB_SA_SA_.kd
    .uniform_work_group_size: 1
    .uses_dynamic_stack: false
    .vgpr_count:     26
    .vgpr_spill_count: 0
    .wavefront_size: 64
  - .agpr_count:     0
    .args:
      - .offset:         0
        .size:           416
        .value_kind:     by_value
      - .offset:         416
        .size:           416
        .value_kind:     by_value
      - .offset:         832
        .size:           416
        .value_kind:     by_value
      - .offset:         1248
        .size:           416
        .value_kind:     by_value
      - .offset:         1664
        .size:           416
        .value_kind:     by_value
      - .offset:         2080
        .size:           8
        .value_kind:     by_value
      - .offset:         2088
        .size:           8
        .value_kind:     by_value
      - .offset:         2096
        .size:           4
        .value_kind:     hidden_block_count_x
      - .offset:         2100
        .size:           4
        .value_kind:     hidden_block_count_y
      - .offset:         2104
        .size:           4
        .value_kind:     hidden_block_count_z
      - .offset:         2108
        .size:           2
        .value_kind:     hidden_group_size_x
      - .offset:         2110
        .size:           2
        .value_kind:     hidden_group_size_y
      - .offset:         2112
        .size:           2
        .value_kind:     hidden_group_size_z
      - .offset:         2114
        .size:           2
        .value_kind:     hidden_remainder_x
      - .offset:         2116
        .size:           2
        .value_kind:     hidden_remainder_y
      - .offset:         2118
        .size:           2
        .value_kind:     hidden_remainder_z
      - .offset:         2136
        .size:           8
        .value_kind:     hidden_global_offset_x
      - .offset:         2144
        .size:           8
        .value_kind:     hidden_global_offset_y
      - .offset:         2152
        .size:           8
        .value_kind:     hidden_global_offset_z
      - .offset:         2160
        .size:           2
        .value_kind:     hidden_grid_dims
    .group_segment_fixed_size: 0
    .kernarg_segment_align: 8
    .kernarg_segment_size: 2352
    .language:       OpenCL C
    .language_version:
      - 2
      - 0
    .max_flat_workgroup_size: 512
    .name:           _ZN2at6native12_GLOBAL__N_16kernel17gru_cell_backwardIN3c104HalfEflLi2EEEvNS_4cuda6detail10TensorInfoIT_T1_EESB_SB_SB_SB_SA_SA_
    .private_segment_fixed_size: 0
    .sgpr_count:     70
    .sgpr_spill_count: 0
    .symbol:         _ZN2at6native12_GLOBAL__N_16kernel17gru_cell_backwardIN3c104HalfEflLi2EEEvNS_4cuda6detail10TensorInfoIT_T1_EESB_SB_SB_SB_SA_SA_.kd
    .uniform_work_group_size: 1
    .uses_dynamic_stack: false
    .vgpr_count:     39
    .vgpr_spill_count: 0
    .wavefront_size: 64
  - .agpr_count:     0
    .args:
      - .offset:         0
        .size:           216
        .value_kind:     by_value
      - .offset:         216
        .size:           216
        .value_kind:     by_value
      - .offset:         432
        .size:           216
        .value_kind:     by_value
      - .offset:         648
        .size:           216
        .value_kind:     by_value
      - .offset:         864
        .size:           216
        .value_kind:     by_value
      - .offset:         1080
        .size:           4
        .value_kind:     by_value
      - .offset:         1084
        .size:           4
        .value_kind:     by_value
      - .offset:         1088
        .size:           4
        .value_kind:     hidden_block_count_x
      - .offset:         1092
        .size:           4
        .value_kind:     hidden_block_count_y
      - .offset:         1096
        .size:           4
        .value_kind:     hidden_block_count_z
      - .offset:         1100
        .size:           2
        .value_kind:     hidden_group_size_x
      - .offset:         1102
        .size:           2
        .value_kind:     hidden_group_size_y
      - .offset:         1104
        .size:           2
        .value_kind:     hidden_group_size_z
      - .offset:         1106
        .size:           2
        .value_kind:     hidden_remainder_x
      - .offset:         1108
        .size:           2
        .value_kind:     hidden_remainder_y
      - .offset:         1110
        .size:           2
        .value_kind:     hidden_remainder_z
      - .offset:         1128
        .size:           8
        .value_kind:     hidden_global_offset_x
      - .offset:         1136
        .size:           8
        .value_kind:     hidden_global_offset_y
      - .offset:         1144
        .size:           8
        .value_kind:     hidden_global_offset_z
      - .offset:         1152
        .size:           2
        .value_kind:     hidden_grid_dims
    .group_segment_fixed_size: 0
    .kernarg_segment_align: 8
    .kernarg_segment_size: 1344
    .language:       OpenCL C
    .language_version:
      - 2
      - 0
    .max_flat_workgroup_size: 512
    .name:           _ZN2at6native12_GLOBAL__N_16kernel17gru_cell_backwardIN3c108BFloat16EfiLi1EEEvNS_4cuda6detail10TensorInfoIT_T1_EESB_SB_SB_SB_SA_SA_
    .private_segment_fixed_size: 0
    .sgpr_count:     30
    .sgpr_spill_count: 0
    .symbol:         _ZN2at6native12_GLOBAL__N_16kernel17gru_cell_backwardIN3c108BFloat16EfiLi1EEEvNS_4cuda6detail10TensorInfoIT_T1_EESB_SB_SB_SB_SA_SA_.kd
    .uniform_work_group_size: 1
    .uses_dynamic_stack: false
    .vgpr_count:     39
    .vgpr_spill_count: 0
    .wavefront_size: 64
  - .agpr_count:     0
    .args:
      - .offset:         0
        .size:           216
        .value_kind:     by_value
      - .offset:         216
        .size:           216
        .value_kind:     by_value
      - .offset:         432
        .size:           216
        .value_kind:     by_value
      - .offset:         648
        .size:           216
        .value_kind:     by_value
      - .offset:         864
        .size:           216
        .value_kind:     by_value
      - .offset:         1080
        .size:           4
        .value_kind:     by_value
      - .offset:         1084
        .size:           4
        .value_kind:     by_value
      - .offset:         1088
        .size:           4
        .value_kind:     hidden_block_count_x
      - .offset:         1092
        .size:           4
        .value_kind:     hidden_block_count_y
      - .offset:         1096
        .size:           4
        .value_kind:     hidden_block_count_z
      - .offset:         1100
        .size:           2
        .value_kind:     hidden_group_size_x
      - .offset:         1102
        .size:           2
        .value_kind:     hidden_group_size_y
      - .offset:         1104
        .size:           2
        .value_kind:     hidden_group_size_z
      - .offset:         1106
        .size:           2
        .value_kind:     hidden_remainder_x
      - .offset:         1108
        .size:           2
        .value_kind:     hidden_remainder_y
      - .offset:         1110
        .size:           2
        .value_kind:     hidden_remainder_z
      - .offset:         1128
        .size:           8
        .value_kind:     hidden_global_offset_x
      - .offset:         1136
        .size:           8
        .value_kind:     hidden_global_offset_y
      - .offset:         1144
        .size:           8
        .value_kind:     hidden_global_offset_z
      - .offset:         1152
        .size:           2
        .value_kind:     hidden_grid_dims
    .group_segment_fixed_size: 0
    .kernarg_segment_align: 8
    .kernarg_segment_size: 1344
    .language:       OpenCL C
    .language_version:
      - 2
      - 0
    .max_flat_workgroup_size: 512
    .name:           _ZN2at6native12_GLOBAL__N_16kernel17gru_cell_backwardIN3c108BFloat16EfiLi2EEEvNS_4cuda6detail10TensorInfoIT_T1_EESB_SB_SB_SB_SA_SA_
    .private_segment_fixed_size: 0
    .sgpr_count:     63
    .sgpr_spill_count: 0
    .symbol:         _ZN2at6native12_GLOBAL__N_16kernel17gru_cell_backwardIN3c108BFloat16EfiLi2EEEvNS_4cuda6detail10TensorInfoIT_T1_EESB_SB_SB_SB_SA_SA_.kd
    .uniform_work_group_size: 1
    .uses_dynamic_stack: false
    .vgpr_count:     59
    .vgpr_spill_count: 0
    .wavefront_size: 64
  - .agpr_count:     0
    .args:
      - .offset:         0
        .size:           416
        .value_kind:     by_value
      - .offset:         416
        .size:           416
        .value_kind:     by_value
      - .offset:         832
        .size:           416
        .value_kind:     by_value
      - .offset:         1248
        .size:           416
        .value_kind:     by_value
      - .offset:         1664
        .size:           416
        .value_kind:     by_value
      - .offset:         2080
        .size:           8
        .value_kind:     by_value
      - .offset:         2088
        .size:           8
        .value_kind:     by_value
      - .offset:         2096
        .size:           4
        .value_kind:     hidden_block_count_x
      - .offset:         2100
        .size:           4
        .value_kind:     hidden_block_count_y
      - .offset:         2104
        .size:           4
        .value_kind:     hidden_block_count_z
      - .offset:         2108
        .size:           2
        .value_kind:     hidden_group_size_x
      - .offset:         2110
        .size:           2
        .value_kind:     hidden_group_size_y
      - .offset:         2112
        .size:           2
        .value_kind:     hidden_group_size_z
      - .offset:         2114
        .size:           2
        .value_kind:     hidden_remainder_x
      - .offset:         2116
        .size:           2
        .value_kind:     hidden_remainder_y
      - .offset:         2118
        .size:           2
        .value_kind:     hidden_remainder_z
      - .offset:         2136
        .size:           8
        .value_kind:     hidden_global_offset_x
      - .offset:         2144
        .size:           8
        .value_kind:     hidden_global_offset_y
      - .offset:         2152
        .size:           8
        .value_kind:     hidden_global_offset_z
      - .offset:         2160
        .size:           2
        .value_kind:     hidden_grid_dims
    .group_segment_fixed_size: 0
    .kernarg_segment_align: 8
    .kernarg_segment_size: 2352
    .language:       OpenCL C
    .language_version:
      - 2
      - 0
    .max_flat_workgroup_size: 512
    .name:           _ZN2at6native12_GLOBAL__N_16kernel17gru_cell_backwardIN3c108BFloat16EflLi1EEEvNS_4cuda6detail10TensorInfoIT_T1_EESB_SB_SB_SB_SA_SA_
    .private_segment_fixed_size: 0
    .sgpr_count:     42
    .sgpr_spill_count: 0
    .symbol:         _ZN2at6native12_GLOBAL__N_16kernel17gru_cell_backwardIN3c108BFloat16EflLi1EEEvNS_4cuda6detail10TensorInfoIT_T1_EESB_SB_SB_SB_SA_SA_.kd
    .uniform_work_group_size: 1
    .uses_dynamic_stack: false
    .vgpr_count:     25
    .vgpr_spill_count: 0
    .wavefront_size: 64
  - .agpr_count:     0
    .args:
      - .offset:         0
        .size:           416
        .value_kind:     by_value
      - .offset:         416
        .size:           416
        .value_kind:     by_value
      - .offset:         832
        .size:           416
        .value_kind:     by_value
      - .offset:         1248
        .size:           416
        .value_kind:     by_value
      - .offset:         1664
        .size:           416
        .value_kind:     by_value
      - .offset:         2080
        .size:           8
        .value_kind:     by_value
      - .offset:         2088
        .size:           8
        .value_kind:     by_value
      - .offset:         2096
        .size:           4
        .value_kind:     hidden_block_count_x
      - .offset:         2100
        .size:           4
        .value_kind:     hidden_block_count_y
      - .offset:         2104
        .size:           4
        .value_kind:     hidden_block_count_z
      - .offset:         2108
        .size:           2
        .value_kind:     hidden_group_size_x
      - .offset:         2110
        .size:           2
        .value_kind:     hidden_group_size_y
      - .offset:         2112
        .size:           2
        .value_kind:     hidden_group_size_z
      - .offset:         2114
        .size:           2
        .value_kind:     hidden_remainder_x
      - .offset:         2116
        .size:           2
        .value_kind:     hidden_remainder_y
      - .offset:         2118
        .size:           2
        .value_kind:     hidden_remainder_z
      - .offset:         2136
        .size:           8
        .value_kind:     hidden_global_offset_x
      - .offset:         2144
        .size:           8
        .value_kind:     hidden_global_offset_y
      - .offset:         2152
        .size:           8
        .value_kind:     hidden_global_offset_z
      - .offset:         2160
        .size:           2
        .value_kind:     hidden_grid_dims
    .group_segment_fixed_size: 0
    .kernarg_segment_align: 8
    .kernarg_segment_size: 2352
    .language:       OpenCL C
    .language_version:
      - 2
      - 0
    .max_flat_workgroup_size: 512
    .name:           _ZN2at6native12_GLOBAL__N_16kernel17gru_cell_backwardIN3c108BFloat16EflLi2EEEvNS_4cuda6detail10TensorInfoIT_T1_EESB_SB_SB_SB_SA_SA_
    .private_segment_fixed_size: 0
    .sgpr_count:     70
    .sgpr_spill_count: 0
    .symbol:         _ZN2at6native12_GLOBAL__N_16kernel17gru_cell_backwardIN3c108BFloat16EflLi2EEEvNS_4cuda6detail10TensorInfoIT_T1_EESB_SB_SB_SB_SA_SA_.kd
    .uniform_work_group_size: 1
    .uses_dynamic_stack: false
    .vgpr_count:     38
    .vgpr_spill_count: 0
    .wavefront_size: 64
amdhsa.target:   amdgcn-amd-amdhsa--gfx90a
amdhsa.version:
  - 1
  - 2
...

	.end_amdgpu_metadata
